;; amdgpu-corpus repo=pytorch/pytorch kind=compiled arch=gfx942 opt=O3
	.text
	.amdgcn_target "amdgcn-amd-amdhsa--gfx942"
	.amdhsa_code_object_version 6
	.section	.text._ZN2at6native12_GLOBAL__N_133embedding_backward_feature_kernelIddiEEvPKT1_PKT_PS6_ili,"axG",@progbits,_ZN2at6native12_GLOBAL__N_133embedding_backward_feature_kernelIddiEEvPKT1_PKT_PS6_ili,comdat
	.globl	_ZN2at6native12_GLOBAL__N_133embedding_backward_feature_kernelIddiEEvPKT1_PKT_PS6_ili ; -- Begin function _ZN2at6native12_GLOBAL__N_133embedding_backward_feature_kernelIddiEEvPKT1_PKT_PS6_ili
	.p2align	8
	.type	_ZN2at6native12_GLOBAL__N_133embedding_backward_feature_kernelIddiEEvPKT1_PKT_PS6_ili,@function
_ZN2at6native12_GLOBAL__N_133embedding_backward_feature_kernelIddiEEvPKT1_PKT_PS6_ili: ; @_ZN2at6native12_GLOBAL__N_133embedding_backward_feature_kernelIddiEEvPKT1_PKT_PS6_ili
; %bb.0:
	s_load_dword s14, s[0:1], 0x18
	s_waitcnt lgkmcnt(0)
	s_cmp_lt_i32 s14, 1
	s_cbranch_scc1 .LBB0_18
; %bb.1:
	s_load_dword s3, s[0:1], 0x3c
	s_load_dwordx2 s[6:7], s[0:1], 0x20
	s_load_dword s15, s[0:1], 0x28
	s_load_dwordx4 s[8:11], s[0:1], 0x0
	s_load_dwordx2 s[4:5], s[0:1], 0x10
	s_waitcnt lgkmcnt(0)
	s_and_b32 s18, s3, 0xffff
	v_and_b32_e32 v11, 0x3ff, v0
	s_mul_i32 s2, s2, s18
	v_bfe_u32 v10, v0, 10, 10
	s_lshr_b32 s16, s3, 16
	v_add_u32_e32 v0, s2, v11
	s_lshl_b32 s0, s16, 9
	v_ashrrev_i32_e32 v1, 31, v0
	s_add_i32 s17, s0, 0
	v_mad_u32_u24 v12, v10, s18, v11
	v_lshlrev_b64 v[2:3], 3, v[0:1]
	v_lshl_add_u32 v15, v11, 3, 0
	v_lshlrev_b32_e64 v4, v10, 1
	s_mov_b32 s19, 0
	v_lshl_add_u32 v13, v12, 2, s17
	s_mul_i32 s18, s18, s16
	v_lshl_add_u32 v14, v11, 2, s17
	v_cmp_le_i32_e32 vcc, s6, v0
	v_cmp_gt_i32_e64 s[0:1], s6, v0
	v_lshl_add_u64 v[0:1], s[10:11], 0, v[2:3]
	v_lshl_add_u32 v16, v10, 9, v15
	v_lshl_add_u64 v[2:3], s[4:5], 0, v[2:3]
	v_ashrrev_i32_e32 v5, 31, v4
	s_branch .LBB0_3
.LBB0_2:                                ;   in Loop: Header=BB0_3 Depth=1
	s_cmp_lt_i32 s19, s14
	s_cbranch_scc0 .LBB0_18
.LBB0_3:                                ; =>This Loop Header: Depth=1
                                        ;     Child Loop BB0_7 Depth 2
                                        ;       Child Loop BB0_15 Depth 3
	s_mov_b32 s20, s19
	v_add_u32_e32 v6, s20, v12
	v_cmp_gt_i32_e64 s[2:3], s14, v6
	s_and_saveexec_b64 s[4:5], s[2:3]
	s_cbranch_execz .LBB0_5
; %bb.4:                                ;   in Loop: Header=BB0_3 Depth=1
	v_ashrrev_i32_e32 v7, 31, v6
	v_lshl_add_u64 v[6:7], v[6:7], 2, s[8:9]
	global_load_dword v6, v[6:7], off
	s_waitcnt vmcnt(0)
	ds_write_b32 v13, v6
.LBB0_5:                                ;   in Loop: Header=BB0_3 Depth=1
	s_or_b64 exec, exec, s[4:5]
	s_add_i32 s19, s20, s18
	s_min_u32 s21, s19, s14
	s_cmp_ge_i32 s20, s21
	s_mov_b32 s22, s20
	s_cbranch_scc0 .LBB0_7
	s_branch .LBB0_2
.LBB0_6:                                ;   in Loop: Header=BB0_7 Depth=2
	s_or_b64 exec, exec, s[10:11]
	s_add_i32 s22, s22, s16
	s_cmp_ge_i32 s22, s21
	s_cbranch_scc1 .LBB0_2
.LBB0_7:                                ;   Parent Loop BB0_3 Depth=1
                                        ; =>  This Loop Header: Depth=2
                                        ;       Child Loop BB0_15 Depth 3
	v_add_u32_e32 v6, s22, v10
	v_subrev_u32_e32 v7, s20, v6
	v_lshl_add_u32 v7, v7, 2, s17
	s_waitcnt lgkmcnt(0)
	s_barrier
	ds_read_b32 v17, v7
	v_cmp_le_i32_e64 s[2:3], s14, v6
	s_or_b64 s[10:11], vcc, s[2:3]
	s_waitcnt lgkmcnt(0)
	v_cmp_eq_u32_e64 s[4:5], s15, v17
	s_or_b64 s[10:11], s[10:11], s[4:5]
	s_xor_b64 s[12:13], s[10:11], -1
	s_and_saveexec_b64 s[10:11], s[12:13]
	s_cbranch_execz .LBB0_9
; %bb.8:                                ;   in Loop: Header=BB0_7 Depth=2
	v_ashrrev_i32_e32 v7, 31, v6
	v_mul_lo_u32 v8, v6, s7
	v_mul_lo_u32 v9, v7, s6
	v_mad_u64_u32 v[6:7], s[12:13], v6, s6, 0
	v_add3_u32 v7, v7, v8, v9
	v_lshl_add_u64 v[6:7], v[6:7], 3, v[0:1]
	global_load_dwordx2 v[6:7], v[6:7], off
	s_waitcnt vmcnt(0)
	ds_write_b64 v16, v[6:7]
.LBB0_9:                                ;   in Loop: Header=BB0_7 Depth=2
	s_or_b64 exec, exec, s[10:11]
	s_or_b64 s[2:3], s[2:3], s[4:5]
	s_xor_b64 s[2:3], s[2:3], -1
	s_waitcnt lgkmcnt(0)
	s_barrier
	s_and_saveexec_b64 s[10:11], s[2:3]
	s_cbranch_execz .LBB0_6
; %bb.10:                               ;   in Loop: Header=BB0_7 Depth=2
	s_sub_i32 s2, s21, s22
	s_min_u32 s2, s2, s16
	v_cmp_gt_u32_e64 s[2:3], s2, v11
	s_mov_b64 s[12:13], 0
	s_and_saveexec_b64 s[4:5], s[2:3]
	s_cbranch_execz .LBB0_12
; %bb.11:                               ;   in Loop: Header=BB0_7 Depth=2
	s_sub_i32 s2, s22, s20
	v_lshl_add_u32 v6, s2, 2, v14
	ds_read_b32 v6, v6
	s_waitcnt lgkmcnt(0)
	v_cmp_eq_u32_e64 s[2:3], v17, v6
	s_and_b64 s[12:13], s[2:3], exec
.LBB0_12:                               ;   in Loop: Header=BB0_7 Depth=2
	s_or_b64 exec, exec, s[4:5]
	v_cndmask_b32_e64 v6, 0, 1, s[12:13]
	v_cmp_ne_u32_e64 s[2:3], 0, v6
	s_cmp_lg_u64 s[2:3], 0
	s_ff1_i32_b64 s4, s[2:3]
	s_cselect_b64 s[12:13], -1, 0
	v_cmp_eq_u32_e64 s[4:5], s4, v10
	s_and_b64 s[4:5], s[12:13], s[4:5]
	s_and_b64 exec, exec, s[4:5]
	s_cbranch_execz .LBB0_6
; %bb.13:                               ;   in Loop: Header=BB0_7 Depth=2
	v_cmp_ne_u64_e64 s[4:5], s[2:3], v[4:5]
	s_and_saveexec_b64 s[12:13], s[4:5]
	s_cbranch_execz .LBB0_16
; %bb.14:                               ;   in Loop: Header=BB0_7 Depth=2
	ds_read_b64 v[6:7], v16
	v_xor_b32_e32 v9, s3, v5
	v_xor_b32_e32 v8, s2, v4
	s_mov_b64 s[4:5], 0
.LBB0_15:                               ;   Parent Loop BB0_3 Depth=1
                                        ;     Parent Loop BB0_7 Depth=2
                                        ; =>    This Inner Loop Header: Depth=3
	v_ffbl_b32_e32 v18, v9
	v_ffbl_b32_e32 v19, v8
	v_add_u32_e32 v18, 32, v18
	v_min_u32_e32 v18, v19, v18
	v_lshl_add_u32 v19, v18, 9, v15
	ds_read_b64 v[20:21], v19
	v_lshlrev_b32_e64 v18, v18, 1
	v_ashrrev_i32_e32 v19, 31, v18
	v_xor_b32_e32 v22, v8, v18
	v_xor_b32_e32 v23, v9, v19
	v_cmp_eq_u64_e64 s[2:3], v[8:9], v[18:19]
	s_or_b64 s[4:5], s[2:3], s[4:5]
	v_mov_b64_e32 v[8:9], v[22:23]
	s_waitcnt lgkmcnt(0)
	v_add_f64 v[6:7], v[20:21], v[6:7]
	ds_write_b64 v16, v[6:7]
	s_andn2_b64 exec, exec, s[4:5]
	s_cbranch_execnz .LBB0_15
.LBB0_16:                               ;   in Loop: Header=BB0_7 Depth=2
	s_or_b64 exec, exec, s[12:13]
	s_and_b64 exec, exec, s[0:1]
	s_cbranch_execz .LBB0_6
; %bb.17:                               ;   in Loop: Header=BB0_7 Depth=2
	v_ashrrev_i32_e32 v6, 31, v17
	v_mul_lo_u32 v8, v17, s7
	v_mul_lo_u32 v9, v6, s6
	v_mad_u64_u32 v[6:7], s[2:3], v17, s6, 0
	v_add3_u32 v7, v7, v8, v9
	v_lshl_add_u64 v[6:7], v[6:7], 3, v[2:3]
	global_load_dwordx2 v[8:9], v[6:7], off
	ds_read_b64 v[18:19], v16
	s_waitcnt vmcnt(0) lgkmcnt(0)
	v_add_f64 v[8:9], v[18:19], v[8:9]
	global_store_dwordx2 v[6:7], v[8:9], off
	s_branch .LBB0_6
.LBB0_18:
	s_endpgm
	.section	.rodata,"a",@progbits
	.p2align	6, 0x0
	.amdhsa_kernel _ZN2at6native12_GLOBAL__N_133embedding_backward_feature_kernelIddiEEvPKT1_PKT_PS6_ili
		.amdhsa_group_segment_fixed_size 0
		.amdhsa_private_segment_fixed_size 0
		.amdhsa_kernarg_size 304
		.amdhsa_user_sgpr_count 2
		.amdhsa_user_sgpr_dispatch_ptr 0
		.amdhsa_user_sgpr_queue_ptr 0
		.amdhsa_user_sgpr_kernarg_segment_ptr 1
		.amdhsa_user_sgpr_dispatch_id 0
		.amdhsa_user_sgpr_kernarg_preload_length 0
		.amdhsa_user_sgpr_kernarg_preload_offset 0
		.amdhsa_user_sgpr_private_segment_size 0
		.amdhsa_uses_dynamic_stack 0
		.amdhsa_enable_private_segment 0
		.amdhsa_system_sgpr_workgroup_id_x 1
		.amdhsa_system_sgpr_workgroup_id_y 0
		.amdhsa_system_sgpr_workgroup_id_z 0
		.amdhsa_system_sgpr_workgroup_info 0
		.amdhsa_system_vgpr_workitem_id 1
		.amdhsa_next_free_vgpr 24
		.amdhsa_next_free_sgpr 23
		.amdhsa_accum_offset 24
		.amdhsa_reserve_vcc 1
		.amdhsa_float_round_mode_32 0
		.amdhsa_float_round_mode_16_64 0
		.amdhsa_float_denorm_mode_32 3
		.amdhsa_float_denorm_mode_16_64 3
		.amdhsa_dx10_clamp 1
		.amdhsa_ieee_mode 1
		.amdhsa_fp16_overflow 0
		.amdhsa_tg_split 0
		.amdhsa_exception_fp_ieee_invalid_op 0
		.amdhsa_exception_fp_denorm_src 0
		.amdhsa_exception_fp_ieee_div_zero 0
		.amdhsa_exception_fp_ieee_overflow 0
		.amdhsa_exception_fp_ieee_underflow 0
		.amdhsa_exception_fp_ieee_inexact 0
		.amdhsa_exception_int_div_zero 0
	.end_amdhsa_kernel
	.section	.text._ZN2at6native12_GLOBAL__N_133embedding_backward_feature_kernelIddiEEvPKT1_PKT_PS6_ili,"axG",@progbits,_ZN2at6native12_GLOBAL__N_133embedding_backward_feature_kernelIddiEEvPKT1_PKT_PS6_ili,comdat
.Lfunc_end0:
	.size	_ZN2at6native12_GLOBAL__N_133embedding_backward_feature_kernelIddiEEvPKT1_PKT_PS6_ili, .Lfunc_end0-_ZN2at6native12_GLOBAL__N_133embedding_backward_feature_kernelIddiEEvPKT1_PKT_PS6_ili
                                        ; -- End function
	.section	.AMDGPU.csdata,"",@progbits
; Kernel info:
; codeLenInByte = 832
; NumSgprs: 29
; NumVgprs: 24
; NumAgprs: 0
; TotalNumVgprs: 24
; ScratchSize: 0
; MemoryBound: 0
; FloatMode: 240
; IeeeMode: 1
; LDSByteSize: 0 bytes/workgroup (compile time only)
; SGPRBlocks: 3
; VGPRBlocks: 2
; NumSGPRsForWavesPerEU: 29
; NumVGPRsForWavesPerEU: 24
; AccumOffset: 24
; Occupancy: 8
; WaveLimiterHint : 0
; COMPUTE_PGM_RSRC2:SCRATCH_EN: 0
; COMPUTE_PGM_RSRC2:USER_SGPR: 2
; COMPUTE_PGM_RSRC2:TRAP_HANDLER: 0
; COMPUTE_PGM_RSRC2:TGID_X_EN: 1
; COMPUTE_PGM_RSRC2:TGID_Y_EN: 0
; COMPUTE_PGM_RSRC2:TGID_Z_EN: 0
; COMPUTE_PGM_RSRC2:TIDIG_COMP_CNT: 1
; COMPUTE_PGM_RSRC3_GFX90A:ACCUM_OFFSET: 5
; COMPUTE_PGM_RSRC3_GFX90A:TG_SPLIT: 0
	.section	.text._ZN2at6native12_GLOBAL__N_133embedding_backward_feature_kernelIddlEEvPKT1_PKT_PS6_ili,"axG",@progbits,_ZN2at6native12_GLOBAL__N_133embedding_backward_feature_kernelIddlEEvPKT1_PKT_PS6_ili,comdat
	.globl	_ZN2at6native12_GLOBAL__N_133embedding_backward_feature_kernelIddlEEvPKT1_PKT_PS6_ili ; -- Begin function _ZN2at6native12_GLOBAL__N_133embedding_backward_feature_kernelIddlEEvPKT1_PKT_PS6_ili
	.p2align	8
	.type	_ZN2at6native12_GLOBAL__N_133embedding_backward_feature_kernelIddlEEvPKT1_PKT_PS6_ili,@function
_ZN2at6native12_GLOBAL__N_133embedding_backward_feature_kernelIddlEEvPKT1_PKT_PS6_ili: ; @_ZN2at6native12_GLOBAL__N_133embedding_backward_feature_kernelIddlEEvPKT1_PKT_PS6_ili
; %bb.0:
	s_load_dword s14, s[0:1], 0x18
	s_waitcnt lgkmcnt(0)
	s_cmp_lt_i32 s14, 1
	s_cbranch_scc1 .LBB1_18
; %bb.1:
	s_load_dword s3, s[0:1], 0x3c
	s_load_dwordx2 s[6:7], s[0:1], 0x20
	s_load_dword s15, s[0:1], 0x28
	s_load_dwordx4 s[8:11], s[0:1], 0x0
	s_load_dwordx2 s[4:5], s[0:1], 0x10
	s_waitcnt lgkmcnt(0)
	s_and_b32 s18, s3, 0xffff
	v_and_b32_e32 v11, 0x3ff, v0
	s_mul_i32 s2, s2, s18
	v_bfe_u32 v10, v0, 10, 10
	s_lshr_b32 s16, s3, 16
	v_add_u32_e32 v0, s2, v11
	s_lshl_b32 s0, s16, 9
	v_ashrrev_i32_e32 v1, 31, v0
	s_add_i32 s17, s0, 0
	v_mad_u32_u24 v12, v10, s18, v11
	v_lshlrev_b64 v[2:3], 3, v[0:1]
	v_lshl_add_u32 v15, v11, 3, 0
	v_lshlrev_b32_e64 v4, v10, 1
	s_mov_b32 s19, 0
	v_lshl_add_u32 v13, v12, 2, s17
	s_mul_i32 s18, s18, s16
	v_lshl_add_u32 v14, v11, 2, s17
	v_cmp_le_i32_e32 vcc, s6, v0
	v_cmp_gt_i32_e64 s[0:1], s6, v0
	v_lshl_add_u64 v[0:1], s[10:11], 0, v[2:3]
	v_lshl_add_u32 v16, v10, 9, v15
	v_lshl_add_u64 v[2:3], s[4:5], 0, v[2:3]
	v_ashrrev_i32_e32 v5, 31, v4
	s_branch .LBB1_3
.LBB1_2:                                ;   in Loop: Header=BB1_3 Depth=1
	s_cmp_lt_i32 s19, s14
	s_cbranch_scc0 .LBB1_18
.LBB1_3:                                ; =>This Loop Header: Depth=1
                                        ;     Child Loop BB1_7 Depth 2
                                        ;       Child Loop BB1_15 Depth 3
	s_mov_b32 s20, s19
	v_add_u32_e32 v6, s20, v12
	v_cmp_gt_i32_e64 s[2:3], s14, v6
	s_and_saveexec_b64 s[4:5], s[2:3]
	s_cbranch_execz .LBB1_5
; %bb.4:                                ;   in Loop: Header=BB1_3 Depth=1
	v_ashrrev_i32_e32 v7, 31, v6
	v_lshl_add_u64 v[6:7], v[6:7], 3, s[8:9]
	global_load_dword v6, v[6:7], off
	s_waitcnt vmcnt(0)
	ds_write_b32 v13, v6
.LBB1_5:                                ;   in Loop: Header=BB1_3 Depth=1
	s_or_b64 exec, exec, s[4:5]
	s_add_i32 s19, s20, s18
	s_min_u32 s21, s19, s14
	s_cmp_ge_i32 s20, s21
	s_mov_b32 s22, s20
	s_cbranch_scc0 .LBB1_7
	s_branch .LBB1_2
.LBB1_6:                                ;   in Loop: Header=BB1_7 Depth=2
	s_or_b64 exec, exec, s[10:11]
	s_add_i32 s22, s22, s16
	s_cmp_ge_i32 s22, s21
	s_cbranch_scc1 .LBB1_2
.LBB1_7:                                ;   Parent Loop BB1_3 Depth=1
                                        ; =>  This Loop Header: Depth=2
                                        ;       Child Loop BB1_15 Depth 3
	v_add_u32_e32 v6, s22, v10
	v_subrev_u32_e32 v7, s20, v6
	v_lshl_add_u32 v7, v7, 2, s17
	s_waitcnt lgkmcnt(0)
	s_barrier
	ds_read_b32 v17, v7
	v_cmp_le_i32_e64 s[2:3], s14, v6
	s_or_b64 s[10:11], vcc, s[2:3]
	s_waitcnt lgkmcnt(0)
	v_cmp_eq_u32_e64 s[4:5], s15, v17
	s_or_b64 s[10:11], s[10:11], s[4:5]
	s_xor_b64 s[12:13], s[10:11], -1
	s_and_saveexec_b64 s[10:11], s[12:13]
	s_cbranch_execz .LBB1_9
; %bb.8:                                ;   in Loop: Header=BB1_7 Depth=2
	v_ashrrev_i32_e32 v7, 31, v6
	v_mul_lo_u32 v8, v6, s7
	v_mul_lo_u32 v9, v7, s6
	v_mad_u64_u32 v[6:7], s[12:13], v6, s6, 0
	v_add3_u32 v7, v7, v8, v9
	v_lshl_add_u64 v[6:7], v[6:7], 3, v[0:1]
	global_load_dwordx2 v[6:7], v[6:7], off
	s_waitcnt vmcnt(0)
	ds_write_b64 v16, v[6:7]
.LBB1_9:                                ;   in Loop: Header=BB1_7 Depth=2
	s_or_b64 exec, exec, s[10:11]
	s_or_b64 s[2:3], s[2:3], s[4:5]
	s_xor_b64 s[2:3], s[2:3], -1
	s_waitcnt lgkmcnt(0)
	s_barrier
	s_and_saveexec_b64 s[10:11], s[2:3]
	s_cbranch_execz .LBB1_6
; %bb.10:                               ;   in Loop: Header=BB1_7 Depth=2
	s_sub_i32 s2, s21, s22
	s_min_u32 s2, s2, s16
	v_cmp_gt_u32_e64 s[2:3], s2, v11
	s_mov_b64 s[12:13], 0
	s_and_saveexec_b64 s[4:5], s[2:3]
	s_cbranch_execz .LBB1_12
; %bb.11:                               ;   in Loop: Header=BB1_7 Depth=2
	s_sub_i32 s2, s22, s20
	v_lshl_add_u32 v6, s2, 2, v14
	ds_read_b32 v6, v6
	s_waitcnt lgkmcnt(0)
	v_cmp_eq_u32_e64 s[2:3], v17, v6
	s_and_b64 s[12:13], s[2:3], exec
.LBB1_12:                               ;   in Loop: Header=BB1_7 Depth=2
	s_or_b64 exec, exec, s[4:5]
	v_cndmask_b32_e64 v6, 0, 1, s[12:13]
	v_cmp_ne_u32_e64 s[2:3], 0, v6
	s_cmp_lg_u64 s[2:3], 0
	s_ff1_i32_b64 s4, s[2:3]
	s_cselect_b64 s[12:13], -1, 0
	v_cmp_eq_u32_e64 s[4:5], s4, v10
	s_and_b64 s[4:5], s[12:13], s[4:5]
	s_and_b64 exec, exec, s[4:5]
	s_cbranch_execz .LBB1_6
; %bb.13:                               ;   in Loop: Header=BB1_7 Depth=2
	v_cmp_ne_u64_e64 s[4:5], s[2:3], v[4:5]
	s_and_saveexec_b64 s[12:13], s[4:5]
	s_cbranch_execz .LBB1_16
; %bb.14:                               ;   in Loop: Header=BB1_7 Depth=2
	ds_read_b64 v[6:7], v16
	v_xor_b32_e32 v9, s3, v5
	v_xor_b32_e32 v8, s2, v4
	s_mov_b64 s[4:5], 0
.LBB1_15:                               ;   Parent Loop BB1_3 Depth=1
                                        ;     Parent Loop BB1_7 Depth=2
                                        ; =>    This Inner Loop Header: Depth=3
	v_ffbl_b32_e32 v18, v9
	v_ffbl_b32_e32 v19, v8
	v_add_u32_e32 v18, 32, v18
	v_min_u32_e32 v18, v19, v18
	v_lshl_add_u32 v19, v18, 9, v15
	ds_read_b64 v[20:21], v19
	v_lshlrev_b32_e64 v18, v18, 1
	v_ashrrev_i32_e32 v19, 31, v18
	v_xor_b32_e32 v22, v8, v18
	v_xor_b32_e32 v23, v9, v19
	v_cmp_eq_u64_e64 s[2:3], v[8:9], v[18:19]
	s_or_b64 s[4:5], s[2:3], s[4:5]
	v_mov_b64_e32 v[8:9], v[22:23]
	s_waitcnt lgkmcnt(0)
	v_add_f64 v[6:7], v[20:21], v[6:7]
	ds_write_b64 v16, v[6:7]
	s_andn2_b64 exec, exec, s[4:5]
	s_cbranch_execnz .LBB1_15
.LBB1_16:                               ;   in Loop: Header=BB1_7 Depth=2
	s_or_b64 exec, exec, s[12:13]
	s_and_b64 exec, exec, s[0:1]
	s_cbranch_execz .LBB1_6
; %bb.17:                               ;   in Loop: Header=BB1_7 Depth=2
	v_ashrrev_i32_e32 v6, 31, v17
	v_mul_lo_u32 v8, v17, s7
	v_mul_lo_u32 v9, v6, s6
	v_mad_u64_u32 v[6:7], s[2:3], v17, s6, 0
	v_add3_u32 v7, v7, v8, v9
	v_lshl_add_u64 v[6:7], v[6:7], 3, v[2:3]
	global_load_dwordx2 v[8:9], v[6:7], off
	ds_read_b64 v[18:19], v16
	s_waitcnt vmcnt(0) lgkmcnt(0)
	v_add_f64 v[8:9], v[18:19], v[8:9]
	global_store_dwordx2 v[6:7], v[8:9], off
	s_branch .LBB1_6
.LBB1_18:
	s_endpgm
	.section	.rodata,"a",@progbits
	.p2align	6, 0x0
	.amdhsa_kernel _ZN2at6native12_GLOBAL__N_133embedding_backward_feature_kernelIddlEEvPKT1_PKT_PS6_ili
		.amdhsa_group_segment_fixed_size 0
		.amdhsa_private_segment_fixed_size 0
		.amdhsa_kernarg_size 304
		.amdhsa_user_sgpr_count 2
		.amdhsa_user_sgpr_dispatch_ptr 0
		.amdhsa_user_sgpr_queue_ptr 0
		.amdhsa_user_sgpr_kernarg_segment_ptr 1
		.amdhsa_user_sgpr_dispatch_id 0
		.amdhsa_user_sgpr_kernarg_preload_length 0
		.amdhsa_user_sgpr_kernarg_preload_offset 0
		.amdhsa_user_sgpr_private_segment_size 0
		.amdhsa_uses_dynamic_stack 0
		.amdhsa_enable_private_segment 0
		.amdhsa_system_sgpr_workgroup_id_x 1
		.amdhsa_system_sgpr_workgroup_id_y 0
		.amdhsa_system_sgpr_workgroup_id_z 0
		.amdhsa_system_sgpr_workgroup_info 0
		.amdhsa_system_vgpr_workitem_id 1
		.amdhsa_next_free_vgpr 24
		.amdhsa_next_free_sgpr 23
		.amdhsa_accum_offset 24
		.amdhsa_reserve_vcc 1
		.amdhsa_float_round_mode_32 0
		.amdhsa_float_round_mode_16_64 0
		.amdhsa_float_denorm_mode_32 3
		.amdhsa_float_denorm_mode_16_64 3
		.amdhsa_dx10_clamp 1
		.amdhsa_ieee_mode 1
		.amdhsa_fp16_overflow 0
		.amdhsa_tg_split 0
		.amdhsa_exception_fp_ieee_invalid_op 0
		.amdhsa_exception_fp_denorm_src 0
		.amdhsa_exception_fp_ieee_div_zero 0
		.amdhsa_exception_fp_ieee_overflow 0
		.amdhsa_exception_fp_ieee_underflow 0
		.amdhsa_exception_fp_ieee_inexact 0
		.amdhsa_exception_int_div_zero 0
	.end_amdhsa_kernel
	.section	.text._ZN2at6native12_GLOBAL__N_133embedding_backward_feature_kernelIddlEEvPKT1_PKT_PS6_ili,"axG",@progbits,_ZN2at6native12_GLOBAL__N_133embedding_backward_feature_kernelIddlEEvPKT1_PKT_PS6_ili,comdat
.Lfunc_end1:
	.size	_ZN2at6native12_GLOBAL__N_133embedding_backward_feature_kernelIddlEEvPKT1_PKT_PS6_ili, .Lfunc_end1-_ZN2at6native12_GLOBAL__N_133embedding_backward_feature_kernelIddlEEvPKT1_PKT_PS6_ili
                                        ; -- End function
	.section	.AMDGPU.csdata,"",@progbits
; Kernel info:
; codeLenInByte = 832
; NumSgprs: 29
; NumVgprs: 24
; NumAgprs: 0
; TotalNumVgprs: 24
; ScratchSize: 0
; MemoryBound: 0
; FloatMode: 240
; IeeeMode: 1
; LDSByteSize: 0 bytes/workgroup (compile time only)
; SGPRBlocks: 3
; VGPRBlocks: 2
; NumSGPRsForWavesPerEU: 29
; NumVGPRsForWavesPerEU: 24
; AccumOffset: 24
; Occupancy: 8
; WaveLimiterHint : 0
; COMPUTE_PGM_RSRC2:SCRATCH_EN: 0
; COMPUTE_PGM_RSRC2:USER_SGPR: 2
; COMPUTE_PGM_RSRC2:TRAP_HANDLER: 0
; COMPUTE_PGM_RSRC2:TGID_X_EN: 1
; COMPUTE_PGM_RSRC2:TGID_Y_EN: 0
; COMPUTE_PGM_RSRC2:TGID_Z_EN: 0
; COMPUTE_PGM_RSRC2:TIDIG_COMP_CNT: 1
; COMPUTE_PGM_RSRC3_GFX90A:ACCUM_OFFSET: 5
; COMPUTE_PGM_RSRC3_GFX90A:TG_SPLIT: 0
	.section	.text._ZN2at6native12_GLOBAL__N_133embedding_backward_feature_kernelIffiEEvPKT1_PKT_PS6_ili,"axG",@progbits,_ZN2at6native12_GLOBAL__N_133embedding_backward_feature_kernelIffiEEvPKT1_PKT_PS6_ili,comdat
	.globl	_ZN2at6native12_GLOBAL__N_133embedding_backward_feature_kernelIffiEEvPKT1_PKT_PS6_ili ; -- Begin function _ZN2at6native12_GLOBAL__N_133embedding_backward_feature_kernelIffiEEvPKT1_PKT_PS6_ili
	.p2align	8
	.type	_ZN2at6native12_GLOBAL__N_133embedding_backward_feature_kernelIffiEEvPKT1_PKT_PS6_ili,@function
_ZN2at6native12_GLOBAL__N_133embedding_backward_feature_kernelIffiEEvPKT1_PKT_PS6_ili: ; @_ZN2at6native12_GLOBAL__N_133embedding_backward_feature_kernelIffiEEvPKT1_PKT_PS6_ili
; %bb.0:
	s_load_dword s14, s[0:1], 0x18
	s_waitcnt lgkmcnt(0)
	s_cmp_lt_i32 s14, 1
	s_cbranch_scc1 .LBB2_18
; %bb.1:
	s_load_dword s3, s[0:1], 0x3c
	s_load_dwordx2 s[6:7], s[0:1], 0x20
	s_load_dword s15, s[0:1], 0x28
	s_load_dwordx4 s[8:11], s[0:1], 0x0
	s_load_dwordx2 s[4:5], s[0:1], 0x10
	s_waitcnt lgkmcnt(0)
	s_and_b32 s18, s3, 0xffff
	s_lshr_b32 s16, s3, 16
	v_and_b32_e32 v9, 0x3ff, v0
	s_mul_i32 s2, s2, s18
	v_bfe_u32 v8, v0, 10, 10
	s_lshl_b32 s0, s16, 8
	v_add_u32_e32 v0, s2, v9
	s_add_i32 s17, s0, 0
	v_lshlrev_b32_e32 v4, 2, v9
	v_ashrrev_i32_e32 v1, 31, v0
	v_mad_u32_u24 v10, v8, s18, v9
	v_add_u32_e32 v12, s17, v4
	v_lshlrev_b64 v[2:3], 2, v[0:1]
	v_add_u32_e32 v13, 0, v4
	v_lshlrev_b32_e64 v4, v8, 1
	s_mov_b32 s19, 0
	v_lshl_add_u32 v11, v10, 2, s17
	s_mul_i32 s18, s18, s16
	v_cmp_le_i32_e32 vcc, s6, v0
	v_cmp_gt_i32_e64 s[0:1], s6, v0
	v_lshl_add_u64 v[0:1], s[10:11], 0, v[2:3]
	v_lshl_add_u32 v14, v8, 8, v13
	v_lshl_add_u64 v[2:3], s[4:5], 0, v[2:3]
	v_ashrrev_i32_e32 v5, 31, v4
	s_branch .LBB2_3
.LBB2_2:                                ;   in Loop: Header=BB2_3 Depth=1
	s_cmp_lt_i32 s19, s14
	s_cbranch_scc0 .LBB2_18
.LBB2_3:                                ; =>This Loop Header: Depth=1
                                        ;     Child Loop BB2_7 Depth 2
                                        ;       Child Loop BB2_15 Depth 3
	s_mov_b32 s20, s19
	v_add_u32_e32 v6, s20, v10
	v_cmp_gt_i32_e64 s[2:3], s14, v6
	s_and_saveexec_b64 s[4:5], s[2:3]
	s_cbranch_execz .LBB2_5
; %bb.4:                                ;   in Loop: Header=BB2_3 Depth=1
	v_ashrrev_i32_e32 v7, 31, v6
	v_lshl_add_u64 v[6:7], v[6:7], 2, s[8:9]
	global_load_dword v6, v[6:7], off
	s_waitcnt vmcnt(0)
	ds_write_b32 v11, v6
.LBB2_5:                                ;   in Loop: Header=BB2_3 Depth=1
	s_or_b64 exec, exec, s[4:5]
	s_add_i32 s19, s20, s18
	s_min_u32 s21, s19, s14
	s_cmp_ge_i32 s20, s21
	s_mov_b32 s22, s20
	s_cbranch_scc0 .LBB2_7
	s_branch .LBB2_2
.LBB2_6:                                ;   in Loop: Header=BB2_7 Depth=2
	s_or_b64 exec, exec, s[10:11]
	s_add_i32 s22, s22, s16
	s_cmp_ge_i32 s22, s21
	s_cbranch_scc1 .LBB2_2
.LBB2_7:                                ;   Parent Loop BB2_3 Depth=1
                                        ; =>  This Loop Header: Depth=2
                                        ;       Child Loop BB2_15 Depth 3
	v_add_u32_e32 v6, s22, v8
	v_subrev_u32_e32 v7, s20, v6
	v_lshl_add_u32 v7, v7, 2, s17
	s_waitcnt lgkmcnt(0)
	s_barrier
	ds_read_b32 v15, v7
	v_cmp_le_i32_e64 s[2:3], s14, v6
	s_or_b64 s[10:11], vcc, s[2:3]
	s_waitcnt lgkmcnt(0)
	v_cmp_eq_u32_e64 s[4:5], s15, v15
	s_or_b64 s[10:11], s[10:11], s[4:5]
	s_xor_b64 s[12:13], s[10:11], -1
	s_and_saveexec_b64 s[10:11], s[12:13]
	s_cbranch_execz .LBB2_9
; %bb.8:                                ;   in Loop: Header=BB2_7 Depth=2
	v_ashrrev_i32_e32 v7, 31, v6
	v_mul_lo_u32 v16, v6, s7
	v_mul_lo_u32 v17, v7, s6
	v_mad_u64_u32 v[6:7], s[12:13], v6, s6, 0
	v_add3_u32 v7, v7, v16, v17
	v_lshl_add_u64 v[6:7], v[6:7], 2, v[0:1]
	global_load_dword v6, v[6:7], off
	s_waitcnt vmcnt(0)
	ds_write_b32 v14, v6
.LBB2_9:                                ;   in Loop: Header=BB2_7 Depth=2
	s_or_b64 exec, exec, s[10:11]
	s_or_b64 s[2:3], s[2:3], s[4:5]
	s_xor_b64 s[2:3], s[2:3], -1
	s_waitcnt lgkmcnt(0)
	s_barrier
	s_and_saveexec_b64 s[10:11], s[2:3]
	s_cbranch_execz .LBB2_6
; %bb.10:                               ;   in Loop: Header=BB2_7 Depth=2
	s_sub_i32 s2, s21, s22
	s_min_u32 s2, s2, s16
	v_cmp_gt_u32_e64 s[2:3], s2, v9
	s_mov_b64 s[12:13], 0
	s_and_saveexec_b64 s[4:5], s[2:3]
	s_cbranch_execz .LBB2_12
; %bb.11:                               ;   in Loop: Header=BB2_7 Depth=2
	s_sub_i32 s2, s22, s20
	v_lshl_add_u32 v6, s2, 2, v12
	ds_read_b32 v6, v6
	s_waitcnt lgkmcnt(0)
	v_cmp_eq_u32_e64 s[2:3], v15, v6
	s_and_b64 s[12:13], s[2:3], exec
.LBB2_12:                               ;   in Loop: Header=BB2_7 Depth=2
	s_or_b64 exec, exec, s[4:5]
	v_cndmask_b32_e64 v6, 0, 1, s[12:13]
	v_cmp_ne_u32_e64 s[2:3], 0, v6
	s_cmp_lg_u64 s[2:3], 0
	s_ff1_i32_b64 s4, s[2:3]
	s_cselect_b64 s[12:13], -1, 0
	v_cmp_eq_u32_e64 s[4:5], s4, v8
	s_and_b64 s[4:5], s[12:13], s[4:5]
	s_and_b64 exec, exec, s[4:5]
	s_cbranch_execz .LBB2_6
; %bb.13:                               ;   in Loop: Header=BB2_7 Depth=2
	v_cmp_ne_u64_e64 s[4:5], s[2:3], v[4:5]
	s_and_saveexec_b64 s[12:13], s[4:5]
	s_cbranch_execz .LBB2_16
; %bb.14:                               ;   in Loop: Header=BB2_7 Depth=2
	ds_read_b32 v16, v14
	v_xor_b32_e32 v7, s3, v5
	v_xor_b32_e32 v6, s2, v4
	s_mov_b64 s[4:5], 0
.LBB2_15:                               ;   Parent Loop BB2_3 Depth=1
                                        ;     Parent Loop BB2_7 Depth=2
                                        ; =>    This Inner Loop Header: Depth=3
	v_ffbl_b32_e32 v17, v7
	v_ffbl_b32_e32 v18, v6
	v_add_u32_e32 v17, 32, v17
	v_min_u32_e32 v17, v18, v17
	v_lshl_add_u32 v19, v17, 8, v13
	v_lshlrev_b32_e64 v18, v17, 1
	ds_read_b32 v17, v19
	v_ashrrev_i32_e32 v19, 31, v18
	v_xor_b32_e32 v20, v6, v18
	v_xor_b32_e32 v21, v7, v19
	v_cmp_eq_u64_e64 s[2:3], v[6:7], v[18:19]
	s_or_b64 s[4:5], s[2:3], s[4:5]
	v_mov_b64_e32 v[6:7], v[20:21]
	s_waitcnt lgkmcnt(0)
	v_add_f32_e32 v16, v17, v16
	ds_write_b32 v14, v16
	s_andn2_b64 exec, exec, s[4:5]
	s_cbranch_execnz .LBB2_15
.LBB2_16:                               ;   in Loop: Header=BB2_7 Depth=2
	s_or_b64 exec, exec, s[12:13]
	s_and_b64 exec, exec, s[0:1]
	s_cbranch_execz .LBB2_6
; %bb.17:                               ;   in Loop: Header=BB2_7 Depth=2
	v_ashrrev_i32_e32 v6, 31, v15
	v_mul_lo_u32 v16, v15, s7
	v_mul_lo_u32 v17, v6, s6
	v_mad_u64_u32 v[6:7], s[2:3], v15, s6, 0
	v_add3_u32 v7, v7, v16, v17
	v_lshl_add_u64 v[6:7], v[6:7], 2, v[2:3]
	global_load_dword v15, v[6:7], off
	ds_read_b32 v16, v14
	s_waitcnt vmcnt(0) lgkmcnt(0)
	v_add_f32_e32 v15, v16, v15
	global_store_dword v[6:7], v15, off
	s_branch .LBB2_6
.LBB2_18:
	s_endpgm
	.section	.rodata,"a",@progbits
	.p2align	6, 0x0
	.amdhsa_kernel _ZN2at6native12_GLOBAL__N_133embedding_backward_feature_kernelIffiEEvPKT1_PKT_PS6_ili
		.amdhsa_group_segment_fixed_size 0
		.amdhsa_private_segment_fixed_size 0
		.amdhsa_kernarg_size 304
		.amdhsa_user_sgpr_count 2
		.amdhsa_user_sgpr_dispatch_ptr 0
		.amdhsa_user_sgpr_queue_ptr 0
		.amdhsa_user_sgpr_kernarg_segment_ptr 1
		.amdhsa_user_sgpr_dispatch_id 0
		.amdhsa_user_sgpr_kernarg_preload_length 0
		.amdhsa_user_sgpr_kernarg_preload_offset 0
		.amdhsa_user_sgpr_private_segment_size 0
		.amdhsa_uses_dynamic_stack 0
		.amdhsa_enable_private_segment 0
		.amdhsa_system_sgpr_workgroup_id_x 1
		.amdhsa_system_sgpr_workgroup_id_y 0
		.amdhsa_system_sgpr_workgroup_id_z 0
		.amdhsa_system_sgpr_workgroup_info 0
		.amdhsa_system_vgpr_workitem_id 1
		.amdhsa_next_free_vgpr 22
		.amdhsa_next_free_sgpr 23
		.amdhsa_accum_offset 24
		.amdhsa_reserve_vcc 1
		.amdhsa_float_round_mode_32 0
		.amdhsa_float_round_mode_16_64 0
		.amdhsa_float_denorm_mode_32 3
		.amdhsa_float_denorm_mode_16_64 3
		.amdhsa_dx10_clamp 1
		.amdhsa_ieee_mode 1
		.amdhsa_fp16_overflow 0
		.amdhsa_tg_split 0
		.amdhsa_exception_fp_ieee_invalid_op 0
		.amdhsa_exception_fp_denorm_src 0
		.amdhsa_exception_fp_ieee_div_zero 0
		.amdhsa_exception_fp_ieee_overflow 0
		.amdhsa_exception_fp_ieee_underflow 0
		.amdhsa_exception_fp_ieee_inexact 0
		.amdhsa_exception_int_div_zero 0
	.end_amdhsa_kernel
	.section	.text._ZN2at6native12_GLOBAL__N_133embedding_backward_feature_kernelIffiEEvPKT1_PKT_PS6_ili,"axG",@progbits,_ZN2at6native12_GLOBAL__N_133embedding_backward_feature_kernelIffiEEvPKT1_PKT_PS6_ili,comdat
.Lfunc_end2:
	.size	_ZN2at6native12_GLOBAL__N_133embedding_backward_feature_kernelIffiEEvPKT1_PKT_PS6_ili, .Lfunc_end2-_ZN2at6native12_GLOBAL__N_133embedding_backward_feature_kernelIffiEEvPKT1_PKT_PS6_ili
                                        ; -- End function
	.section	.AMDGPU.csdata,"",@progbits
; Kernel info:
; codeLenInByte = 820
; NumSgprs: 29
; NumVgprs: 22
; NumAgprs: 0
; TotalNumVgprs: 22
; ScratchSize: 0
; MemoryBound: 0
; FloatMode: 240
; IeeeMode: 1
; LDSByteSize: 0 bytes/workgroup (compile time only)
; SGPRBlocks: 3
; VGPRBlocks: 2
; NumSGPRsForWavesPerEU: 29
; NumVGPRsForWavesPerEU: 22
; AccumOffset: 24
; Occupancy: 8
; WaveLimiterHint : 0
; COMPUTE_PGM_RSRC2:SCRATCH_EN: 0
; COMPUTE_PGM_RSRC2:USER_SGPR: 2
; COMPUTE_PGM_RSRC2:TRAP_HANDLER: 0
; COMPUTE_PGM_RSRC2:TGID_X_EN: 1
; COMPUTE_PGM_RSRC2:TGID_Y_EN: 0
; COMPUTE_PGM_RSRC2:TGID_Z_EN: 0
; COMPUTE_PGM_RSRC2:TIDIG_COMP_CNT: 1
; COMPUTE_PGM_RSRC3_GFX90A:ACCUM_OFFSET: 5
; COMPUTE_PGM_RSRC3_GFX90A:TG_SPLIT: 0
	.section	.text._ZN2at6native12_GLOBAL__N_133embedding_backward_feature_kernelIfflEEvPKT1_PKT_PS6_ili,"axG",@progbits,_ZN2at6native12_GLOBAL__N_133embedding_backward_feature_kernelIfflEEvPKT1_PKT_PS6_ili,comdat
	.globl	_ZN2at6native12_GLOBAL__N_133embedding_backward_feature_kernelIfflEEvPKT1_PKT_PS6_ili ; -- Begin function _ZN2at6native12_GLOBAL__N_133embedding_backward_feature_kernelIfflEEvPKT1_PKT_PS6_ili
	.p2align	8
	.type	_ZN2at6native12_GLOBAL__N_133embedding_backward_feature_kernelIfflEEvPKT1_PKT_PS6_ili,@function
_ZN2at6native12_GLOBAL__N_133embedding_backward_feature_kernelIfflEEvPKT1_PKT_PS6_ili: ; @_ZN2at6native12_GLOBAL__N_133embedding_backward_feature_kernelIfflEEvPKT1_PKT_PS6_ili
; %bb.0:
	s_load_dword s14, s[0:1], 0x18
	s_waitcnt lgkmcnt(0)
	s_cmp_lt_i32 s14, 1
	s_cbranch_scc1 .LBB3_18
; %bb.1:
	s_load_dword s3, s[0:1], 0x3c
	s_load_dwordx2 s[6:7], s[0:1], 0x20
	s_load_dword s15, s[0:1], 0x28
	s_load_dwordx4 s[8:11], s[0:1], 0x0
	s_load_dwordx2 s[4:5], s[0:1], 0x10
	s_waitcnt lgkmcnt(0)
	s_and_b32 s18, s3, 0xffff
	s_lshr_b32 s16, s3, 16
	v_and_b32_e32 v9, 0x3ff, v0
	s_mul_i32 s2, s2, s18
	v_bfe_u32 v8, v0, 10, 10
	s_lshl_b32 s0, s16, 8
	v_add_u32_e32 v0, s2, v9
	s_add_i32 s17, s0, 0
	v_lshlrev_b32_e32 v4, 2, v9
	v_ashrrev_i32_e32 v1, 31, v0
	v_mad_u32_u24 v10, v8, s18, v9
	v_add_u32_e32 v12, s17, v4
	v_lshlrev_b64 v[2:3], 2, v[0:1]
	v_add_u32_e32 v13, 0, v4
	v_lshlrev_b32_e64 v4, v8, 1
	s_mov_b32 s19, 0
	v_lshl_add_u32 v11, v10, 2, s17
	s_mul_i32 s18, s18, s16
	v_cmp_le_i32_e32 vcc, s6, v0
	v_cmp_gt_i32_e64 s[0:1], s6, v0
	v_lshl_add_u64 v[0:1], s[10:11], 0, v[2:3]
	v_lshl_add_u32 v14, v8, 8, v13
	v_lshl_add_u64 v[2:3], s[4:5], 0, v[2:3]
	v_ashrrev_i32_e32 v5, 31, v4
	s_branch .LBB3_3
.LBB3_2:                                ;   in Loop: Header=BB3_3 Depth=1
	s_cmp_lt_i32 s19, s14
	s_cbranch_scc0 .LBB3_18
.LBB3_3:                                ; =>This Loop Header: Depth=1
                                        ;     Child Loop BB3_7 Depth 2
                                        ;       Child Loop BB3_15 Depth 3
	s_mov_b32 s20, s19
	v_add_u32_e32 v6, s20, v10
	v_cmp_gt_i32_e64 s[2:3], s14, v6
	s_and_saveexec_b64 s[4:5], s[2:3]
	s_cbranch_execz .LBB3_5
; %bb.4:                                ;   in Loop: Header=BB3_3 Depth=1
	v_ashrrev_i32_e32 v7, 31, v6
	v_lshl_add_u64 v[6:7], v[6:7], 3, s[8:9]
	global_load_dword v6, v[6:7], off
	s_waitcnt vmcnt(0)
	ds_write_b32 v11, v6
.LBB3_5:                                ;   in Loop: Header=BB3_3 Depth=1
	s_or_b64 exec, exec, s[4:5]
	s_add_i32 s19, s20, s18
	s_min_u32 s21, s19, s14
	s_cmp_ge_i32 s20, s21
	s_mov_b32 s22, s20
	s_cbranch_scc0 .LBB3_7
	s_branch .LBB3_2
.LBB3_6:                                ;   in Loop: Header=BB3_7 Depth=2
	s_or_b64 exec, exec, s[10:11]
	s_add_i32 s22, s22, s16
	s_cmp_ge_i32 s22, s21
	s_cbranch_scc1 .LBB3_2
.LBB3_7:                                ;   Parent Loop BB3_3 Depth=1
                                        ; =>  This Loop Header: Depth=2
                                        ;       Child Loop BB3_15 Depth 3
	v_add_u32_e32 v6, s22, v8
	v_subrev_u32_e32 v7, s20, v6
	v_lshl_add_u32 v7, v7, 2, s17
	s_waitcnt lgkmcnt(0)
	s_barrier
	ds_read_b32 v15, v7
	v_cmp_le_i32_e64 s[2:3], s14, v6
	s_or_b64 s[10:11], vcc, s[2:3]
	s_waitcnt lgkmcnt(0)
	v_cmp_eq_u32_e64 s[4:5], s15, v15
	s_or_b64 s[10:11], s[10:11], s[4:5]
	s_xor_b64 s[12:13], s[10:11], -1
	s_and_saveexec_b64 s[10:11], s[12:13]
	s_cbranch_execz .LBB3_9
; %bb.8:                                ;   in Loop: Header=BB3_7 Depth=2
	v_ashrrev_i32_e32 v7, 31, v6
	v_mul_lo_u32 v16, v6, s7
	v_mul_lo_u32 v17, v7, s6
	v_mad_u64_u32 v[6:7], s[12:13], v6, s6, 0
	v_add3_u32 v7, v7, v16, v17
	v_lshl_add_u64 v[6:7], v[6:7], 2, v[0:1]
	global_load_dword v6, v[6:7], off
	s_waitcnt vmcnt(0)
	ds_write_b32 v14, v6
.LBB3_9:                                ;   in Loop: Header=BB3_7 Depth=2
	s_or_b64 exec, exec, s[10:11]
	s_or_b64 s[2:3], s[2:3], s[4:5]
	s_xor_b64 s[2:3], s[2:3], -1
	s_waitcnt lgkmcnt(0)
	s_barrier
	s_and_saveexec_b64 s[10:11], s[2:3]
	s_cbranch_execz .LBB3_6
; %bb.10:                               ;   in Loop: Header=BB3_7 Depth=2
	s_sub_i32 s2, s21, s22
	s_min_u32 s2, s2, s16
	v_cmp_gt_u32_e64 s[2:3], s2, v9
	s_mov_b64 s[12:13], 0
	s_and_saveexec_b64 s[4:5], s[2:3]
	s_cbranch_execz .LBB3_12
; %bb.11:                               ;   in Loop: Header=BB3_7 Depth=2
	s_sub_i32 s2, s22, s20
	v_lshl_add_u32 v6, s2, 2, v12
	ds_read_b32 v6, v6
	s_waitcnt lgkmcnt(0)
	v_cmp_eq_u32_e64 s[2:3], v15, v6
	s_and_b64 s[12:13], s[2:3], exec
.LBB3_12:                               ;   in Loop: Header=BB3_7 Depth=2
	s_or_b64 exec, exec, s[4:5]
	v_cndmask_b32_e64 v6, 0, 1, s[12:13]
	v_cmp_ne_u32_e64 s[2:3], 0, v6
	s_cmp_lg_u64 s[2:3], 0
	s_ff1_i32_b64 s4, s[2:3]
	s_cselect_b64 s[12:13], -1, 0
	v_cmp_eq_u32_e64 s[4:5], s4, v8
	s_and_b64 s[4:5], s[12:13], s[4:5]
	s_and_b64 exec, exec, s[4:5]
	s_cbranch_execz .LBB3_6
; %bb.13:                               ;   in Loop: Header=BB3_7 Depth=2
	v_cmp_ne_u64_e64 s[4:5], s[2:3], v[4:5]
	s_and_saveexec_b64 s[12:13], s[4:5]
	s_cbranch_execz .LBB3_16
; %bb.14:                               ;   in Loop: Header=BB3_7 Depth=2
	ds_read_b32 v16, v14
	v_xor_b32_e32 v7, s3, v5
	v_xor_b32_e32 v6, s2, v4
	s_mov_b64 s[4:5], 0
.LBB3_15:                               ;   Parent Loop BB3_3 Depth=1
                                        ;     Parent Loop BB3_7 Depth=2
                                        ; =>    This Inner Loop Header: Depth=3
	v_ffbl_b32_e32 v17, v7
	v_ffbl_b32_e32 v18, v6
	v_add_u32_e32 v17, 32, v17
	v_min_u32_e32 v17, v18, v17
	v_lshl_add_u32 v19, v17, 8, v13
	v_lshlrev_b32_e64 v18, v17, 1
	ds_read_b32 v17, v19
	v_ashrrev_i32_e32 v19, 31, v18
	v_xor_b32_e32 v20, v6, v18
	v_xor_b32_e32 v21, v7, v19
	v_cmp_eq_u64_e64 s[2:3], v[6:7], v[18:19]
	s_or_b64 s[4:5], s[2:3], s[4:5]
	v_mov_b64_e32 v[6:7], v[20:21]
	s_waitcnt lgkmcnt(0)
	v_add_f32_e32 v16, v17, v16
	ds_write_b32 v14, v16
	s_andn2_b64 exec, exec, s[4:5]
	s_cbranch_execnz .LBB3_15
.LBB3_16:                               ;   in Loop: Header=BB3_7 Depth=2
	s_or_b64 exec, exec, s[12:13]
	s_and_b64 exec, exec, s[0:1]
	s_cbranch_execz .LBB3_6
; %bb.17:                               ;   in Loop: Header=BB3_7 Depth=2
	v_ashrrev_i32_e32 v6, 31, v15
	v_mul_lo_u32 v16, v15, s7
	v_mul_lo_u32 v17, v6, s6
	v_mad_u64_u32 v[6:7], s[2:3], v15, s6, 0
	v_add3_u32 v7, v7, v16, v17
	v_lshl_add_u64 v[6:7], v[6:7], 2, v[2:3]
	global_load_dword v15, v[6:7], off
	ds_read_b32 v16, v14
	s_waitcnt vmcnt(0) lgkmcnt(0)
	v_add_f32_e32 v15, v16, v15
	global_store_dword v[6:7], v15, off
	s_branch .LBB3_6
.LBB3_18:
	s_endpgm
	.section	.rodata,"a",@progbits
	.p2align	6, 0x0
	.amdhsa_kernel _ZN2at6native12_GLOBAL__N_133embedding_backward_feature_kernelIfflEEvPKT1_PKT_PS6_ili
		.amdhsa_group_segment_fixed_size 0
		.amdhsa_private_segment_fixed_size 0
		.amdhsa_kernarg_size 304
		.amdhsa_user_sgpr_count 2
		.amdhsa_user_sgpr_dispatch_ptr 0
		.amdhsa_user_sgpr_queue_ptr 0
		.amdhsa_user_sgpr_kernarg_segment_ptr 1
		.amdhsa_user_sgpr_dispatch_id 0
		.amdhsa_user_sgpr_kernarg_preload_length 0
		.amdhsa_user_sgpr_kernarg_preload_offset 0
		.amdhsa_user_sgpr_private_segment_size 0
		.amdhsa_uses_dynamic_stack 0
		.amdhsa_enable_private_segment 0
		.amdhsa_system_sgpr_workgroup_id_x 1
		.amdhsa_system_sgpr_workgroup_id_y 0
		.amdhsa_system_sgpr_workgroup_id_z 0
		.amdhsa_system_sgpr_workgroup_info 0
		.amdhsa_system_vgpr_workitem_id 1
		.amdhsa_next_free_vgpr 22
		.amdhsa_next_free_sgpr 23
		.amdhsa_accum_offset 24
		.amdhsa_reserve_vcc 1
		.amdhsa_float_round_mode_32 0
		.amdhsa_float_round_mode_16_64 0
		.amdhsa_float_denorm_mode_32 3
		.amdhsa_float_denorm_mode_16_64 3
		.amdhsa_dx10_clamp 1
		.amdhsa_ieee_mode 1
		.amdhsa_fp16_overflow 0
		.amdhsa_tg_split 0
		.amdhsa_exception_fp_ieee_invalid_op 0
		.amdhsa_exception_fp_denorm_src 0
		.amdhsa_exception_fp_ieee_div_zero 0
		.amdhsa_exception_fp_ieee_overflow 0
		.amdhsa_exception_fp_ieee_underflow 0
		.amdhsa_exception_fp_ieee_inexact 0
		.amdhsa_exception_int_div_zero 0
	.end_amdhsa_kernel
	.section	.text._ZN2at6native12_GLOBAL__N_133embedding_backward_feature_kernelIfflEEvPKT1_PKT_PS6_ili,"axG",@progbits,_ZN2at6native12_GLOBAL__N_133embedding_backward_feature_kernelIfflEEvPKT1_PKT_PS6_ili,comdat
.Lfunc_end3:
	.size	_ZN2at6native12_GLOBAL__N_133embedding_backward_feature_kernelIfflEEvPKT1_PKT_PS6_ili, .Lfunc_end3-_ZN2at6native12_GLOBAL__N_133embedding_backward_feature_kernelIfflEEvPKT1_PKT_PS6_ili
                                        ; -- End function
	.section	.AMDGPU.csdata,"",@progbits
; Kernel info:
; codeLenInByte = 820
; NumSgprs: 29
; NumVgprs: 22
; NumAgprs: 0
; TotalNumVgprs: 22
; ScratchSize: 0
; MemoryBound: 0
; FloatMode: 240
; IeeeMode: 1
; LDSByteSize: 0 bytes/workgroup (compile time only)
; SGPRBlocks: 3
; VGPRBlocks: 2
; NumSGPRsForWavesPerEU: 29
; NumVGPRsForWavesPerEU: 22
; AccumOffset: 24
; Occupancy: 8
; WaveLimiterHint : 0
; COMPUTE_PGM_RSRC2:SCRATCH_EN: 0
; COMPUTE_PGM_RSRC2:USER_SGPR: 2
; COMPUTE_PGM_RSRC2:TRAP_HANDLER: 0
; COMPUTE_PGM_RSRC2:TGID_X_EN: 1
; COMPUTE_PGM_RSRC2:TGID_Y_EN: 0
; COMPUTE_PGM_RSRC2:TGID_Z_EN: 0
; COMPUTE_PGM_RSRC2:TIDIG_COMP_CNT: 1
; COMPUTE_PGM_RSRC3_GFX90A:ACCUM_OFFSET: 5
; COMPUTE_PGM_RSRC3_GFX90A:TG_SPLIT: 0
	.section	.text._ZN2at6native12_GLOBAL__N_133embedding_backward_feature_kernelIN3c104HalfEfiEEvPKT1_PKT_PS8_ili,"axG",@progbits,_ZN2at6native12_GLOBAL__N_133embedding_backward_feature_kernelIN3c104HalfEfiEEvPKT1_PKT_PS8_ili,comdat
	.globl	_ZN2at6native12_GLOBAL__N_133embedding_backward_feature_kernelIN3c104HalfEfiEEvPKT1_PKT_PS8_ili ; -- Begin function _ZN2at6native12_GLOBAL__N_133embedding_backward_feature_kernelIN3c104HalfEfiEEvPKT1_PKT_PS8_ili
	.p2align	8
	.type	_ZN2at6native12_GLOBAL__N_133embedding_backward_feature_kernelIN3c104HalfEfiEEvPKT1_PKT_PS8_ili,@function
_ZN2at6native12_GLOBAL__N_133embedding_backward_feature_kernelIN3c104HalfEfiEEvPKT1_PKT_PS8_ili: ; @_ZN2at6native12_GLOBAL__N_133embedding_backward_feature_kernelIN3c104HalfEfiEEvPKT1_PKT_PS8_ili
; %bb.0:
	s_load_dword s14, s[0:1], 0x18
	s_waitcnt lgkmcnt(0)
	s_cmp_lt_i32 s14, 1
	s_cbranch_scc1 .LBB4_18
; %bb.1:
	s_load_dword s3, s[0:1], 0x3c
	s_load_dwordx2 s[6:7], s[0:1], 0x20
	s_load_dword s15, s[0:1], 0x28
	s_load_dwordx4 s[8:11], s[0:1], 0x0
	s_load_dwordx2 s[4:5], s[0:1], 0x10
	s_waitcnt lgkmcnt(0)
	s_and_b32 s18, s3, 0xffff
	s_lshr_b32 s16, s3, 16
	v_and_b32_e32 v9, 0x3ff, v0
	s_mul_i32 s2, s2, s18
	v_bfe_u32 v8, v0, 10, 10
	s_lshl_b32 s0, s16, 8
	v_add_u32_e32 v0, s2, v9
	s_add_i32 s17, s0, 0
	v_lshlrev_b32_e32 v4, 2, v9
	v_ashrrev_i32_e32 v1, 31, v0
	v_mad_u32_u24 v10, v8, s18, v9
	v_add_u32_e32 v12, s17, v4
	v_lshlrev_b64 v[2:3], 1, v[0:1]
	v_add_u32_e32 v13, 0, v4
	v_lshlrev_b32_e64 v4, v8, 1
	s_mov_b32 s19, 0
	v_lshl_add_u32 v11, v10, 2, s17
	s_mul_i32 s18, s18, s16
	v_cmp_le_i32_e32 vcc, s6, v0
	v_cmp_gt_i32_e64 s[0:1], s6, v0
	v_lshl_add_u64 v[0:1], s[10:11], 0, v[2:3]
	v_lshl_add_u32 v14, v8, 8, v13
	v_lshl_add_u64 v[2:3], s[4:5], 0, v[2:3]
	v_ashrrev_i32_e32 v5, 31, v4
	s_branch .LBB4_3
.LBB4_2:                                ;   in Loop: Header=BB4_3 Depth=1
	s_cmp_lt_i32 s19, s14
	s_cbranch_scc0 .LBB4_18
.LBB4_3:                                ; =>This Loop Header: Depth=1
                                        ;     Child Loop BB4_7 Depth 2
                                        ;       Child Loop BB4_15 Depth 3
	s_mov_b32 s20, s19
	v_add_u32_e32 v6, s20, v10
	v_cmp_gt_i32_e64 s[2:3], s14, v6
	s_and_saveexec_b64 s[4:5], s[2:3]
	s_cbranch_execz .LBB4_5
; %bb.4:                                ;   in Loop: Header=BB4_3 Depth=1
	v_ashrrev_i32_e32 v7, 31, v6
	v_lshl_add_u64 v[6:7], v[6:7], 2, s[8:9]
	global_load_dword v6, v[6:7], off
	s_waitcnt vmcnt(0)
	ds_write_b32 v11, v6
.LBB4_5:                                ;   in Loop: Header=BB4_3 Depth=1
	s_or_b64 exec, exec, s[4:5]
	s_add_i32 s19, s20, s18
	s_min_u32 s21, s19, s14
	s_cmp_ge_i32 s20, s21
	s_mov_b32 s22, s20
	s_cbranch_scc0 .LBB4_7
	s_branch .LBB4_2
.LBB4_6:                                ;   in Loop: Header=BB4_7 Depth=2
	s_or_b64 exec, exec, s[10:11]
	s_add_i32 s22, s22, s16
	s_cmp_ge_i32 s22, s21
	s_cbranch_scc1 .LBB4_2
.LBB4_7:                                ;   Parent Loop BB4_3 Depth=1
                                        ; =>  This Loop Header: Depth=2
                                        ;       Child Loop BB4_15 Depth 3
	v_add_u32_e32 v6, s22, v8
	v_subrev_u32_e32 v7, s20, v6
	v_lshl_add_u32 v7, v7, 2, s17
	s_waitcnt lgkmcnt(0)
	s_barrier
	ds_read_b32 v15, v7
	v_cmp_le_i32_e64 s[2:3], s14, v6
	s_or_b64 s[10:11], vcc, s[2:3]
	s_waitcnt lgkmcnt(0)
	v_cmp_eq_u32_e64 s[4:5], s15, v15
	s_or_b64 s[10:11], s[10:11], s[4:5]
	s_xor_b64 s[12:13], s[10:11], -1
	s_and_saveexec_b64 s[10:11], s[12:13]
	s_cbranch_execz .LBB4_9
; %bb.8:                                ;   in Loop: Header=BB4_7 Depth=2
	v_ashrrev_i32_e32 v7, 31, v6
	v_mul_lo_u32 v16, v6, s7
	v_mul_lo_u32 v17, v7, s6
	v_mad_u64_u32 v[6:7], s[12:13], v6, s6, 0
	v_add3_u32 v7, v7, v16, v17
	v_lshl_add_u64 v[6:7], v[6:7], 1, v[0:1]
	global_load_ushort v6, v[6:7], off
	s_waitcnt vmcnt(0)
	v_cvt_f32_f16_e32 v6, v6
	ds_write_b32 v14, v6
.LBB4_9:                                ;   in Loop: Header=BB4_7 Depth=2
	s_or_b64 exec, exec, s[10:11]
	s_or_b64 s[2:3], s[2:3], s[4:5]
	s_xor_b64 s[2:3], s[2:3], -1
	s_waitcnt lgkmcnt(0)
	s_barrier
	s_and_saveexec_b64 s[10:11], s[2:3]
	s_cbranch_execz .LBB4_6
; %bb.10:                               ;   in Loop: Header=BB4_7 Depth=2
	s_sub_i32 s2, s21, s22
	s_min_u32 s2, s2, s16
	v_cmp_gt_u32_e64 s[2:3], s2, v9
	s_mov_b64 s[12:13], 0
	s_and_saveexec_b64 s[4:5], s[2:3]
	s_cbranch_execz .LBB4_12
; %bb.11:                               ;   in Loop: Header=BB4_7 Depth=2
	s_sub_i32 s2, s22, s20
	v_lshl_add_u32 v6, s2, 2, v12
	ds_read_b32 v6, v6
	s_waitcnt lgkmcnt(0)
	v_cmp_eq_u32_e64 s[2:3], v15, v6
	s_and_b64 s[12:13], s[2:3], exec
.LBB4_12:                               ;   in Loop: Header=BB4_7 Depth=2
	s_or_b64 exec, exec, s[4:5]
	v_cndmask_b32_e64 v6, 0, 1, s[12:13]
	v_cmp_ne_u32_e64 s[2:3], 0, v6
	s_cmp_lg_u64 s[2:3], 0
	s_ff1_i32_b64 s4, s[2:3]
	s_cselect_b64 s[12:13], -1, 0
	v_cmp_eq_u32_e64 s[4:5], s4, v8
	s_and_b64 s[4:5], s[12:13], s[4:5]
	s_and_b64 exec, exec, s[4:5]
	s_cbranch_execz .LBB4_6
; %bb.13:                               ;   in Loop: Header=BB4_7 Depth=2
	v_cmp_ne_u64_e64 s[4:5], s[2:3], v[4:5]
	s_and_saveexec_b64 s[12:13], s[4:5]
	s_cbranch_execz .LBB4_16
; %bb.14:                               ;   in Loop: Header=BB4_7 Depth=2
	ds_read_b32 v16, v14
	v_xor_b32_e32 v7, s3, v5
	v_xor_b32_e32 v6, s2, v4
	s_mov_b64 s[4:5], 0
.LBB4_15:                               ;   Parent Loop BB4_3 Depth=1
                                        ;     Parent Loop BB4_7 Depth=2
                                        ; =>    This Inner Loop Header: Depth=3
	v_ffbl_b32_e32 v17, v7
	v_ffbl_b32_e32 v18, v6
	v_add_u32_e32 v17, 32, v17
	v_min_u32_e32 v17, v18, v17
	v_lshl_add_u32 v19, v17, 8, v13
	v_lshlrev_b32_e64 v18, v17, 1
	ds_read_b32 v17, v19
	v_ashrrev_i32_e32 v19, 31, v18
	v_xor_b32_e32 v20, v6, v18
	v_xor_b32_e32 v21, v7, v19
	v_cmp_eq_u64_e64 s[2:3], v[6:7], v[18:19]
	s_or_b64 s[4:5], s[2:3], s[4:5]
	v_mov_b64_e32 v[6:7], v[20:21]
	s_waitcnt lgkmcnt(0)
	v_add_f32_e32 v16, v17, v16
	ds_write_b32 v14, v16
	s_andn2_b64 exec, exec, s[4:5]
	s_cbranch_execnz .LBB4_15
.LBB4_16:                               ;   in Loop: Header=BB4_7 Depth=2
	s_or_b64 exec, exec, s[12:13]
	s_and_b64 exec, exec, s[0:1]
	s_cbranch_execz .LBB4_6
; %bb.17:                               ;   in Loop: Header=BB4_7 Depth=2
	v_ashrrev_i32_e32 v6, 31, v15
	v_mul_lo_u32 v16, v15, s7
	v_mul_lo_u32 v17, v6, s6
	v_mad_u64_u32 v[6:7], s[2:3], v15, s6, 0
	v_add3_u32 v7, v7, v16, v17
	v_lshl_add_u64 v[6:7], v[6:7], 1, v[2:3]
	global_load_ushort v15, v[6:7], off
	ds_read_b32 v16, v14
	s_waitcnt lgkmcnt(0)
	v_cvt_f16_f32_e32 v16, v16
	s_waitcnt vmcnt(0)
	v_add_f16_e32 v15, v15, v16
	global_store_short v[6:7], v15, off
	s_branch .LBB4_6
.LBB4_18:
	s_endpgm
	.section	.rodata,"a",@progbits
	.p2align	6, 0x0
	.amdhsa_kernel _ZN2at6native12_GLOBAL__N_133embedding_backward_feature_kernelIN3c104HalfEfiEEvPKT1_PKT_PS8_ili
		.amdhsa_group_segment_fixed_size 0
		.amdhsa_private_segment_fixed_size 0
		.amdhsa_kernarg_size 304
		.amdhsa_user_sgpr_count 2
		.amdhsa_user_sgpr_dispatch_ptr 0
		.amdhsa_user_sgpr_queue_ptr 0
		.amdhsa_user_sgpr_kernarg_segment_ptr 1
		.amdhsa_user_sgpr_dispatch_id 0
		.amdhsa_user_sgpr_kernarg_preload_length 0
		.amdhsa_user_sgpr_kernarg_preload_offset 0
		.amdhsa_user_sgpr_private_segment_size 0
		.amdhsa_uses_dynamic_stack 0
		.amdhsa_enable_private_segment 0
		.amdhsa_system_sgpr_workgroup_id_x 1
		.amdhsa_system_sgpr_workgroup_id_y 0
		.amdhsa_system_sgpr_workgroup_id_z 0
		.amdhsa_system_sgpr_workgroup_info 0
		.amdhsa_system_vgpr_workitem_id 1
		.amdhsa_next_free_vgpr 22
		.amdhsa_next_free_sgpr 23
		.amdhsa_accum_offset 24
		.amdhsa_reserve_vcc 1
		.amdhsa_float_round_mode_32 0
		.amdhsa_float_round_mode_16_64 0
		.amdhsa_float_denorm_mode_32 3
		.amdhsa_float_denorm_mode_16_64 3
		.amdhsa_dx10_clamp 1
		.amdhsa_ieee_mode 1
		.amdhsa_fp16_overflow 0
		.amdhsa_tg_split 0
		.amdhsa_exception_fp_ieee_invalid_op 0
		.amdhsa_exception_fp_denorm_src 0
		.amdhsa_exception_fp_ieee_div_zero 0
		.amdhsa_exception_fp_ieee_overflow 0
		.amdhsa_exception_fp_ieee_underflow 0
		.amdhsa_exception_fp_ieee_inexact 0
		.amdhsa_exception_int_div_zero 0
	.end_amdhsa_kernel
	.section	.text._ZN2at6native12_GLOBAL__N_133embedding_backward_feature_kernelIN3c104HalfEfiEEvPKT1_PKT_PS8_ili,"axG",@progbits,_ZN2at6native12_GLOBAL__N_133embedding_backward_feature_kernelIN3c104HalfEfiEEvPKT1_PKT_PS8_ili,comdat
.Lfunc_end4:
	.size	_ZN2at6native12_GLOBAL__N_133embedding_backward_feature_kernelIN3c104HalfEfiEEvPKT1_PKT_PS8_ili, .Lfunc_end4-_ZN2at6native12_GLOBAL__N_133embedding_backward_feature_kernelIN3c104HalfEfiEEvPKT1_PKT_PS8_ili
                                        ; -- End function
	.section	.AMDGPU.csdata,"",@progbits
; Kernel info:
; codeLenInByte = 832
; NumSgprs: 29
; NumVgprs: 22
; NumAgprs: 0
; TotalNumVgprs: 22
; ScratchSize: 0
; MemoryBound: 0
; FloatMode: 240
; IeeeMode: 1
; LDSByteSize: 0 bytes/workgroup (compile time only)
; SGPRBlocks: 3
; VGPRBlocks: 2
; NumSGPRsForWavesPerEU: 29
; NumVGPRsForWavesPerEU: 22
; AccumOffset: 24
; Occupancy: 8
; WaveLimiterHint : 0
; COMPUTE_PGM_RSRC2:SCRATCH_EN: 0
; COMPUTE_PGM_RSRC2:USER_SGPR: 2
; COMPUTE_PGM_RSRC2:TRAP_HANDLER: 0
; COMPUTE_PGM_RSRC2:TGID_X_EN: 1
; COMPUTE_PGM_RSRC2:TGID_Y_EN: 0
; COMPUTE_PGM_RSRC2:TGID_Z_EN: 0
; COMPUTE_PGM_RSRC2:TIDIG_COMP_CNT: 1
; COMPUTE_PGM_RSRC3_GFX90A:ACCUM_OFFSET: 5
; COMPUTE_PGM_RSRC3_GFX90A:TG_SPLIT: 0
	.section	.text._ZN2at6native12_GLOBAL__N_133embedding_backward_feature_kernelIN3c104HalfEflEEvPKT1_PKT_PS8_ili,"axG",@progbits,_ZN2at6native12_GLOBAL__N_133embedding_backward_feature_kernelIN3c104HalfEflEEvPKT1_PKT_PS8_ili,comdat
	.globl	_ZN2at6native12_GLOBAL__N_133embedding_backward_feature_kernelIN3c104HalfEflEEvPKT1_PKT_PS8_ili ; -- Begin function _ZN2at6native12_GLOBAL__N_133embedding_backward_feature_kernelIN3c104HalfEflEEvPKT1_PKT_PS8_ili
	.p2align	8
	.type	_ZN2at6native12_GLOBAL__N_133embedding_backward_feature_kernelIN3c104HalfEflEEvPKT1_PKT_PS8_ili,@function
_ZN2at6native12_GLOBAL__N_133embedding_backward_feature_kernelIN3c104HalfEflEEvPKT1_PKT_PS8_ili: ; @_ZN2at6native12_GLOBAL__N_133embedding_backward_feature_kernelIN3c104HalfEflEEvPKT1_PKT_PS8_ili
; %bb.0:
	s_load_dword s14, s[0:1], 0x18
	s_waitcnt lgkmcnt(0)
	s_cmp_lt_i32 s14, 1
	s_cbranch_scc1 .LBB5_18
; %bb.1:
	s_load_dword s3, s[0:1], 0x3c
	s_load_dwordx2 s[6:7], s[0:1], 0x20
	s_load_dword s15, s[0:1], 0x28
	s_load_dwordx4 s[8:11], s[0:1], 0x0
	s_load_dwordx2 s[4:5], s[0:1], 0x10
	s_waitcnt lgkmcnt(0)
	s_and_b32 s18, s3, 0xffff
	s_lshr_b32 s16, s3, 16
	v_and_b32_e32 v9, 0x3ff, v0
	s_mul_i32 s2, s2, s18
	v_bfe_u32 v8, v0, 10, 10
	s_lshl_b32 s0, s16, 8
	v_add_u32_e32 v0, s2, v9
	s_add_i32 s17, s0, 0
	v_lshlrev_b32_e32 v4, 2, v9
	v_ashrrev_i32_e32 v1, 31, v0
	v_mad_u32_u24 v10, v8, s18, v9
	v_add_u32_e32 v12, s17, v4
	v_lshlrev_b64 v[2:3], 1, v[0:1]
	v_add_u32_e32 v13, 0, v4
	v_lshlrev_b32_e64 v4, v8, 1
	s_mov_b32 s19, 0
	v_lshl_add_u32 v11, v10, 2, s17
	s_mul_i32 s18, s18, s16
	v_cmp_le_i32_e32 vcc, s6, v0
	v_cmp_gt_i32_e64 s[0:1], s6, v0
	v_lshl_add_u64 v[0:1], s[10:11], 0, v[2:3]
	v_lshl_add_u32 v14, v8, 8, v13
	v_lshl_add_u64 v[2:3], s[4:5], 0, v[2:3]
	v_ashrrev_i32_e32 v5, 31, v4
	s_branch .LBB5_3
.LBB5_2:                                ;   in Loop: Header=BB5_3 Depth=1
	s_cmp_lt_i32 s19, s14
	s_cbranch_scc0 .LBB5_18
.LBB5_3:                                ; =>This Loop Header: Depth=1
                                        ;     Child Loop BB5_7 Depth 2
                                        ;       Child Loop BB5_15 Depth 3
	s_mov_b32 s20, s19
	v_add_u32_e32 v6, s20, v10
	v_cmp_gt_i32_e64 s[2:3], s14, v6
	s_and_saveexec_b64 s[4:5], s[2:3]
	s_cbranch_execz .LBB5_5
; %bb.4:                                ;   in Loop: Header=BB5_3 Depth=1
	v_ashrrev_i32_e32 v7, 31, v6
	v_lshl_add_u64 v[6:7], v[6:7], 3, s[8:9]
	global_load_dword v6, v[6:7], off
	s_waitcnt vmcnt(0)
	ds_write_b32 v11, v6
.LBB5_5:                                ;   in Loop: Header=BB5_3 Depth=1
	s_or_b64 exec, exec, s[4:5]
	s_add_i32 s19, s20, s18
	s_min_u32 s21, s19, s14
	s_cmp_ge_i32 s20, s21
	s_mov_b32 s22, s20
	s_cbranch_scc0 .LBB5_7
	s_branch .LBB5_2
.LBB5_6:                                ;   in Loop: Header=BB5_7 Depth=2
	s_or_b64 exec, exec, s[10:11]
	s_add_i32 s22, s22, s16
	s_cmp_ge_i32 s22, s21
	s_cbranch_scc1 .LBB5_2
.LBB5_7:                                ;   Parent Loop BB5_3 Depth=1
                                        ; =>  This Loop Header: Depth=2
                                        ;       Child Loop BB5_15 Depth 3
	v_add_u32_e32 v6, s22, v8
	v_subrev_u32_e32 v7, s20, v6
	v_lshl_add_u32 v7, v7, 2, s17
	s_waitcnt lgkmcnt(0)
	s_barrier
	ds_read_b32 v15, v7
	v_cmp_le_i32_e64 s[2:3], s14, v6
	s_or_b64 s[10:11], vcc, s[2:3]
	s_waitcnt lgkmcnt(0)
	v_cmp_eq_u32_e64 s[4:5], s15, v15
	s_or_b64 s[10:11], s[10:11], s[4:5]
	s_xor_b64 s[12:13], s[10:11], -1
	s_and_saveexec_b64 s[10:11], s[12:13]
	s_cbranch_execz .LBB5_9
; %bb.8:                                ;   in Loop: Header=BB5_7 Depth=2
	v_ashrrev_i32_e32 v7, 31, v6
	v_mul_lo_u32 v16, v6, s7
	v_mul_lo_u32 v17, v7, s6
	v_mad_u64_u32 v[6:7], s[12:13], v6, s6, 0
	v_add3_u32 v7, v7, v16, v17
	v_lshl_add_u64 v[6:7], v[6:7], 1, v[0:1]
	global_load_ushort v6, v[6:7], off
	s_waitcnt vmcnt(0)
	v_cvt_f32_f16_e32 v6, v6
	ds_write_b32 v14, v6
.LBB5_9:                                ;   in Loop: Header=BB5_7 Depth=2
	s_or_b64 exec, exec, s[10:11]
	s_or_b64 s[2:3], s[2:3], s[4:5]
	s_xor_b64 s[2:3], s[2:3], -1
	s_waitcnt lgkmcnt(0)
	s_barrier
	s_and_saveexec_b64 s[10:11], s[2:3]
	s_cbranch_execz .LBB5_6
; %bb.10:                               ;   in Loop: Header=BB5_7 Depth=2
	s_sub_i32 s2, s21, s22
	s_min_u32 s2, s2, s16
	v_cmp_gt_u32_e64 s[2:3], s2, v9
	s_mov_b64 s[12:13], 0
	s_and_saveexec_b64 s[4:5], s[2:3]
	s_cbranch_execz .LBB5_12
; %bb.11:                               ;   in Loop: Header=BB5_7 Depth=2
	s_sub_i32 s2, s22, s20
	v_lshl_add_u32 v6, s2, 2, v12
	ds_read_b32 v6, v6
	s_waitcnt lgkmcnt(0)
	v_cmp_eq_u32_e64 s[2:3], v15, v6
	s_and_b64 s[12:13], s[2:3], exec
.LBB5_12:                               ;   in Loop: Header=BB5_7 Depth=2
	s_or_b64 exec, exec, s[4:5]
	v_cndmask_b32_e64 v6, 0, 1, s[12:13]
	v_cmp_ne_u32_e64 s[2:3], 0, v6
	s_cmp_lg_u64 s[2:3], 0
	s_ff1_i32_b64 s4, s[2:3]
	s_cselect_b64 s[12:13], -1, 0
	v_cmp_eq_u32_e64 s[4:5], s4, v8
	s_and_b64 s[4:5], s[12:13], s[4:5]
	s_and_b64 exec, exec, s[4:5]
	s_cbranch_execz .LBB5_6
; %bb.13:                               ;   in Loop: Header=BB5_7 Depth=2
	v_cmp_ne_u64_e64 s[4:5], s[2:3], v[4:5]
	s_and_saveexec_b64 s[12:13], s[4:5]
	s_cbranch_execz .LBB5_16
; %bb.14:                               ;   in Loop: Header=BB5_7 Depth=2
	ds_read_b32 v16, v14
	v_xor_b32_e32 v7, s3, v5
	v_xor_b32_e32 v6, s2, v4
	s_mov_b64 s[4:5], 0
.LBB5_15:                               ;   Parent Loop BB5_3 Depth=1
                                        ;     Parent Loop BB5_7 Depth=2
                                        ; =>    This Inner Loop Header: Depth=3
	v_ffbl_b32_e32 v17, v7
	v_ffbl_b32_e32 v18, v6
	v_add_u32_e32 v17, 32, v17
	v_min_u32_e32 v17, v18, v17
	v_lshl_add_u32 v19, v17, 8, v13
	v_lshlrev_b32_e64 v18, v17, 1
	ds_read_b32 v17, v19
	v_ashrrev_i32_e32 v19, 31, v18
	v_xor_b32_e32 v20, v6, v18
	v_xor_b32_e32 v21, v7, v19
	v_cmp_eq_u64_e64 s[2:3], v[6:7], v[18:19]
	s_or_b64 s[4:5], s[2:3], s[4:5]
	v_mov_b64_e32 v[6:7], v[20:21]
	s_waitcnt lgkmcnt(0)
	v_add_f32_e32 v16, v17, v16
	ds_write_b32 v14, v16
	s_andn2_b64 exec, exec, s[4:5]
	s_cbranch_execnz .LBB5_15
.LBB5_16:                               ;   in Loop: Header=BB5_7 Depth=2
	s_or_b64 exec, exec, s[12:13]
	s_and_b64 exec, exec, s[0:1]
	s_cbranch_execz .LBB5_6
; %bb.17:                               ;   in Loop: Header=BB5_7 Depth=2
	v_ashrrev_i32_e32 v6, 31, v15
	v_mul_lo_u32 v16, v15, s7
	v_mul_lo_u32 v17, v6, s6
	v_mad_u64_u32 v[6:7], s[2:3], v15, s6, 0
	v_add3_u32 v7, v7, v16, v17
	v_lshl_add_u64 v[6:7], v[6:7], 1, v[2:3]
	global_load_ushort v15, v[6:7], off
	ds_read_b32 v16, v14
	s_waitcnt lgkmcnt(0)
	v_cvt_f16_f32_e32 v16, v16
	s_waitcnt vmcnt(0)
	v_add_f16_e32 v15, v15, v16
	global_store_short v[6:7], v15, off
	s_branch .LBB5_6
.LBB5_18:
	s_endpgm
	.section	.rodata,"a",@progbits
	.p2align	6, 0x0
	.amdhsa_kernel _ZN2at6native12_GLOBAL__N_133embedding_backward_feature_kernelIN3c104HalfEflEEvPKT1_PKT_PS8_ili
		.amdhsa_group_segment_fixed_size 0
		.amdhsa_private_segment_fixed_size 0
		.amdhsa_kernarg_size 304
		.amdhsa_user_sgpr_count 2
		.amdhsa_user_sgpr_dispatch_ptr 0
		.amdhsa_user_sgpr_queue_ptr 0
		.amdhsa_user_sgpr_kernarg_segment_ptr 1
		.amdhsa_user_sgpr_dispatch_id 0
		.amdhsa_user_sgpr_kernarg_preload_length 0
		.amdhsa_user_sgpr_kernarg_preload_offset 0
		.amdhsa_user_sgpr_private_segment_size 0
		.amdhsa_uses_dynamic_stack 0
		.amdhsa_enable_private_segment 0
		.amdhsa_system_sgpr_workgroup_id_x 1
		.amdhsa_system_sgpr_workgroup_id_y 0
		.amdhsa_system_sgpr_workgroup_id_z 0
		.amdhsa_system_sgpr_workgroup_info 0
		.amdhsa_system_vgpr_workitem_id 1
		.amdhsa_next_free_vgpr 22
		.amdhsa_next_free_sgpr 23
		.amdhsa_accum_offset 24
		.amdhsa_reserve_vcc 1
		.amdhsa_float_round_mode_32 0
		.amdhsa_float_round_mode_16_64 0
		.amdhsa_float_denorm_mode_32 3
		.amdhsa_float_denorm_mode_16_64 3
		.amdhsa_dx10_clamp 1
		.amdhsa_ieee_mode 1
		.amdhsa_fp16_overflow 0
		.amdhsa_tg_split 0
		.amdhsa_exception_fp_ieee_invalid_op 0
		.amdhsa_exception_fp_denorm_src 0
		.amdhsa_exception_fp_ieee_div_zero 0
		.amdhsa_exception_fp_ieee_overflow 0
		.amdhsa_exception_fp_ieee_underflow 0
		.amdhsa_exception_fp_ieee_inexact 0
		.amdhsa_exception_int_div_zero 0
	.end_amdhsa_kernel
	.section	.text._ZN2at6native12_GLOBAL__N_133embedding_backward_feature_kernelIN3c104HalfEflEEvPKT1_PKT_PS8_ili,"axG",@progbits,_ZN2at6native12_GLOBAL__N_133embedding_backward_feature_kernelIN3c104HalfEflEEvPKT1_PKT_PS8_ili,comdat
.Lfunc_end5:
	.size	_ZN2at6native12_GLOBAL__N_133embedding_backward_feature_kernelIN3c104HalfEflEEvPKT1_PKT_PS8_ili, .Lfunc_end5-_ZN2at6native12_GLOBAL__N_133embedding_backward_feature_kernelIN3c104HalfEflEEvPKT1_PKT_PS8_ili
                                        ; -- End function
	.section	.AMDGPU.csdata,"",@progbits
; Kernel info:
; codeLenInByte = 832
; NumSgprs: 29
; NumVgprs: 22
; NumAgprs: 0
; TotalNumVgprs: 22
; ScratchSize: 0
; MemoryBound: 0
; FloatMode: 240
; IeeeMode: 1
; LDSByteSize: 0 bytes/workgroup (compile time only)
; SGPRBlocks: 3
; VGPRBlocks: 2
; NumSGPRsForWavesPerEU: 29
; NumVGPRsForWavesPerEU: 22
; AccumOffset: 24
; Occupancy: 8
; WaveLimiterHint : 0
; COMPUTE_PGM_RSRC2:SCRATCH_EN: 0
; COMPUTE_PGM_RSRC2:USER_SGPR: 2
; COMPUTE_PGM_RSRC2:TRAP_HANDLER: 0
; COMPUTE_PGM_RSRC2:TGID_X_EN: 1
; COMPUTE_PGM_RSRC2:TGID_Y_EN: 0
; COMPUTE_PGM_RSRC2:TGID_Z_EN: 0
; COMPUTE_PGM_RSRC2:TIDIG_COMP_CNT: 1
; COMPUTE_PGM_RSRC3_GFX90A:ACCUM_OFFSET: 5
; COMPUTE_PGM_RSRC3_GFX90A:TG_SPLIT: 0
	.section	.text._ZN2at6native12_GLOBAL__N_133embedding_backward_feature_kernelIN3c108BFloat16EfiEEvPKT1_PKT_PS8_ili,"axG",@progbits,_ZN2at6native12_GLOBAL__N_133embedding_backward_feature_kernelIN3c108BFloat16EfiEEvPKT1_PKT_PS8_ili,comdat
	.globl	_ZN2at6native12_GLOBAL__N_133embedding_backward_feature_kernelIN3c108BFloat16EfiEEvPKT1_PKT_PS8_ili ; -- Begin function _ZN2at6native12_GLOBAL__N_133embedding_backward_feature_kernelIN3c108BFloat16EfiEEvPKT1_PKT_PS8_ili
	.p2align	8
	.type	_ZN2at6native12_GLOBAL__N_133embedding_backward_feature_kernelIN3c108BFloat16EfiEEvPKT1_PKT_PS8_ili,@function
_ZN2at6native12_GLOBAL__N_133embedding_backward_feature_kernelIN3c108BFloat16EfiEEvPKT1_PKT_PS8_ili: ; @_ZN2at6native12_GLOBAL__N_133embedding_backward_feature_kernelIN3c108BFloat16EfiEEvPKT1_PKT_PS8_ili
; %bb.0:
	s_load_dword s14, s[0:1], 0x18
	s_waitcnt lgkmcnt(0)
	s_cmp_lt_i32 s14, 1
	s_cbranch_scc1 .LBB6_18
; %bb.1:
	s_load_dword s3, s[0:1], 0x3c
	s_load_dwordx2 s[6:7], s[0:1], 0x20
	s_load_dword s15, s[0:1], 0x28
	s_load_dwordx4 s[8:11], s[0:1], 0x0
	s_load_dwordx2 s[4:5], s[0:1], 0x10
	s_waitcnt lgkmcnt(0)
	s_and_b32 s18, s3, 0xffff
	s_lshr_b32 s16, s3, 16
	v_and_b32_e32 v9, 0x3ff, v0
	s_mul_i32 s2, s2, s18
	v_bfe_u32 v8, v0, 10, 10
	s_lshl_b32 s0, s16, 8
	v_add_u32_e32 v0, s2, v9
	s_add_i32 s17, s0, 0
	v_lshlrev_b32_e32 v4, 2, v9
	v_ashrrev_i32_e32 v1, 31, v0
	v_mad_u32_u24 v10, v8, s18, v9
	v_add_u32_e32 v12, s17, v4
	v_lshlrev_b64 v[2:3], 1, v[0:1]
	v_add_u32_e32 v13, 0, v4
	v_lshlrev_b32_e64 v4, v8, 1
	s_mov_b32 s19, 0
	v_lshl_add_u32 v11, v10, 2, s17
	s_mul_i32 s18, s18, s16
	v_cmp_le_i32_e32 vcc, s6, v0
	v_cmp_gt_i32_e64 s[0:1], s6, v0
	v_lshl_add_u64 v[0:1], s[10:11], 0, v[2:3]
	v_lshl_add_u32 v14, v8, 8, v13
	v_lshl_add_u64 v[2:3], s[4:5], 0, v[2:3]
	v_ashrrev_i32_e32 v5, 31, v4
	s_movk_i32 s20, 0x7fff
	v_mov_b32_e32 v15, 0x7fc00000
	v_mov_b32_e32 v16, 0x7fc0
	s_branch .LBB6_3
.LBB6_2:                                ;   in Loop: Header=BB6_3 Depth=1
	s_cmp_lt_i32 s19, s14
	s_cbranch_scc0 .LBB6_18
.LBB6_3:                                ; =>This Loop Header: Depth=1
                                        ;     Child Loop BB6_7 Depth 2
                                        ;       Child Loop BB6_15 Depth 3
	s_mov_b32 s21, s19
	v_add_u32_e32 v6, s21, v10
	v_cmp_gt_i32_e64 s[2:3], s14, v6
	s_and_saveexec_b64 s[4:5], s[2:3]
	s_cbranch_execz .LBB6_5
; %bb.4:                                ;   in Loop: Header=BB6_3 Depth=1
	v_ashrrev_i32_e32 v7, 31, v6
	v_lshl_add_u64 v[6:7], v[6:7], 2, s[8:9]
	global_load_dword v6, v[6:7], off
	s_waitcnt vmcnt(0)
	ds_write_b32 v11, v6
.LBB6_5:                                ;   in Loop: Header=BB6_3 Depth=1
	s_or_b64 exec, exec, s[4:5]
	s_add_i32 s19, s21, s18
	s_min_u32 s22, s19, s14
	s_cmp_ge_i32 s21, s22
	s_mov_b32 s23, s21
	s_cbranch_scc0 .LBB6_7
	s_branch .LBB6_2
.LBB6_6:                                ;   in Loop: Header=BB6_7 Depth=2
	s_or_b64 exec, exec, s[10:11]
	s_add_i32 s23, s23, s16
	s_cmp_ge_i32 s23, s22
	s_cbranch_scc1 .LBB6_2
.LBB6_7:                                ;   Parent Loop BB6_3 Depth=1
                                        ; =>  This Loop Header: Depth=2
                                        ;       Child Loop BB6_15 Depth 3
	v_add_u32_e32 v6, s23, v8
	v_subrev_u32_e32 v7, s21, v6
	v_lshl_add_u32 v7, v7, 2, s17
	s_waitcnt lgkmcnt(0)
	s_barrier
	ds_read_b32 v17, v7
	v_cmp_le_i32_e64 s[2:3], s14, v6
	s_or_b64 s[10:11], vcc, s[2:3]
	s_waitcnt lgkmcnt(0)
	v_cmp_eq_u32_e64 s[4:5], s15, v17
	s_or_b64 s[10:11], s[10:11], s[4:5]
	s_xor_b64 s[12:13], s[10:11], -1
	s_and_saveexec_b64 s[10:11], s[12:13]
	s_cbranch_execz .LBB6_9
; %bb.8:                                ;   in Loop: Header=BB6_7 Depth=2
	v_ashrrev_i32_e32 v7, 31, v6
	v_mul_lo_u32 v18, v6, s7
	v_mul_lo_u32 v19, v7, s6
	v_mad_u64_u32 v[6:7], s[12:13], v6, s6, 0
	v_add3_u32 v7, v7, v18, v19
	v_lshl_add_u64 v[6:7], v[6:7], 1, v[0:1]
	global_load_ushort v6, v[6:7], off
	s_waitcnt vmcnt(0)
	v_lshlrev_b32_e32 v6, 16, v6
	ds_write_b32 v14, v6
.LBB6_9:                                ;   in Loop: Header=BB6_7 Depth=2
	s_or_b64 exec, exec, s[10:11]
	s_or_b64 s[2:3], s[2:3], s[4:5]
	s_xor_b64 s[2:3], s[2:3], -1
	s_waitcnt lgkmcnt(0)
	s_barrier
	s_and_saveexec_b64 s[10:11], s[2:3]
	s_cbranch_execz .LBB6_6
; %bb.10:                               ;   in Loop: Header=BB6_7 Depth=2
	s_sub_i32 s2, s22, s23
	s_min_u32 s2, s2, s16
	v_cmp_gt_u32_e64 s[2:3], s2, v9
	s_mov_b64 s[12:13], 0
	s_and_saveexec_b64 s[4:5], s[2:3]
	s_cbranch_execz .LBB6_12
; %bb.11:                               ;   in Loop: Header=BB6_7 Depth=2
	s_sub_i32 s2, s23, s21
	v_lshl_add_u32 v6, s2, 2, v12
	ds_read_b32 v6, v6
	s_waitcnt lgkmcnt(0)
	v_cmp_eq_u32_e64 s[2:3], v17, v6
	s_and_b64 s[12:13], s[2:3], exec
.LBB6_12:                               ;   in Loop: Header=BB6_7 Depth=2
	s_or_b64 exec, exec, s[4:5]
	v_cndmask_b32_e64 v6, 0, 1, s[12:13]
	v_cmp_ne_u32_e64 s[2:3], 0, v6
	s_cmp_lg_u64 s[2:3], 0
	s_ff1_i32_b64 s4, s[2:3]
	s_cselect_b64 s[12:13], -1, 0
	v_cmp_eq_u32_e64 s[4:5], s4, v8
	s_and_b64 s[4:5], s[12:13], s[4:5]
	s_and_b64 exec, exec, s[4:5]
	s_cbranch_execz .LBB6_6
; %bb.13:                               ;   in Loop: Header=BB6_7 Depth=2
	v_cmp_ne_u64_e64 s[4:5], s[2:3], v[4:5]
	s_and_saveexec_b64 s[12:13], s[4:5]
	s_cbranch_execz .LBB6_16
; %bb.14:                               ;   in Loop: Header=BB6_7 Depth=2
	ds_read_b32 v18, v14
	v_xor_b32_e32 v7, s3, v5
	v_xor_b32_e32 v6, s2, v4
	s_mov_b64 s[4:5], 0
.LBB6_15:                               ;   Parent Loop BB6_3 Depth=1
                                        ;     Parent Loop BB6_7 Depth=2
                                        ; =>    This Inner Loop Header: Depth=3
	v_ffbl_b32_e32 v19, v7
	v_ffbl_b32_e32 v20, v6
	v_add_u32_e32 v19, 32, v19
	v_min_u32_e32 v19, v20, v19
	v_lshl_add_u32 v21, v19, 8, v13
	v_lshlrev_b32_e64 v20, v19, 1
	ds_read_b32 v19, v21
	v_ashrrev_i32_e32 v21, 31, v20
	v_xor_b32_e32 v22, v6, v20
	v_xor_b32_e32 v23, v7, v21
	v_cmp_eq_u64_e64 s[2:3], v[6:7], v[20:21]
	s_or_b64 s[4:5], s[2:3], s[4:5]
	v_mov_b64_e32 v[6:7], v[22:23]
	s_waitcnt lgkmcnt(0)
	v_add_f32_e32 v18, v19, v18
	ds_write_b32 v14, v18
	s_andn2_b64 exec, exec, s[4:5]
	s_cbranch_execnz .LBB6_15
.LBB6_16:                               ;   in Loop: Header=BB6_7 Depth=2
	s_or_b64 exec, exec, s[12:13]
	s_and_b64 exec, exec, s[0:1]
	s_cbranch_execz .LBB6_6
; %bb.17:                               ;   in Loop: Header=BB6_7 Depth=2
	v_ashrrev_i32_e32 v6, 31, v17
	v_mul_lo_u32 v18, v17, s7
	v_mul_lo_u32 v19, v6, s6
	v_mad_u64_u32 v[6:7], s[2:3], v17, s6, 0
	v_add3_u32 v7, v7, v18, v19
	v_lshl_add_u64 v[6:7], v[6:7], 1, v[2:3]
	global_load_ushort v17, v[6:7], off
	ds_read_b32 v18, v14
	s_waitcnt lgkmcnt(0)
	v_bfe_u32 v19, v18, 16, 1
	v_add3_u32 v19, v18, v19, s20
	v_and_b32_e32 v19, 0xffff0000, v19
	v_cmp_o_f32_e64 s[2:3], v18, v18
	s_waitcnt vmcnt(0)
	v_lshlrev_b32_e32 v17, 16, v17
	v_cndmask_b32_e64 v18, v15, v19, s[2:3]
	v_add_f32_e32 v17, v18, v17
	v_bfe_u32 v18, v17, 16, 1
	v_add3_u32 v18, v17, v18, s20
	v_lshrrev_b32_e32 v18, 16, v18
	v_cmp_o_f32_e64 s[2:3], v17, v17
	s_nop 1
	v_cndmask_b32_e64 v17, v16, v18, s[2:3]
	global_store_short v[6:7], v17, off
	s_branch .LBB6_6
.LBB6_18:
	s_endpgm
	.section	.rodata,"a",@progbits
	.p2align	6, 0x0
	.amdhsa_kernel _ZN2at6native12_GLOBAL__N_133embedding_backward_feature_kernelIN3c108BFloat16EfiEEvPKT1_PKT_PS8_ili
		.amdhsa_group_segment_fixed_size 0
		.amdhsa_private_segment_fixed_size 0
		.amdhsa_kernarg_size 304
		.amdhsa_user_sgpr_count 2
		.amdhsa_user_sgpr_dispatch_ptr 0
		.amdhsa_user_sgpr_queue_ptr 0
		.amdhsa_user_sgpr_kernarg_segment_ptr 1
		.amdhsa_user_sgpr_dispatch_id 0
		.amdhsa_user_sgpr_kernarg_preload_length 0
		.amdhsa_user_sgpr_kernarg_preload_offset 0
		.amdhsa_user_sgpr_private_segment_size 0
		.amdhsa_uses_dynamic_stack 0
		.amdhsa_enable_private_segment 0
		.amdhsa_system_sgpr_workgroup_id_x 1
		.amdhsa_system_sgpr_workgroup_id_y 0
		.amdhsa_system_sgpr_workgroup_id_z 0
		.amdhsa_system_sgpr_workgroup_info 0
		.amdhsa_system_vgpr_workitem_id 1
		.amdhsa_next_free_vgpr 24
		.amdhsa_next_free_sgpr 24
		.amdhsa_accum_offset 24
		.amdhsa_reserve_vcc 1
		.amdhsa_float_round_mode_32 0
		.amdhsa_float_round_mode_16_64 0
		.amdhsa_float_denorm_mode_32 3
		.amdhsa_float_denorm_mode_16_64 3
		.amdhsa_dx10_clamp 1
		.amdhsa_ieee_mode 1
		.amdhsa_fp16_overflow 0
		.amdhsa_tg_split 0
		.amdhsa_exception_fp_ieee_invalid_op 0
		.amdhsa_exception_fp_denorm_src 0
		.amdhsa_exception_fp_ieee_div_zero 0
		.amdhsa_exception_fp_ieee_overflow 0
		.amdhsa_exception_fp_ieee_underflow 0
		.amdhsa_exception_fp_ieee_inexact 0
		.amdhsa_exception_int_div_zero 0
	.end_amdhsa_kernel
	.section	.text._ZN2at6native12_GLOBAL__N_133embedding_backward_feature_kernelIN3c108BFloat16EfiEEvPKT1_PKT_PS8_ili,"axG",@progbits,_ZN2at6native12_GLOBAL__N_133embedding_backward_feature_kernelIN3c108BFloat16EfiEEvPKT1_PKT_PS8_ili,comdat
.Lfunc_end6:
	.size	_ZN2at6native12_GLOBAL__N_133embedding_backward_feature_kernelIN3c108BFloat16EfiEEvPKT1_PKT_PS8_ili, .Lfunc_end6-_ZN2at6native12_GLOBAL__N_133embedding_backward_feature_kernelIN3c108BFloat16EfiEEvPKT1_PKT_PS8_ili
                                        ; -- End function
	.section	.AMDGPU.csdata,"",@progbits
; Kernel info:
; codeLenInByte = 932
; NumSgprs: 30
; NumVgprs: 24
; NumAgprs: 0
; TotalNumVgprs: 24
; ScratchSize: 0
; MemoryBound: 0
; FloatMode: 240
; IeeeMode: 1
; LDSByteSize: 0 bytes/workgroup (compile time only)
; SGPRBlocks: 3
; VGPRBlocks: 2
; NumSGPRsForWavesPerEU: 30
; NumVGPRsForWavesPerEU: 24
; AccumOffset: 24
; Occupancy: 8
; WaveLimiterHint : 0
; COMPUTE_PGM_RSRC2:SCRATCH_EN: 0
; COMPUTE_PGM_RSRC2:USER_SGPR: 2
; COMPUTE_PGM_RSRC2:TRAP_HANDLER: 0
; COMPUTE_PGM_RSRC2:TGID_X_EN: 1
; COMPUTE_PGM_RSRC2:TGID_Y_EN: 0
; COMPUTE_PGM_RSRC2:TGID_Z_EN: 0
; COMPUTE_PGM_RSRC2:TIDIG_COMP_CNT: 1
; COMPUTE_PGM_RSRC3_GFX90A:ACCUM_OFFSET: 5
; COMPUTE_PGM_RSRC3_GFX90A:TG_SPLIT: 0
	.section	.text._ZN2at6native12_GLOBAL__N_133embedding_backward_feature_kernelIN3c108BFloat16EflEEvPKT1_PKT_PS8_ili,"axG",@progbits,_ZN2at6native12_GLOBAL__N_133embedding_backward_feature_kernelIN3c108BFloat16EflEEvPKT1_PKT_PS8_ili,comdat
	.globl	_ZN2at6native12_GLOBAL__N_133embedding_backward_feature_kernelIN3c108BFloat16EflEEvPKT1_PKT_PS8_ili ; -- Begin function _ZN2at6native12_GLOBAL__N_133embedding_backward_feature_kernelIN3c108BFloat16EflEEvPKT1_PKT_PS8_ili
	.p2align	8
	.type	_ZN2at6native12_GLOBAL__N_133embedding_backward_feature_kernelIN3c108BFloat16EflEEvPKT1_PKT_PS8_ili,@function
_ZN2at6native12_GLOBAL__N_133embedding_backward_feature_kernelIN3c108BFloat16EflEEvPKT1_PKT_PS8_ili: ; @_ZN2at6native12_GLOBAL__N_133embedding_backward_feature_kernelIN3c108BFloat16EflEEvPKT1_PKT_PS8_ili
; %bb.0:
	s_load_dword s14, s[0:1], 0x18
	s_waitcnt lgkmcnt(0)
	s_cmp_lt_i32 s14, 1
	s_cbranch_scc1 .LBB7_18
; %bb.1:
	s_load_dword s3, s[0:1], 0x3c
	s_load_dwordx2 s[6:7], s[0:1], 0x20
	s_load_dword s15, s[0:1], 0x28
	s_load_dwordx4 s[8:11], s[0:1], 0x0
	s_load_dwordx2 s[4:5], s[0:1], 0x10
	s_waitcnt lgkmcnt(0)
	s_and_b32 s18, s3, 0xffff
	s_lshr_b32 s16, s3, 16
	v_and_b32_e32 v9, 0x3ff, v0
	s_mul_i32 s2, s2, s18
	v_bfe_u32 v8, v0, 10, 10
	s_lshl_b32 s0, s16, 8
	v_add_u32_e32 v0, s2, v9
	s_add_i32 s17, s0, 0
	v_lshlrev_b32_e32 v4, 2, v9
	v_ashrrev_i32_e32 v1, 31, v0
	v_mad_u32_u24 v10, v8, s18, v9
	v_add_u32_e32 v12, s17, v4
	v_lshlrev_b64 v[2:3], 1, v[0:1]
	v_add_u32_e32 v13, 0, v4
	v_lshlrev_b32_e64 v4, v8, 1
	s_mov_b32 s19, 0
	v_lshl_add_u32 v11, v10, 2, s17
	s_mul_i32 s18, s18, s16
	v_cmp_le_i32_e32 vcc, s6, v0
	v_cmp_gt_i32_e64 s[0:1], s6, v0
	v_lshl_add_u64 v[0:1], s[10:11], 0, v[2:3]
	v_lshl_add_u32 v14, v8, 8, v13
	v_lshl_add_u64 v[2:3], s[4:5], 0, v[2:3]
	v_ashrrev_i32_e32 v5, 31, v4
	s_movk_i32 s20, 0x7fff
	v_mov_b32_e32 v15, 0x7fc00000
	v_mov_b32_e32 v16, 0x7fc0
	s_branch .LBB7_3
.LBB7_2:                                ;   in Loop: Header=BB7_3 Depth=1
	s_cmp_lt_i32 s19, s14
	s_cbranch_scc0 .LBB7_18
.LBB7_3:                                ; =>This Loop Header: Depth=1
                                        ;     Child Loop BB7_7 Depth 2
                                        ;       Child Loop BB7_15 Depth 3
	s_mov_b32 s21, s19
	v_add_u32_e32 v6, s21, v10
	v_cmp_gt_i32_e64 s[2:3], s14, v6
	s_and_saveexec_b64 s[4:5], s[2:3]
	s_cbranch_execz .LBB7_5
; %bb.4:                                ;   in Loop: Header=BB7_3 Depth=1
	v_ashrrev_i32_e32 v7, 31, v6
	v_lshl_add_u64 v[6:7], v[6:7], 3, s[8:9]
	global_load_dword v6, v[6:7], off
	s_waitcnt vmcnt(0)
	ds_write_b32 v11, v6
.LBB7_5:                                ;   in Loop: Header=BB7_3 Depth=1
	s_or_b64 exec, exec, s[4:5]
	s_add_i32 s19, s21, s18
	s_min_u32 s22, s19, s14
	s_cmp_ge_i32 s21, s22
	s_mov_b32 s23, s21
	s_cbranch_scc0 .LBB7_7
	s_branch .LBB7_2
.LBB7_6:                                ;   in Loop: Header=BB7_7 Depth=2
	s_or_b64 exec, exec, s[10:11]
	s_add_i32 s23, s23, s16
	s_cmp_ge_i32 s23, s22
	s_cbranch_scc1 .LBB7_2
.LBB7_7:                                ;   Parent Loop BB7_3 Depth=1
                                        ; =>  This Loop Header: Depth=2
                                        ;       Child Loop BB7_15 Depth 3
	v_add_u32_e32 v6, s23, v8
	v_subrev_u32_e32 v7, s21, v6
	v_lshl_add_u32 v7, v7, 2, s17
	s_waitcnt lgkmcnt(0)
	s_barrier
	ds_read_b32 v17, v7
	v_cmp_le_i32_e64 s[2:3], s14, v6
	s_or_b64 s[10:11], vcc, s[2:3]
	s_waitcnt lgkmcnt(0)
	v_cmp_eq_u32_e64 s[4:5], s15, v17
	s_or_b64 s[10:11], s[10:11], s[4:5]
	s_xor_b64 s[12:13], s[10:11], -1
	s_and_saveexec_b64 s[10:11], s[12:13]
	s_cbranch_execz .LBB7_9
; %bb.8:                                ;   in Loop: Header=BB7_7 Depth=2
	v_ashrrev_i32_e32 v7, 31, v6
	v_mul_lo_u32 v18, v6, s7
	v_mul_lo_u32 v19, v7, s6
	v_mad_u64_u32 v[6:7], s[12:13], v6, s6, 0
	v_add3_u32 v7, v7, v18, v19
	v_lshl_add_u64 v[6:7], v[6:7], 1, v[0:1]
	global_load_ushort v6, v[6:7], off
	s_waitcnt vmcnt(0)
	v_lshlrev_b32_e32 v6, 16, v6
	ds_write_b32 v14, v6
.LBB7_9:                                ;   in Loop: Header=BB7_7 Depth=2
	s_or_b64 exec, exec, s[10:11]
	s_or_b64 s[2:3], s[2:3], s[4:5]
	s_xor_b64 s[2:3], s[2:3], -1
	s_waitcnt lgkmcnt(0)
	s_barrier
	s_and_saveexec_b64 s[10:11], s[2:3]
	s_cbranch_execz .LBB7_6
; %bb.10:                               ;   in Loop: Header=BB7_7 Depth=2
	s_sub_i32 s2, s22, s23
	s_min_u32 s2, s2, s16
	v_cmp_gt_u32_e64 s[2:3], s2, v9
	s_mov_b64 s[12:13], 0
	s_and_saveexec_b64 s[4:5], s[2:3]
	s_cbranch_execz .LBB7_12
; %bb.11:                               ;   in Loop: Header=BB7_7 Depth=2
	s_sub_i32 s2, s23, s21
	v_lshl_add_u32 v6, s2, 2, v12
	ds_read_b32 v6, v6
	s_waitcnt lgkmcnt(0)
	v_cmp_eq_u32_e64 s[2:3], v17, v6
	s_and_b64 s[12:13], s[2:3], exec
.LBB7_12:                               ;   in Loop: Header=BB7_7 Depth=2
	s_or_b64 exec, exec, s[4:5]
	v_cndmask_b32_e64 v6, 0, 1, s[12:13]
	v_cmp_ne_u32_e64 s[2:3], 0, v6
	s_cmp_lg_u64 s[2:3], 0
	s_ff1_i32_b64 s4, s[2:3]
	s_cselect_b64 s[12:13], -1, 0
	v_cmp_eq_u32_e64 s[4:5], s4, v8
	s_and_b64 s[4:5], s[12:13], s[4:5]
	s_and_b64 exec, exec, s[4:5]
	s_cbranch_execz .LBB7_6
; %bb.13:                               ;   in Loop: Header=BB7_7 Depth=2
	v_cmp_ne_u64_e64 s[4:5], s[2:3], v[4:5]
	s_and_saveexec_b64 s[12:13], s[4:5]
	s_cbranch_execz .LBB7_16
; %bb.14:                               ;   in Loop: Header=BB7_7 Depth=2
	ds_read_b32 v18, v14
	v_xor_b32_e32 v7, s3, v5
	v_xor_b32_e32 v6, s2, v4
	s_mov_b64 s[4:5], 0
.LBB7_15:                               ;   Parent Loop BB7_3 Depth=1
                                        ;     Parent Loop BB7_7 Depth=2
                                        ; =>    This Inner Loop Header: Depth=3
	v_ffbl_b32_e32 v19, v7
	v_ffbl_b32_e32 v20, v6
	v_add_u32_e32 v19, 32, v19
	v_min_u32_e32 v19, v20, v19
	v_lshl_add_u32 v21, v19, 8, v13
	v_lshlrev_b32_e64 v20, v19, 1
	ds_read_b32 v19, v21
	v_ashrrev_i32_e32 v21, 31, v20
	v_xor_b32_e32 v22, v6, v20
	v_xor_b32_e32 v23, v7, v21
	v_cmp_eq_u64_e64 s[2:3], v[6:7], v[20:21]
	s_or_b64 s[4:5], s[2:3], s[4:5]
	v_mov_b64_e32 v[6:7], v[22:23]
	s_waitcnt lgkmcnt(0)
	v_add_f32_e32 v18, v19, v18
	ds_write_b32 v14, v18
	s_andn2_b64 exec, exec, s[4:5]
	s_cbranch_execnz .LBB7_15
.LBB7_16:                               ;   in Loop: Header=BB7_7 Depth=2
	s_or_b64 exec, exec, s[12:13]
	s_and_b64 exec, exec, s[0:1]
	s_cbranch_execz .LBB7_6
; %bb.17:                               ;   in Loop: Header=BB7_7 Depth=2
	v_ashrrev_i32_e32 v6, 31, v17
	v_mul_lo_u32 v18, v17, s7
	v_mul_lo_u32 v19, v6, s6
	v_mad_u64_u32 v[6:7], s[2:3], v17, s6, 0
	v_add3_u32 v7, v7, v18, v19
	v_lshl_add_u64 v[6:7], v[6:7], 1, v[2:3]
	global_load_ushort v17, v[6:7], off
	ds_read_b32 v18, v14
	s_waitcnt lgkmcnt(0)
	v_bfe_u32 v19, v18, 16, 1
	v_add3_u32 v19, v18, v19, s20
	v_and_b32_e32 v19, 0xffff0000, v19
	v_cmp_o_f32_e64 s[2:3], v18, v18
	s_waitcnt vmcnt(0)
	v_lshlrev_b32_e32 v17, 16, v17
	v_cndmask_b32_e64 v18, v15, v19, s[2:3]
	v_add_f32_e32 v17, v18, v17
	v_bfe_u32 v18, v17, 16, 1
	v_add3_u32 v18, v17, v18, s20
	v_lshrrev_b32_e32 v18, 16, v18
	v_cmp_o_f32_e64 s[2:3], v17, v17
	s_nop 1
	v_cndmask_b32_e64 v17, v16, v18, s[2:3]
	global_store_short v[6:7], v17, off
	s_branch .LBB7_6
.LBB7_18:
	s_endpgm
	.section	.rodata,"a",@progbits
	.p2align	6, 0x0
	.amdhsa_kernel _ZN2at6native12_GLOBAL__N_133embedding_backward_feature_kernelIN3c108BFloat16EflEEvPKT1_PKT_PS8_ili
		.amdhsa_group_segment_fixed_size 0
		.amdhsa_private_segment_fixed_size 0
		.amdhsa_kernarg_size 304
		.amdhsa_user_sgpr_count 2
		.amdhsa_user_sgpr_dispatch_ptr 0
		.amdhsa_user_sgpr_queue_ptr 0
		.amdhsa_user_sgpr_kernarg_segment_ptr 1
		.amdhsa_user_sgpr_dispatch_id 0
		.amdhsa_user_sgpr_kernarg_preload_length 0
		.amdhsa_user_sgpr_kernarg_preload_offset 0
		.amdhsa_user_sgpr_private_segment_size 0
		.amdhsa_uses_dynamic_stack 0
		.amdhsa_enable_private_segment 0
		.amdhsa_system_sgpr_workgroup_id_x 1
		.amdhsa_system_sgpr_workgroup_id_y 0
		.amdhsa_system_sgpr_workgroup_id_z 0
		.amdhsa_system_sgpr_workgroup_info 0
		.amdhsa_system_vgpr_workitem_id 1
		.amdhsa_next_free_vgpr 24
		.amdhsa_next_free_sgpr 24
		.amdhsa_accum_offset 24
		.amdhsa_reserve_vcc 1
		.amdhsa_float_round_mode_32 0
		.amdhsa_float_round_mode_16_64 0
		.amdhsa_float_denorm_mode_32 3
		.amdhsa_float_denorm_mode_16_64 3
		.amdhsa_dx10_clamp 1
		.amdhsa_ieee_mode 1
		.amdhsa_fp16_overflow 0
		.amdhsa_tg_split 0
		.amdhsa_exception_fp_ieee_invalid_op 0
		.amdhsa_exception_fp_denorm_src 0
		.amdhsa_exception_fp_ieee_div_zero 0
		.amdhsa_exception_fp_ieee_overflow 0
		.amdhsa_exception_fp_ieee_underflow 0
		.amdhsa_exception_fp_ieee_inexact 0
		.amdhsa_exception_int_div_zero 0
	.end_amdhsa_kernel
	.section	.text._ZN2at6native12_GLOBAL__N_133embedding_backward_feature_kernelIN3c108BFloat16EflEEvPKT1_PKT_PS8_ili,"axG",@progbits,_ZN2at6native12_GLOBAL__N_133embedding_backward_feature_kernelIN3c108BFloat16EflEEvPKT1_PKT_PS8_ili,comdat
.Lfunc_end7:
	.size	_ZN2at6native12_GLOBAL__N_133embedding_backward_feature_kernelIN3c108BFloat16EflEEvPKT1_PKT_PS8_ili, .Lfunc_end7-_ZN2at6native12_GLOBAL__N_133embedding_backward_feature_kernelIN3c108BFloat16EflEEvPKT1_PKT_PS8_ili
                                        ; -- End function
	.section	.AMDGPU.csdata,"",@progbits
; Kernel info:
; codeLenInByte = 932
; NumSgprs: 30
; NumVgprs: 24
; NumAgprs: 0
; TotalNumVgprs: 24
; ScratchSize: 0
; MemoryBound: 0
; FloatMode: 240
; IeeeMode: 1
; LDSByteSize: 0 bytes/workgroup (compile time only)
; SGPRBlocks: 3
; VGPRBlocks: 2
; NumSGPRsForWavesPerEU: 30
; NumVGPRsForWavesPerEU: 24
; AccumOffset: 24
; Occupancy: 8
; WaveLimiterHint : 0
; COMPUTE_PGM_RSRC2:SCRATCH_EN: 0
; COMPUTE_PGM_RSRC2:USER_SGPR: 2
; COMPUTE_PGM_RSRC2:TRAP_HANDLER: 0
; COMPUTE_PGM_RSRC2:TGID_X_EN: 1
; COMPUTE_PGM_RSRC2:TGID_Y_EN: 0
; COMPUTE_PGM_RSRC2:TGID_Z_EN: 0
; COMPUTE_PGM_RSRC2:TIDIG_COMP_CNT: 1
; COMPUTE_PGM_RSRC3_GFX90A:ACCUM_OFFSET: 5
; COMPUTE_PGM_RSRC3_GFX90A:TG_SPLIT: 0
	.section	.text._ZN7rocprim17ROCPRIM_400000_NS6detail30init_device_scan_by_key_kernelINS1_19lookback_scan_stateINS0_5tupleIJibEEELb0ELb1EEEPKijNS1_16block_id_wrapperIjLb0EEEEEvT_jjPNSB_10value_typeET0_PNSt15iterator_traitsISE_E10value_typeEmT1_T2_,"axG",@progbits,_ZN7rocprim17ROCPRIM_400000_NS6detail30init_device_scan_by_key_kernelINS1_19lookback_scan_stateINS0_5tupleIJibEEELb0ELb1EEEPKijNS1_16block_id_wrapperIjLb0EEEEEvT_jjPNSB_10value_typeET0_PNSt15iterator_traitsISE_E10value_typeEmT1_T2_,comdat
	.protected	_ZN7rocprim17ROCPRIM_400000_NS6detail30init_device_scan_by_key_kernelINS1_19lookback_scan_stateINS0_5tupleIJibEEELb0ELb1EEEPKijNS1_16block_id_wrapperIjLb0EEEEEvT_jjPNSB_10value_typeET0_PNSt15iterator_traitsISE_E10value_typeEmT1_T2_ ; -- Begin function _ZN7rocprim17ROCPRIM_400000_NS6detail30init_device_scan_by_key_kernelINS1_19lookback_scan_stateINS0_5tupleIJibEEELb0ELb1EEEPKijNS1_16block_id_wrapperIjLb0EEEEEvT_jjPNSB_10value_typeET0_PNSt15iterator_traitsISE_E10value_typeEmT1_T2_
	.globl	_ZN7rocprim17ROCPRIM_400000_NS6detail30init_device_scan_by_key_kernelINS1_19lookback_scan_stateINS0_5tupleIJibEEELb0ELb1EEEPKijNS1_16block_id_wrapperIjLb0EEEEEvT_jjPNSB_10value_typeET0_PNSt15iterator_traitsISE_E10value_typeEmT1_T2_
	.p2align	8
	.type	_ZN7rocprim17ROCPRIM_400000_NS6detail30init_device_scan_by_key_kernelINS1_19lookback_scan_stateINS0_5tupleIJibEEELb0ELb1EEEPKijNS1_16block_id_wrapperIjLb0EEEEEvT_jjPNSB_10value_typeET0_PNSt15iterator_traitsISE_E10value_typeEmT1_T2_,@function
_ZN7rocprim17ROCPRIM_400000_NS6detail30init_device_scan_by_key_kernelINS1_19lookback_scan_stateINS0_5tupleIJibEEELb0ELb1EEEPKijNS1_16block_id_wrapperIjLb0EEEEEvT_jjPNSB_10value_typeET0_PNSt15iterator_traitsISE_E10value_typeEmT1_T2_: ; @_ZN7rocprim17ROCPRIM_400000_NS6detail30init_device_scan_by_key_kernelINS1_19lookback_scan_stateINS0_5tupleIJibEEELb0ELb1EEEPKijNS1_16block_id_wrapperIjLb0EEEEEvT_jjPNSB_10value_typeET0_PNSt15iterator_traitsISE_E10value_typeEmT1_T2_
; %bb.0:
	s_load_dword s3, s[0:1], 0x44
	s_load_dwordx8 s[4:11], s[0:1], 0x0
	s_load_dword s18, s[0:1], 0x38
	s_waitcnt lgkmcnt(0)
	s_and_b32 s19, s3, 0xffff
	s_mul_i32 s2, s2, s19
	s_cmp_eq_u64 s[8:9], 0
	v_add_u32_e32 v4, s2, v0
	s_cbranch_scc1 .LBB8_8
; %bb.1:
	s_cmp_lt_u32 s7, s6
	s_cselect_b32 s2, s7, 0
	s_mov_b32 s13, 0
	v_cmp_eq_u32_e32 vcc, s2, v4
	s_and_saveexec_b64 s[2:3], vcc
	s_cbranch_execz .LBB8_7
; %bb.2:
	s_add_i32 s12, s7, 64
	s_lshl_b64 s[12:13], s[12:13], 4
	s_add_u32 s16, s4, s12
	s_addc_u32 s17, s5, s13
	v_mov_b64_e32 v[0:1], s[16:17]
	;;#ASMSTART
	global_load_dwordx4 v[0:3], v[0:1] off sc1	
s_waitcnt vmcnt(0)
	;;#ASMEND
	v_mov_b32_e32 v7, 0
	v_and_b32_e32 v6, 0xff, v2
	s_mov_b64 s[14:15], 0
	v_cmp_eq_u64_e32 vcc, 0, v[6:7]
	s_and_saveexec_b64 s[12:13], vcc
	s_cbranch_execz .LBB8_6
; %bb.3:
	v_mov_b64_e32 v[8:9], s[16:17]
.LBB8_4:                                ; =>This Inner Loop Header: Depth=1
	;;#ASMSTART
	global_load_dwordx4 v[0:3], v[8:9] off sc1	
s_waitcnt vmcnt(0)
	;;#ASMEND
	s_nop 0
	v_and_b32_e32 v6, 0xff, v2
	v_cmp_ne_u64_e32 vcc, 0, v[6:7]
	s_or_b64 s[14:15], vcc, s[14:15]
	s_andn2_b64 exec, exec, s[14:15]
	s_cbranch_execnz .LBB8_4
; %bb.5:
	s_or_b64 exec, exec, s[14:15]
.LBB8_6:
	s_or_b64 exec, exec, s[12:13]
	v_mov_b32_e32 v2, 0
	global_store_dword v2, v0, s[8:9]
	global_store_byte v2, v1, s[8:9] offset:4
.LBB8_7:
	s_or_b64 exec, exec, s[2:3]
.LBB8_8:
	v_cmp_gt_u32_e32 vcc, s6, v4
	s_and_saveexec_b64 s[2:3], vcc
	s_cbranch_execz .LBB8_10
; %bb.9:
	v_add_u32_e32 v0, 64, v4
	v_mov_b32_e32 v1, 0
	v_lshl_add_u64 v[6:7], v[0:1], 4, s[4:5]
	v_mov_b32_e32 v0, v1
	v_mov_b32_e32 v2, v1
	;; [unrolled: 1-line block ×3, first 2 shown]
	global_store_dwordx4 v[6:7], v[0:3], off
.LBB8_10:
	s_or_b64 exec, exec, s[2:3]
	v_cmp_gt_u32_e32 vcc, 64, v4
	v_mov_b32_e32 v5, 0
	s_and_saveexec_b64 s[2:3], vcc
	s_cbranch_execz .LBB8_12
; %bb.11:
	v_lshl_add_u64 v[6:7], v[4:5], 4, s[4:5]
	v_mov_b32_e32 v2, 0xff
	v_mov_b32_e32 v0, v5
	;; [unrolled: 1-line block ×4, first 2 shown]
	global_store_dwordx4 v[6:7], v[0:3], off
.LBB8_12:
	s_or_b64 exec, exec, s[2:3]
	s_load_dwordx2 s[2:3], s[0:1], 0x28
	s_waitcnt lgkmcnt(0)
	v_cmp_gt_u64_e32 vcc, s[2:3], v[4:5]
	s_and_saveexec_b64 s[4:5], vcc
	s_cbranch_execz .LBB8_15
; %bb.13:
	s_load_dword s12, s[0:1], 0x30
	s_load_dwordx2 s[6:7], s[0:1], 0x20
	s_mov_b32 s5, 0
	s_mov_b32 s1, s5
	s_mul_i32 s0, s18, s19
	s_waitcnt lgkmcnt(0)
	s_add_i32 s4, s12, -1
	s_lshl_b64 s[4:5], s[4:5], 2
	s_add_u32 s4, s10, s4
	v_mad_u64_u32 v[0:1], s[8:9], s12, v4, 0
	s_addc_u32 s5, s11, s5
	v_lshl_add_u64 v[0:1], v[0:1], 2, s[4:5]
	s_mul_hi_u32 s5, s12, s0
	s_mul_i32 s4, s12, s0
	s_lshl_b64 s[4:5], s[4:5], 2
	v_lshl_add_u64 v[2:3], v[4:5], 2, s[6:7]
	s_lshl_b64 s[6:7], s[0:1], 2
	s_mov_b64 s[8:9], 0
.LBB8_14:                               ; =>This Inner Loop Header: Depth=1
	global_load_dword v6, v[0:1], off
	v_lshl_add_u64 v[4:5], v[4:5], 0, s[0:1]
	v_cmp_le_u64_e32 vcc, s[2:3], v[4:5]
	v_lshl_add_u64 v[0:1], v[0:1], 0, s[4:5]
	s_or_b64 s[8:9], vcc, s[8:9]
	s_waitcnt vmcnt(0)
	global_store_dword v[2:3], v6, off
	v_lshl_add_u64 v[2:3], v[2:3], 0, s[6:7]
	s_andn2_b64 exec, exec, s[8:9]
	s_cbranch_execnz .LBB8_14
.LBB8_15:
	s_endpgm
	.section	.rodata,"a",@progbits
	.p2align	6, 0x0
	.amdhsa_kernel _ZN7rocprim17ROCPRIM_400000_NS6detail30init_device_scan_by_key_kernelINS1_19lookback_scan_stateINS0_5tupleIJibEEELb0ELb1EEEPKijNS1_16block_id_wrapperIjLb0EEEEEvT_jjPNSB_10value_typeET0_PNSt15iterator_traitsISE_E10value_typeEmT1_T2_
		.amdhsa_group_segment_fixed_size 0
		.amdhsa_private_segment_fixed_size 0
		.amdhsa_kernarg_size 312
		.amdhsa_user_sgpr_count 2
		.amdhsa_user_sgpr_dispatch_ptr 0
		.amdhsa_user_sgpr_queue_ptr 0
		.amdhsa_user_sgpr_kernarg_segment_ptr 1
		.amdhsa_user_sgpr_dispatch_id 0
		.amdhsa_user_sgpr_kernarg_preload_length 0
		.amdhsa_user_sgpr_kernarg_preload_offset 0
		.amdhsa_user_sgpr_private_segment_size 0
		.amdhsa_uses_dynamic_stack 0
		.amdhsa_enable_private_segment 0
		.amdhsa_system_sgpr_workgroup_id_x 1
		.amdhsa_system_sgpr_workgroup_id_y 0
		.amdhsa_system_sgpr_workgroup_id_z 0
		.amdhsa_system_sgpr_workgroup_info 0
		.amdhsa_system_vgpr_workitem_id 0
		.amdhsa_next_free_vgpr 10
		.amdhsa_next_free_sgpr 20
		.amdhsa_accum_offset 12
		.amdhsa_reserve_vcc 1
		.amdhsa_float_round_mode_32 0
		.amdhsa_float_round_mode_16_64 0
		.amdhsa_float_denorm_mode_32 3
		.amdhsa_float_denorm_mode_16_64 3
		.amdhsa_dx10_clamp 1
		.amdhsa_ieee_mode 1
		.amdhsa_fp16_overflow 0
		.amdhsa_tg_split 0
		.amdhsa_exception_fp_ieee_invalid_op 0
		.amdhsa_exception_fp_denorm_src 0
		.amdhsa_exception_fp_ieee_div_zero 0
		.amdhsa_exception_fp_ieee_overflow 0
		.amdhsa_exception_fp_ieee_underflow 0
		.amdhsa_exception_fp_ieee_inexact 0
		.amdhsa_exception_int_div_zero 0
	.end_amdhsa_kernel
	.section	.text._ZN7rocprim17ROCPRIM_400000_NS6detail30init_device_scan_by_key_kernelINS1_19lookback_scan_stateINS0_5tupleIJibEEELb0ELb1EEEPKijNS1_16block_id_wrapperIjLb0EEEEEvT_jjPNSB_10value_typeET0_PNSt15iterator_traitsISE_E10value_typeEmT1_T2_,"axG",@progbits,_ZN7rocprim17ROCPRIM_400000_NS6detail30init_device_scan_by_key_kernelINS1_19lookback_scan_stateINS0_5tupleIJibEEELb0ELb1EEEPKijNS1_16block_id_wrapperIjLb0EEEEEvT_jjPNSB_10value_typeET0_PNSt15iterator_traitsISE_E10value_typeEmT1_T2_,comdat
.Lfunc_end8:
	.size	_ZN7rocprim17ROCPRIM_400000_NS6detail30init_device_scan_by_key_kernelINS1_19lookback_scan_stateINS0_5tupleIJibEEELb0ELb1EEEPKijNS1_16block_id_wrapperIjLb0EEEEEvT_jjPNSB_10value_typeET0_PNSt15iterator_traitsISE_E10value_typeEmT1_T2_, .Lfunc_end8-_ZN7rocprim17ROCPRIM_400000_NS6detail30init_device_scan_by_key_kernelINS1_19lookback_scan_stateINS0_5tupleIJibEEELb0ELb1EEEPKijNS1_16block_id_wrapperIjLb0EEEEEvT_jjPNSB_10value_typeET0_PNSt15iterator_traitsISE_E10value_typeEmT1_T2_
                                        ; -- End function
	.section	.AMDGPU.csdata,"",@progbits
; Kernel info:
; codeLenInByte = 508
; NumSgprs: 26
; NumVgprs: 10
; NumAgprs: 0
; TotalNumVgprs: 10
; ScratchSize: 0
; MemoryBound: 0
; FloatMode: 240
; IeeeMode: 1
; LDSByteSize: 0 bytes/workgroup (compile time only)
; SGPRBlocks: 3
; VGPRBlocks: 1
; NumSGPRsForWavesPerEU: 26
; NumVGPRsForWavesPerEU: 10
; AccumOffset: 12
; Occupancy: 8
; WaveLimiterHint : 0
; COMPUTE_PGM_RSRC2:SCRATCH_EN: 0
; COMPUTE_PGM_RSRC2:USER_SGPR: 2
; COMPUTE_PGM_RSRC2:TRAP_HANDLER: 0
; COMPUTE_PGM_RSRC2:TGID_X_EN: 1
; COMPUTE_PGM_RSRC2:TGID_Y_EN: 0
; COMPUTE_PGM_RSRC2:TGID_Z_EN: 0
; COMPUTE_PGM_RSRC2:TIDIG_COMP_CNT: 0
; COMPUTE_PGM_RSRC3_GFX90A:ACCUM_OFFSET: 2
; COMPUTE_PGM_RSRC3_GFX90A:TG_SPLIT: 0
	.section	.text._ZN7rocprim17ROCPRIM_400000_NS6detail30init_device_scan_by_key_kernelINS1_19lookback_scan_stateINS0_5tupleIJibEEELb0ELb1EEENS1_16block_id_wrapperIjLb0EEEEEvT_jjPNS9_10value_typeET0_,"axG",@progbits,_ZN7rocprim17ROCPRIM_400000_NS6detail30init_device_scan_by_key_kernelINS1_19lookback_scan_stateINS0_5tupleIJibEEELb0ELb1EEENS1_16block_id_wrapperIjLb0EEEEEvT_jjPNS9_10value_typeET0_,comdat
	.protected	_ZN7rocprim17ROCPRIM_400000_NS6detail30init_device_scan_by_key_kernelINS1_19lookback_scan_stateINS0_5tupleIJibEEELb0ELb1EEENS1_16block_id_wrapperIjLb0EEEEEvT_jjPNS9_10value_typeET0_ ; -- Begin function _ZN7rocprim17ROCPRIM_400000_NS6detail30init_device_scan_by_key_kernelINS1_19lookback_scan_stateINS0_5tupleIJibEEELb0ELb1EEENS1_16block_id_wrapperIjLb0EEEEEvT_jjPNS9_10value_typeET0_
	.globl	_ZN7rocprim17ROCPRIM_400000_NS6detail30init_device_scan_by_key_kernelINS1_19lookback_scan_stateINS0_5tupleIJibEEELb0ELb1EEENS1_16block_id_wrapperIjLb0EEEEEvT_jjPNS9_10value_typeET0_
	.p2align	8
	.type	_ZN7rocprim17ROCPRIM_400000_NS6detail30init_device_scan_by_key_kernelINS1_19lookback_scan_stateINS0_5tupleIJibEEELb0ELb1EEENS1_16block_id_wrapperIjLb0EEEEEvT_jjPNS9_10value_typeET0_,@function
_ZN7rocprim17ROCPRIM_400000_NS6detail30init_device_scan_by_key_kernelINS1_19lookback_scan_stateINS0_5tupleIJibEEELb0ELb1EEENS1_16block_id_wrapperIjLb0EEEEEvT_jjPNS9_10value_typeET0_: ; @_ZN7rocprim17ROCPRIM_400000_NS6detail30init_device_scan_by_key_kernelINS1_19lookback_scan_stateINS0_5tupleIJibEEELb0ELb1EEENS1_16block_id_wrapperIjLb0EEEEEvT_jjPNS9_10value_typeET0_
; %bb.0:
	s_load_dword s3, s[0:1], 0x2c
	s_load_dwordx2 s[8:9], s[0:1], 0x10
	s_load_dwordx4 s[4:7], s[0:1], 0x0
	s_waitcnt lgkmcnt(0)
	s_and_b32 s0, s3, 0xffff
	s_mul_i32 s2, s2, s0
	s_cmp_eq_u64 s[8:9], 0
	v_add_u32_e32 v0, s2, v0
	s_cbranch_scc1 .LBB9_8
; %bb.1:
	s_cmp_lt_u32 s7, s6
	s_cselect_b32 s0, s7, 0
	s_mov_b32 s3, 0
	v_cmp_eq_u32_e32 vcc, s0, v0
	s_and_saveexec_b64 s[0:1], vcc
	s_cbranch_execz .LBB9_7
; %bb.2:
	s_add_i32 s2, s7, 64
	s_lshl_b64 s[2:3], s[2:3], 4
	s_add_u32 s12, s4, s2
	s_addc_u32 s13, s5, s3
	v_mov_b64_e32 v[2:3], s[12:13]
	;;#ASMSTART
	global_load_dwordx4 v[2:5], v[2:3] off sc1	
s_waitcnt vmcnt(0)
	;;#ASMEND
	v_mov_b32_e32 v7, 0
	v_and_b32_e32 v6, 0xff, v4
	s_mov_b64 s[10:11], 0
	v_cmp_eq_u64_e32 vcc, 0, v[6:7]
	s_and_saveexec_b64 s[2:3], vcc
	s_cbranch_execz .LBB9_6
; %bb.3:
	v_mov_b64_e32 v[8:9], s[12:13]
.LBB9_4:                                ; =>This Inner Loop Header: Depth=1
	;;#ASMSTART
	global_load_dwordx4 v[2:5], v[8:9] off sc1	
s_waitcnt vmcnt(0)
	;;#ASMEND
	s_nop 0
	v_and_b32_e32 v6, 0xff, v4
	v_cmp_ne_u64_e32 vcc, 0, v[6:7]
	s_or_b64 s[10:11], vcc, s[10:11]
	s_andn2_b64 exec, exec, s[10:11]
	s_cbranch_execnz .LBB9_4
; %bb.5:
	s_or_b64 exec, exec, s[10:11]
.LBB9_6:
	s_or_b64 exec, exec, s[2:3]
	v_mov_b32_e32 v1, 0
	global_store_dword v1, v2, s[8:9]
	global_store_byte v1, v3, s[8:9] offset:4
.LBB9_7:
	s_or_b64 exec, exec, s[0:1]
.LBB9_8:
	v_cmp_gt_u32_e32 vcc, s6, v0
	s_and_saveexec_b64 s[0:1], vcc
	s_cbranch_execnz .LBB9_11
; %bb.9:
	s_or_b64 exec, exec, s[0:1]
	v_cmp_gt_u32_e32 vcc, 64, v0
	s_and_saveexec_b64 s[0:1], vcc
	s_cbranch_execnz .LBB9_12
.LBB9_10:
	s_endpgm
.LBB9_11:
	v_add_u32_e32 v2, 64, v0
	v_mov_b32_e32 v3, 0
	v_lshl_add_u64 v[6:7], v[2:3], 4, s[4:5]
	v_mov_b32_e32 v2, v3
	v_mov_b32_e32 v4, v3
	;; [unrolled: 1-line block ×3, first 2 shown]
	global_store_dwordx4 v[6:7], v[2:5], off
	s_or_b64 exec, exec, s[0:1]
	v_cmp_gt_u32_e32 vcc, 64, v0
	s_and_saveexec_b64 s[0:1], vcc
	s_cbranch_execz .LBB9_10
.LBB9_12:
	v_mov_b32_e32 v1, 0
	v_lshl_add_u64 v[4:5], v[0:1], 4, s[4:5]
	v_mov_b32_e32 v2, 0xff
	v_mov_b32_e32 v0, v1
	;; [unrolled: 1-line block ×3, first 2 shown]
	global_store_dwordx4 v[4:5], v[0:3], off
	s_endpgm
	.section	.rodata,"a",@progbits
	.p2align	6, 0x0
	.amdhsa_kernel _ZN7rocprim17ROCPRIM_400000_NS6detail30init_device_scan_by_key_kernelINS1_19lookback_scan_stateINS0_5tupleIJibEEELb0ELb1EEENS1_16block_id_wrapperIjLb0EEEEEvT_jjPNS9_10value_typeET0_
		.amdhsa_group_segment_fixed_size 0
		.amdhsa_private_segment_fixed_size 0
		.amdhsa_kernarg_size 288
		.amdhsa_user_sgpr_count 2
		.amdhsa_user_sgpr_dispatch_ptr 0
		.amdhsa_user_sgpr_queue_ptr 0
		.amdhsa_user_sgpr_kernarg_segment_ptr 1
		.amdhsa_user_sgpr_dispatch_id 0
		.amdhsa_user_sgpr_kernarg_preload_length 0
		.amdhsa_user_sgpr_kernarg_preload_offset 0
		.amdhsa_user_sgpr_private_segment_size 0
		.amdhsa_uses_dynamic_stack 0
		.amdhsa_enable_private_segment 0
		.amdhsa_system_sgpr_workgroup_id_x 1
		.amdhsa_system_sgpr_workgroup_id_y 0
		.amdhsa_system_sgpr_workgroup_id_z 0
		.amdhsa_system_sgpr_workgroup_info 0
		.amdhsa_system_vgpr_workitem_id 0
		.amdhsa_next_free_vgpr 10
		.amdhsa_next_free_sgpr 14
		.amdhsa_accum_offset 12
		.amdhsa_reserve_vcc 1
		.amdhsa_float_round_mode_32 0
		.amdhsa_float_round_mode_16_64 0
		.amdhsa_float_denorm_mode_32 3
		.amdhsa_float_denorm_mode_16_64 3
		.amdhsa_dx10_clamp 1
		.amdhsa_ieee_mode 1
		.amdhsa_fp16_overflow 0
		.amdhsa_tg_split 0
		.amdhsa_exception_fp_ieee_invalid_op 0
		.amdhsa_exception_fp_denorm_src 0
		.amdhsa_exception_fp_ieee_div_zero 0
		.amdhsa_exception_fp_ieee_overflow 0
		.amdhsa_exception_fp_ieee_underflow 0
		.amdhsa_exception_fp_ieee_inexact 0
		.amdhsa_exception_int_div_zero 0
	.end_amdhsa_kernel
	.section	.text._ZN7rocprim17ROCPRIM_400000_NS6detail30init_device_scan_by_key_kernelINS1_19lookback_scan_stateINS0_5tupleIJibEEELb0ELb1EEENS1_16block_id_wrapperIjLb0EEEEEvT_jjPNS9_10value_typeET0_,"axG",@progbits,_ZN7rocprim17ROCPRIM_400000_NS6detail30init_device_scan_by_key_kernelINS1_19lookback_scan_stateINS0_5tupleIJibEEELb0ELb1EEENS1_16block_id_wrapperIjLb0EEEEEvT_jjPNS9_10value_typeET0_,comdat
.Lfunc_end9:
	.size	_ZN7rocprim17ROCPRIM_400000_NS6detail30init_device_scan_by_key_kernelINS1_19lookback_scan_stateINS0_5tupleIJibEEELb0ELb1EEENS1_16block_id_wrapperIjLb0EEEEEvT_jjPNS9_10value_typeET0_, .Lfunc_end9-_ZN7rocprim17ROCPRIM_400000_NS6detail30init_device_scan_by_key_kernelINS1_19lookback_scan_stateINS0_5tupleIJibEEELb0ELb1EEENS1_16block_id_wrapperIjLb0EEEEEvT_jjPNS9_10value_typeET0_
                                        ; -- End function
	.section	.AMDGPU.csdata,"",@progbits
; Kernel info:
; codeLenInByte = 344
; NumSgprs: 20
; NumVgprs: 10
; NumAgprs: 0
; TotalNumVgprs: 10
; ScratchSize: 0
; MemoryBound: 0
; FloatMode: 240
; IeeeMode: 1
; LDSByteSize: 0 bytes/workgroup (compile time only)
; SGPRBlocks: 2
; VGPRBlocks: 1
; NumSGPRsForWavesPerEU: 20
; NumVGPRsForWavesPerEU: 10
; AccumOffset: 12
; Occupancy: 8
; WaveLimiterHint : 0
; COMPUTE_PGM_RSRC2:SCRATCH_EN: 0
; COMPUTE_PGM_RSRC2:USER_SGPR: 2
; COMPUTE_PGM_RSRC2:TRAP_HANDLER: 0
; COMPUTE_PGM_RSRC2:TGID_X_EN: 1
; COMPUTE_PGM_RSRC2:TGID_Y_EN: 0
; COMPUTE_PGM_RSRC2:TGID_Z_EN: 0
; COMPUTE_PGM_RSRC2:TIDIG_COMP_CNT: 0
; COMPUTE_PGM_RSRC3_GFX90A:ACCUM_OFFSET: 2
; COMPUTE_PGM_RSRC3_GFX90A:TG_SPLIT: 0
	.section	.text._ZN7rocprim17ROCPRIM_400000_NS6detail17trampoline_kernelINS0_14default_configENS1_27scan_by_key_config_selectorIiiEEZZNS1_16scan_by_key_implILNS1_25lookback_scan_determinismE0ELb0ES3_PKiN6hipcub16HIPCUB_304000_NS21ConstantInputIteratorIilEEPiiNSB_3SumENSB_8EqualityEiEE10hipError_tPvRmT2_T3_T4_T5_mT6_T7_P12ihipStream_tbENKUlT_T0_E_clISt17integral_constantIbLb0EESX_EEDaSS_ST_EUlSS_E_NS1_11comp_targetILNS1_3genE0ELNS1_11target_archE4294967295ELNS1_3gpuE0ELNS1_3repE0EEENS1_30default_config_static_selectorELNS0_4arch9wavefront6targetE1EEEvT1_,"axG",@progbits,_ZN7rocprim17ROCPRIM_400000_NS6detail17trampoline_kernelINS0_14default_configENS1_27scan_by_key_config_selectorIiiEEZZNS1_16scan_by_key_implILNS1_25lookback_scan_determinismE0ELb0ES3_PKiN6hipcub16HIPCUB_304000_NS21ConstantInputIteratorIilEEPiiNSB_3SumENSB_8EqualityEiEE10hipError_tPvRmT2_T3_T4_T5_mT6_T7_P12ihipStream_tbENKUlT_T0_E_clISt17integral_constantIbLb0EESX_EEDaSS_ST_EUlSS_E_NS1_11comp_targetILNS1_3genE0ELNS1_11target_archE4294967295ELNS1_3gpuE0ELNS1_3repE0EEENS1_30default_config_static_selectorELNS0_4arch9wavefront6targetE1EEEvT1_,comdat
	.protected	_ZN7rocprim17ROCPRIM_400000_NS6detail17trampoline_kernelINS0_14default_configENS1_27scan_by_key_config_selectorIiiEEZZNS1_16scan_by_key_implILNS1_25lookback_scan_determinismE0ELb0ES3_PKiN6hipcub16HIPCUB_304000_NS21ConstantInputIteratorIilEEPiiNSB_3SumENSB_8EqualityEiEE10hipError_tPvRmT2_T3_T4_T5_mT6_T7_P12ihipStream_tbENKUlT_T0_E_clISt17integral_constantIbLb0EESX_EEDaSS_ST_EUlSS_E_NS1_11comp_targetILNS1_3genE0ELNS1_11target_archE4294967295ELNS1_3gpuE0ELNS1_3repE0EEENS1_30default_config_static_selectorELNS0_4arch9wavefront6targetE1EEEvT1_ ; -- Begin function _ZN7rocprim17ROCPRIM_400000_NS6detail17trampoline_kernelINS0_14default_configENS1_27scan_by_key_config_selectorIiiEEZZNS1_16scan_by_key_implILNS1_25lookback_scan_determinismE0ELb0ES3_PKiN6hipcub16HIPCUB_304000_NS21ConstantInputIteratorIilEEPiiNSB_3SumENSB_8EqualityEiEE10hipError_tPvRmT2_T3_T4_T5_mT6_T7_P12ihipStream_tbENKUlT_T0_E_clISt17integral_constantIbLb0EESX_EEDaSS_ST_EUlSS_E_NS1_11comp_targetILNS1_3genE0ELNS1_11target_archE4294967295ELNS1_3gpuE0ELNS1_3repE0EEENS1_30default_config_static_selectorELNS0_4arch9wavefront6targetE1EEEvT1_
	.globl	_ZN7rocprim17ROCPRIM_400000_NS6detail17trampoline_kernelINS0_14default_configENS1_27scan_by_key_config_selectorIiiEEZZNS1_16scan_by_key_implILNS1_25lookback_scan_determinismE0ELb0ES3_PKiN6hipcub16HIPCUB_304000_NS21ConstantInputIteratorIilEEPiiNSB_3SumENSB_8EqualityEiEE10hipError_tPvRmT2_T3_T4_T5_mT6_T7_P12ihipStream_tbENKUlT_T0_E_clISt17integral_constantIbLb0EESX_EEDaSS_ST_EUlSS_E_NS1_11comp_targetILNS1_3genE0ELNS1_11target_archE4294967295ELNS1_3gpuE0ELNS1_3repE0EEENS1_30default_config_static_selectorELNS0_4arch9wavefront6targetE1EEEvT1_
	.p2align	8
	.type	_ZN7rocprim17ROCPRIM_400000_NS6detail17trampoline_kernelINS0_14default_configENS1_27scan_by_key_config_selectorIiiEEZZNS1_16scan_by_key_implILNS1_25lookback_scan_determinismE0ELb0ES3_PKiN6hipcub16HIPCUB_304000_NS21ConstantInputIteratorIilEEPiiNSB_3SumENSB_8EqualityEiEE10hipError_tPvRmT2_T3_T4_T5_mT6_T7_P12ihipStream_tbENKUlT_T0_E_clISt17integral_constantIbLb0EESX_EEDaSS_ST_EUlSS_E_NS1_11comp_targetILNS1_3genE0ELNS1_11target_archE4294967295ELNS1_3gpuE0ELNS1_3repE0EEENS1_30default_config_static_selectorELNS0_4arch9wavefront6targetE1EEEvT1_,@function
_ZN7rocprim17ROCPRIM_400000_NS6detail17trampoline_kernelINS0_14default_configENS1_27scan_by_key_config_selectorIiiEEZZNS1_16scan_by_key_implILNS1_25lookback_scan_determinismE0ELb0ES3_PKiN6hipcub16HIPCUB_304000_NS21ConstantInputIteratorIilEEPiiNSB_3SumENSB_8EqualityEiEE10hipError_tPvRmT2_T3_T4_T5_mT6_T7_P12ihipStream_tbENKUlT_T0_E_clISt17integral_constantIbLb0EESX_EEDaSS_ST_EUlSS_E_NS1_11comp_targetILNS1_3genE0ELNS1_11target_archE4294967295ELNS1_3gpuE0ELNS1_3repE0EEENS1_30default_config_static_selectorELNS0_4arch9wavefront6targetE1EEEvT1_: ; @_ZN7rocprim17ROCPRIM_400000_NS6detail17trampoline_kernelINS0_14default_configENS1_27scan_by_key_config_selectorIiiEEZZNS1_16scan_by_key_implILNS1_25lookback_scan_determinismE0ELb0ES3_PKiN6hipcub16HIPCUB_304000_NS21ConstantInputIteratorIilEEPiiNSB_3SumENSB_8EqualityEiEE10hipError_tPvRmT2_T3_T4_T5_mT6_T7_P12ihipStream_tbENKUlT_T0_E_clISt17integral_constantIbLb0EESX_EEDaSS_ST_EUlSS_E_NS1_11comp_targetILNS1_3genE0ELNS1_11target_archE4294967295ELNS1_3gpuE0ELNS1_3repE0EEENS1_30default_config_static_selectorELNS0_4arch9wavefront6targetE1EEEvT1_
; %bb.0:
	.section	.rodata,"a",@progbits
	.p2align	6, 0x0
	.amdhsa_kernel _ZN7rocprim17ROCPRIM_400000_NS6detail17trampoline_kernelINS0_14default_configENS1_27scan_by_key_config_selectorIiiEEZZNS1_16scan_by_key_implILNS1_25lookback_scan_determinismE0ELb0ES3_PKiN6hipcub16HIPCUB_304000_NS21ConstantInputIteratorIilEEPiiNSB_3SumENSB_8EqualityEiEE10hipError_tPvRmT2_T3_T4_T5_mT6_T7_P12ihipStream_tbENKUlT_T0_E_clISt17integral_constantIbLb0EESX_EEDaSS_ST_EUlSS_E_NS1_11comp_targetILNS1_3genE0ELNS1_11target_archE4294967295ELNS1_3gpuE0ELNS1_3repE0EEENS1_30default_config_static_selectorELNS0_4arch9wavefront6targetE1EEEvT1_
		.amdhsa_group_segment_fixed_size 0
		.amdhsa_private_segment_fixed_size 0
		.amdhsa_kernarg_size 120
		.amdhsa_user_sgpr_count 2
		.amdhsa_user_sgpr_dispatch_ptr 0
		.amdhsa_user_sgpr_queue_ptr 0
		.amdhsa_user_sgpr_kernarg_segment_ptr 1
		.amdhsa_user_sgpr_dispatch_id 0
		.amdhsa_user_sgpr_kernarg_preload_length 0
		.amdhsa_user_sgpr_kernarg_preload_offset 0
		.amdhsa_user_sgpr_private_segment_size 0
		.amdhsa_uses_dynamic_stack 0
		.amdhsa_enable_private_segment 0
		.amdhsa_system_sgpr_workgroup_id_x 1
		.amdhsa_system_sgpr_workgroup_id_y 0
		.amdhsa_system_sgpr_workgroup_id_z 0
		.amdhsa_system_sgpr_workgroup_info 0
		.amdhsa_system_vgpr_workitem_id 0
		.amdhsa_next_free_vgpr 1
		.amdhsa_next_free_sgpr 0
		.amdhsa_accum_offset 4
		.amdhsa_reserve_vcc 0
		.amdhsa_float_round_mode_32 0
		.amdhsa_float_round_mode_16_64 0
		.amdhsa_float_denorm_mode_32 3
		.amdhsa_float_denorm_mode_16_64 3
		.amdhsa_dx10_clamp 1
		.amdhsa_ieee_mode 1
		.amdhsa_fp16_overflow 0
		.amdhsa_tg_split 0
		.amdhsa_exception_fp_ieee_invalid_op 0
		.amdhsa_exception_fp_denorm_src 0
		.amdhsa_exception_fp_ieee_div_zero 0
		.amdhsa_exception_fp_ieee_overflow 0
		.amdhsa_exception_fp_ieee_underflow 0
		.amdhsa_exception_fp_ieee_inexact 0
		.amdhsa_exception_int_div_zero 0
	.end_amdhsa_kernel
	.section	.text._ZN7rocprim17ROCPRIM_400000_NS6detail17trampoline_kernelINS0_14default_configENS1_27scan_by_key_config_selectorIiiEEZZNS1_16scan_by_key_implILNS1_25lookback_scan_determinismE0ELb0ES3_PKiN6hipcub16HIPCUB_304000_NS21ConstantInputIteratorIilEEPiiNSB_3SumENSB_8EqualityEiEE10hipError_tPvRmT2_T3_T4_T5_mT6_T7_P12ihipStream_tbENKUlT_T0_E_clISt17integral_constantIbLb0EESX_EEDaSS_ST_EUlSS_E_NS1_11comp_targetILNS1_3genE0ELNS1_11target_archE4294967295ELNS1_3gpuE0ELNS1_3repE0EEENS1_30default_config_static_selectorELNS0_4arch9wavefront6targetE1EEEvT1_,"axG",@progbits,_ZN7rocprim17ROCPRIM_400000_NS6detail17trampoline_kernelINS0_14default_configENS1_27scan_by_key_config_selectorIiiEEZZNS1_16scan_by_key_implILNS1_25lookback_scan_determinismE0ELb0ES3_PKiN6hipcub16HIPCUB_304000_NS21ConstantInputIteratorIilEEPiiNSB_3SumENSB_8EqualityEiEE10hipError_tPvRmT2_T3_T4_T5_mT6_T7_P12ihipStream_tbENKUlT_T0_E_clISt17integral_constantIbLb0EESX_EEDaSS_ST_EUlSS_E_NS1_11comp_targetILNS1_3genE0ELNS1_11target_archE4294967295ELNS1_3gpuE0ELNS1_3repE0EEENS1_30default_config_static_selectorELNS0_4arch9wavefront6targetE1EEEvT1_,comdat
.Lfunc_end10:
	.size	_ZN7rocprim17ROCPRIM_400000_NS6detail17trampoline_kernelINS0_14default_configENS1_27scan_by_key_config_selectorIiiEEZZNS1_16scan_by_key_implILNS1_25lookback_scan_determinismE0ELb0ES3_PKiN6hipcub16HIPCUB_304000_NS21ConstantInputIteratorIilEEPiiNSB_3SumENSB_8EqualityEiEE10hipError_tPvRmT2_T3_T4_T5_mT6_T7_P12ihipStream_tbENKUlT_T0_E_clISt17integral_constantIbLb0EESX_EEDaSS_ST_EUlSS_E_NS1_11comp_targetILNS1_3genE0ELNS1_11target_archE4294967295ELNS1_3gpuE0ELNS1_3repE0EEENS1_30default_config_static_selectorELNS0_4arch9wavefront6targetE1EEEvT1_, .Lfunc_end10-_ZN7rocprim17ROCPRIM_400000_NS6detail17trampoline_kernelINS0_14default_configENS1_27scan_by_key_config_selectorIiiEEZZNS1_16scan_by_key_implILNS1_25lookback_scan_determinismE0ELb0ES3_PKiN6hipcub16HIPCUB_304000_NS21ConstantInputIteratorIilEEPiiNSB_3SumENSB_8EqualityEiEE10hipError_tPvRmT2_T3_T4_T5_mT6_T7_P12ihipStream_tbENKUlT_T0_E_clISt17integral_constantIbLb0EESX_EEDaSS_ST_EUlSS_E_NS1_11comp_targetILNS1_3genE0ELNS1_11target_archE4294967295ELNS1_3gpuE0ELNS1_3repE0EEENS1_30default_config_static_selectorELNS0_4arch9wavefront6targetE1EEEvT1_
                                        ; -- End function
	.section	.AMDGPU.csdata,"",@progbits
; Kernel info:
; codeLenInByte = 0
; NumSgprs: 6
; NumVgprs: 0
; NumAgprs: 0
; TotalNumVgprs: 0
; ScratchSize: 0
; MemoryBound: 0
; FloatMode: 240
; IeeeMode: 1
; LDSByteSize: 0 bytes/workgroup (compile time only)
; SGPRBlocks: 0
; VGPRBlocks: 0
; NumSGPRsForWavesPerEU: 6
; NumVGPRsForWavesPerEU: 1
; AccumOffset: 4
; Occupancy: 8
; WaveLimiterHint : 0
; COMPUTE_PGM_RSRC2:SCRATCH_EN: 0
; COMPUTE_PGM_RSRC2:USER_SGPR: 2
; COMPUTE_PGM_RSRC2:TRAP_HANDLER: 0
; COMPUTE_PGM_RSRC2:TGID_X_EN: 1
; COMPUTE_PGM_RSRC2:TGID_Y_EN: 0
; COMPUTE_PGM_RSRC2:TGID_Z_EN: 0
; COMPUTE_PGM_RSRC2:TIDIG_COMP_CNT: 0
; COMPUTE_PGM_RSRC3_GFX90A:ACCUM_OFFSET: 0
; COMPUTE_PGM_RSRC3_GFX90A:TG_SPLIT: 0
	.section	.text._ZN7rocprim17ROCPRIM_400000_NS6detail17trampoline_kernelINS0_14default_configENS1_27scan_by_key_config_selectorIiiEEZZNS1_16scan_by_key_implILNS1_25lookback_scan_determinismE0ELb0ES3_PKiN6hipcub16HIPCUB_304000_NS21ConstantInputIteratorIilEEPiiNSB_3SumENSB_8EqualityEiEE10hipError_tPvRmT2_T3_T4_T5_mT6_T7_P12ihipStream_tbENKUlT_T0_E_clISt17integral_constantIbLb0EESX_EEDaSS_ST_EUlSS_E_NS1_11comp_targetILNS1_3genE10ELNS1_11target_archE1201ELNS1_3gpuE5ELNS1_3repE0EEENS1_30default_config_static_selectorELNS0_4arch9wavefront6targetE1EEEvT1_,"axG",@progbits,_ZN7rocprim17ROCPRIM_400000_NS6detail17trampoline_kernelINS0_14default_configENS1_27scan_by_key_config_selectorIiiEEZZNS1_16scan_by_key_implILNS1_25lookback_scan_determinismE0ELb0ES3_PKiN6hipcub16HIPCUB_304000_NS21ConstantInputIteratorIilEEPiiNSB_3SumENSB_8EqualityEiEE10hipError_tPvRmT2_T3_T4_T5_mT6_T7_P12ihipStream_tbENKUlT_T0_E_clISt17integral_constantIbLb0EESX_EEDaSS_ST_EUlSS_E_NS1_11comp_targetILNS1_3genE10ELNS1_11target_archE1201ELNS1_3gpuE5ELNS1_3repE0EEENS1_30default_config_static_selectorELNS0_4arch9wavefront6targetE1EEEvT1_,comdat
	.protected	_ZN7rocprim17ROCPRIM_400000_NS6detail17trampoline_kernelINS0_14default_configENS1_27scan_by_key_config_selectorIiiEEZZNS1_16scan_by_key_implILNS1_25lookback_scan_determinismE0ELb0ES3_PKiN6hipcub16HIPCUB_304000_NS21ConstantInputIteratorIilEEPiiNSB_3SumENSB_8EqualityEiEE10hipError_tPvRmT2_T3_T4_T5_mT6_T7_P12ihipStream_tbENKUlT_T0_E_clISt17integral_constantIbLb0EESX_EEDaSS_ST_EUlSS_E_NS1_11comp_targetILNS1_3genE10ELNS1_11target_archE1201ELNS1_3gpuE5ELNS1_3repE0EEENS1_30default_config_static_selectorELNS0_4arch9wavefront6targetE1EEEvT1_ ; -- Begin function _ZN7rocprim17ROCPRIM_400000_NS6detail17trampoline_kernelINS0_14default_configENS1_27scan_by_key_config_selectorIiiEEZZNS1_16scan_by_key_implILNS1_25lookback_scan_determinismE0ELb0ES3_PKiN6hipcub16HIPCUB_304000_NS21ConstantInputIteratorIilEEPiiNSB_3SumENSB_8EqualityEiEE10hipError_tPvRmT2_T3_T4_T5_mT6_T7_P12ihipStream_tbENKUlT_T0_E_clISt17integral_constantIbLb0EESX_EEDaSS_ST_EUlSS_E_NS1_11comp_targetILNS1_3genE10ELNS1_11target_archE1201ELNS1_3gpuE5ELNS1_3repE0EEENS1_30default_config_static_selectorELNS0_4arch9wavefront6targetE1EEEvT1_
	.globl	_ZN7rocprim17ROCPRIM_400000_NS6detail17trampoline_kernelINS0_14default_configENS1_27scan_by_key_config_selectorIiiEEZZNS1_16scan_by_key_implILNS1_25lookback_scan_determinismE0ELb0ES3_PKiN6hipcub16HIPCUB_304000_NS21ConstantInputIteratorIilEEPiiNSB_3SumENSB_8EqualityEiEE10hipError_tPvRmT2_T3_T4_T5_mT6_T7_P12ihipStream_tbENKUlT_T0_E_clISt17integral_constantIbLb0EESX_EEDaSS_ST_EUlSS_E_NS1_11comp_targetILNS1_3genE10ELNS1_11target_archE1201ELNS1_3gpuE5ELNS1_3repE0EEENS1_30default_config_static_selectorELNS0_4arch9wavefront6targetE1EEEvT1_
	.p2align	8
	.type	_ZN7rocprim17ROCPRIM_400000_NS6detail17trampoline_kernelINS0_14default_configENS1_27scan_by_key_config_selectorIiiEEZZNS1_16scan_by_key_implILNS1_25lookback_scan_determinismE0ELb0ES3_PKiN6hipcub16HIPCUB_304000_NS21ConstantInputIteratorIilEEPiiNSB_3SumENSB_8EqualityEiEE10hipError_tPvRmT2_T3_T4_T5_mT6_T7_P12ihipStream_tbENKUlT_T0_E_clISt17integral_constantIbLb0EESX_EEDaSS_ST_EUlSS_E_NS1_11comp_targetILNS1_3genE10ELNS1_11target_archE1201ELNS1_3gpuE5ELNS1_3repE0EEENS1_30default_config_static_selectorELNS0_4arch9wavefront6targetE1EEEvT1_,@function
_ZN7rocprim17ROCPRIM_400000_NS6detail17trampoline_kernelINS0_14default_configENS1_27scan_by_key_config_selectorIiiEEZZNS1_16scan_by_key_implILNS1_25lookback_scan_determinismE0ELb0ES3_PKiN6hipcub16HIPCUB_304000_NS21ConstantInputIteratorIilEEPiiNSB_3SumENSB_8EqualityEiEE10hipError_tPvRmT2_T3_T4_T5_mT6_T7_P12ihipStream_tbENKUlT_T0_E_clISt17integral_constantIbLb0EESX_EEDaSS_ST_EUlSS_E_NS1_11comp_targetILNS1_3genE10ELNS1_11target_archE1201ELNS1_3gpuE5ELNS1_3repE0EEENS1_30default_config_static_selectorELNS0_4arch9wavefront6targetE1EEEvT1_: ; @_ZN7rocprim17ROCPRIM_400000_NS6detail17trampoline_kernelINS0_14default_configENS1_27scan_by_key_config_selectorIiiEEZZNS1_16scan_by_key_implILNS1_25lookback_scan_determinismE0ELb0ES3_PKiN6hipcub16HIPCUB_304000_NS21ConstantInputIteratorIilEEPiiNSB_3SumENSB_8EqualityEiEE10hipError_tPvRmT2_T3_T4_T5_mT6_T7_P12ihipStream_tbENKUlT_T0_E_clISt17integral_constantIbLb0EESX_EEDaSS_ST_EUlSS_E_NS1_11comp_targetILNS1_3genE10ELNS1_11target_archE1201ELNS1_3gpuE5ELNS1_3repE0EEENS1_30default_config_static_selectorELNS0_4arch9wavefront6targetE1EEEvT1_
; %bb.0:
	.section	.rodata,"a",@progbits
	.p2align	6, 0x0
	.amdhsa_kernel _ZN7rocprim17ROCPRIM_400000_NS6detail17trampoline_kernelINS0_14default_configENS1_27scan_by_key_config_selectorIiiEEZZNS1_16scan_by_key_implILNS1_25lookback_scan_determinismE0ELb0ES3_PKiN6hipcub16HIPCUB_304000_NS21ConstantInputIteratorIilEEPiiNSB_3SumENSB_8EqualityEiEE10hipError_tPvRmT2_T3_T4_T5_mT6_T7_P12ihipStream_tbENKUlT_T0_E_clISt17integral_constantIbLb0EESX_EEDaSS_ST_EUlSS_E_NS1_11comp_targetILNS1_3genE10ELNS1_11target_archE1201ELNS1_3gpuE5ELNS1_3repE0EEENS1_30default_config_static_selectorELNS0_4arch9wavefront6targetE1EEEvT1_
		.amdhsa_group_segment_fixed_size 0
		.amdhsa_private_segment_fixed_size 0
		.amdhsa_kernarg_size 120
		.amdhsa_user_sgpr_count 2
		.amdhsa_user_sgpr_dispatch_ptr 0
		.amdhsa_user_sgpr_queue_ptr 0
		.amdhsa_user_sgpr_kernarg_segment_ptr 1
		.amdhsa_user_sgpr_dispatch_id 0
		.amdhsa_user_sgpr_kernarg_preload_length 0
		.amdhsa_user_sgpr_kernarg_preload_offset 0
		.amdhsa_user_sgpr_private_segment_size 0
		.amdhsa_uses_dynamic_stack 0
		.amdhsa_enable_private_segment 0
		.amdhsa_system_sgpr_workgroup_id_x 1
		.amdhsa_system_sgpr_workgroup_id_y 0
		.amdhsa_system_sgpr_workgroup_id_z 0
		.amdhsa_system_sgpr_workgroup_info 0
		.amdhsa_system_vgpr_workitem_id 0
		.amdhsa_next_free_vgpr 1
		.amdhsa_next_free_sgpr 0
		.amdhsa_accum_offset 4
		.amdhsa_reserve_vcc 0
		.amdhsa_float_round_mode_32 0
		.amdhsa_float_round_mode_16_64 0
		.amdhsa_float_denorm_mode_32 3
		.amdhsa_float_denorm_mode_16_64 3
		.amdhsa_dx10_clamp 1
		.amdhsa_ieee_mode 1
		.amdhsa_fp16_overflow 0
		.amdhsa_tg_split 0
		.amdhsa_exception_fp_ieee_invalid_op 0
		.amdhsa_exception_fp_denorm_src 0
		.amdhsa_exception_fp_ieee_div_zero 0
		.amdhsa_exception_fp_ieee_overflow 0
		.amdhsa_exception_fp_ieee_underflow 0
		.amdhsa_exception_fp_ieee_inexact 0
		.amdhsa_exception_int_div_zero 0
	.end_amdhsa_kernel
	.section	.text._ZN7rocprim17ROCPRIM_400000_NS6detail17trampoline_kernelINS0_14default_configENS1_27scan_by_key_config_selectorIiiEEZZNS1_16scan_by_key_implILNS1_25lookback_scan_determinismE0ELb0ES3_PKiN6hipcub16HIPCUB_304000_NS21ConstantInputIteratorIilEEPiiNSB_3SumENSB_8EqualityEiEE10hipError_tPvRmT2_T3_T4_T5_mT6_T7_P12ihipStream_tbENKUlT_T0_E_clISt17integral_constantIbLb0EESX_EEDaSS_ST_EUlSS_E_NS1_11comp_targetILNS1_3genE10ELNS1_11target_archE1201ELNS1_3gpuE5ELNS1_3repE0EEENS1_30default_config_static_selectorELNS0_4arch9wavefront6targetE1EEEvT1_,"axG",@progbits,_ZN7rocprim17ROCPRIM_400000_NS6detail17trampoline_kernelINS0_14default_configENS1_27scan_by_key_config_selectorIiiEEZZNS1_16scan_by_key_implILNS1_25lookback_scan_determinismE0ELb0ES3_PKiN6hipcub16HIPCUB_304000_NS21ConstantInputIteratorIilEEPiiNSB_3SumENSB_8EqualityEiEE10hipError_tPvRmT2_T3_T4_T5_mT6_T7_P12ihipStream_tbENKUlT_T0_E_clISt17integral_constantIbLb0EESX_EEDaSS_ST_EUlSS_E_NS1_11comp_targetILNS1_3genE10ELNS1_11target_archE1201ELNS1_3gpuE5ELNS1_3repE0EEENS1_30default_config_static_selectorELNS0_4arch9wavefront6targetE1EEEvT1_,comdat
.Lfunc_end11:
	.size	_ZN7rocprim17ROCPRIM_400000_NS6detail17trampoline_kernelINS0_14default_configENS1_27scan_by_key_config_selectorIiiEEZZNS1_16scan_by_key_implILNS1_25lookback_scan_determinismE0ELb0ES3_PKiN6hipcub16HIPCUB_304000_NS21ConstantInputIteratorIilEEPiiNSB_3SumENSB_8EqualityEiEE10hipError_tPvRmT2_T3_T4_T5_mT6_T7_P12ihipStream_tbENKUlT_T0_E_clISt17integral_constantIbLb0EESX_EEDaSS_ST_EUlSS_E_NS1_11comp_targetILNS1_3genE10ELNS1_11target_archE1201ELNS1_3gpuE5ELNS1_3repE0EEENS1_30default_config_static_selectorELNS0_4arch9wavefront6targetE1EEEvT1_, .Lfunc_end11-_ZN7rocprim17ROCPRIM_400000_NS6detail17trampoline_kernelINS0_14default_configENS1_27scan_by_key_config_selectorIiiEEZZNS1_16scan_by_key_implILNS1_25lookback_scan_determinismE0ELb0ES3_PKiN6hipcub16HIPCUB_304000_NS21ConstantInputIteratorIilEEPiiNSB_3SumENSB_8EqualityEiEE10hipError_tPvRmT2_T3_T4_T5_mT6_T7_P12ihipStream_tbENKUlT_T0_E_clISt17integral_constantIbLb0EESX_EEDaSS_ST_EUlSS_E_NS1_11comp_targetILNS1_3genE10ELNS1_11target_archE1201ELNS1_3gpuE5ELNS1_3repE0EEENS1_30default_config_static_selectorELNS0_4arch9wavefront6targetE1EEEvT1_
                                        ; -- End function
	.section	.AMDGPU.csdata,"",@progbits
; Kernel info:
; codeLenInByte = 0
; NumSgprs: 6
; NumVgprs: 0
; NumAgprs: 0
; TotalNumVgprs: 0
; ScratchSize: 0
; MemoryBound: 0
; FloatMode: 240
; IeeeMode: 1
; LDSByteSize: 0 bytes/workgroup (compile time only)
; SGPRBlocks: 0
; VGPRBlocks: 0
; NumSGPRsForWavesPerEU: 6
; NumVGPRsForWavesPerEU: 1
; AccumOffset: 4
; Occupancy: 8
; WaveLimiterHint : 0
; COMPUTE_PGM_RSRC2:SCRATCH_EN: 0
; COMPUTE_PGM_RSRC2:USER_SGPR: 2
; COMPUTE_PGM_RSRC2:TRAP_HANDLER: 0
; COMPUTE_PGM_RSRC2:TGID_X_EN: 1
; COMPUTE_PGM_RSRC2:TGID_Y_EN: 0
; COMPUTE_PGM_RSRC2:TGID_Z_EN: 0
; COMPUTE_PGM_RSRC2:TIDIG_COMP_CNT: 0
; COMPUTE_PGM_RSRC3_GFX90A:ACCUM_OFFSET: 0
; COMPUTE_PGM_RSRC3_GFX90A:TG_SPLIT: 0
	.section	.text._ZN7rocprim17ROCPRIM_400000_NS6detail17trampoline_kernelINS0_14default_configENS1_27scan_by_key_config_selectorIiiEEZZNS1_16scan_by_key_implILNS1_25lookback_scan_determinismE0ELb0ES3_PKiN6hipcub16HIPCUB_304000_NS21ConstantInputIteratorIilEEPiiNSB_3SumENSB_8EqualityEiEE10hipError_tPvRmT2_T3_T4_T5_mT6_T7_P12ihipStream_tbENKUlT_T0_E_clISt17integral_constantIbLb0EESX_EEDaSS_ST_EUlSS_E_NS1_11comp_targetILNS1_3genE5ELNS1_11target_archE942ELNS1_3gpuE9ELNS1_3repE0EEENS1_30default_config_static_selectorELNS0_4arch9wavefront6targetE1EEEvT1_,"axG",@progbits,_ZN7rocprim17ROCPRIM_400000_NS6detail17trampoline_kernelINS0_14default_configENS1_27scan_by_key_config_selectorIiiEEZZNS1_16scan_by_key_implILNS1_25lookback_scan_determinismE0ELb0ES3_PKiN6hipcub16HIPCUB_304000_NS21ConstantInputIteratorIilEEPiiNSB_3SumENSB_8EqualityEiEE10hipError_tPvRmT2_T3_T4_T5_mT6_T7_P12ihipStream_tbENKUlT_T0_E_clISt17integral_constantIbLb0EESX_EEDaSS_ST_EUlSS_E_NS1_11comp_targetILNS1_3genE5ELNS1_11target_archE942ELNS1_3gpuE9ELNS1_3repE0EEENS1_30default_config_static_selectorELNS0_4arch9wavefront6targetE1EEEvT1_,comdat
	.protected	_ZN7rocprim17ROCPRIM_400000_NS6detail17trampoline_kernelINS0_14default_configENS1_27scan_by_key_config_selectorIiiEEZZNS1_16scan_by_key_implILNS1_25lookback_scan_determinismE0ELb0ES3_PKiN6hipcub16HIPCUB_304000_NS21ConstantInputIteratorIilEEPiiNSB_3SumENSB_8EqualityEiEE10hipError_tPvRmT2_T3_T4_T5_mT6_T7_P12ihipStream_tbENKUlT_T0_E_clISt17integral_constantIbLb0EESX_EEDaSS_ST_EUlSS_E_NS1_11comp_targetILNS1_3genE5ELNS1_11target_archE942ELNS1_3gpuE9ELNS1_3repE0EEENS1_30default_config_static_selectorELNS0_4arch9wavefront6targetE1EEEvT1_ ; -- Begin function _ZN7rocprim17ROCPRIM_400000_NS6detail17trampoline_kernelINS0_14default_configENS1_27scan_by_key_config_selectorIiiEEZZNS1_16scan_by_key_implILNS1_25lookback_scan_determinismE0ELb0ES3_PKiN6hipcub16HIPCUB_304000_NS21ConstantInputIteratorIilEEPiiNSB_3SumENSB_8EqualityEiEE10hipError_tPvRmT2_T3_T4_T5_mT6_T7_P12ihipStream_tbENKUlT_T0_E_clISt17integral_constantIbLb0EESX_EEDaSS_ST_EUlSS_E_NS1_11comp_targetILNS1_3genE5ELNS1_11target_archE942ELNS1_3gpuE9ELNS1_3repE0EEENS1_30default_config_static_selectorELNS0_4arch9wavefront6targetE1EEEvT1_
	.globl	_ZN7rocprim17ROCPRIM_400000_NS6detail17trampoline_kernelINS0_14default_configENS1_27scan_by_key_config_selectorIiiEEZZNS1_16scan_by_key_implILNS1_25lookback_scan_determinismE0ELb0ES3_PKiN6hipcub16HIPCUB_304000_NS21ConstantInputIteratorIilEEPiiNSB_3SumENSB_8EqualityEiEE10hipError_tPvRmT2_T3_T4_T5_mT6_T7_P12ihipStream_tbENKUlT_T0_E_clISt17integral_constantIbLb0EESX_EEDaSS_ST_EUlSS_E_NS1_11comp_targetILNS1_3genE5ELNS1_11target_archE942ELNS1_3gpuE9ELNS1_3repE0EEENS1_30default_config_static_selectorELNS0_4arch9wavefront6targetE1EEEvT1_
	.p2align	8
	.type	_ZN7rocprim17ROCPRIM_400000_NS6detail17trampoline_kernelINS0_14default_configENS1_27scan_by_key_config_selectorIiiEEZZNS1_16scan_by_key_implILNS1_25lookback_scan_determinismE0ELb0ES3_PKiN6hipcub16HIPCUB_304000_NS21ConstantInputIteratorIilEEPiiNSB_3SumENSB_8EqualityEiEE10hipError_tPvRmT2_T3_T4_T5_mT6_T7_P12ihipStream_tbENKUlT_T0_E_clISt17integral_constantIbLb0EESX_EEDaSS_ST_EUlSS_E_NS1_11comp_targetILNS1_3genE5ELNS1_11target_archE942ELNS1_3gpuE9ELNS1_3repE0EEENS1_30default_config_static_selectorELNS0_4arch9wavefront6targetE1EEEvT1_,@function
_ZN7rocprim17ROCPRIM_400000_NS6detail17trampoline_kernelINS0_14default_configENS1_27scan_by_key_config_selectorIiiEEZZNS1_16scan_by_key_implILNS1_25lookback_scan_determinismE0ELb0ES3_PKiN6hipcub16HIPCUB_304000_NS21ConstantInputIteratorIilEEPiiNSB_3SumENSB_8EqualityEiEE10hipError_tPvRmT2_T3_T4_T5_mT6_T7_P12ihipStream_tbENKUlT_T0_E_clISt17integral_constantIbLb0EESX_EEDaSS_ST_EUlSS_E_NS1_11comp_targetILNS1_3genE5ELNS1_11target_archE942ELNS1_3gpuE9ELNS1_3repE0EEENS1_30default_config_static_selectorELNS0_4arch9wavefront6targetE1EEEvT1_: ; @_ZN7rocprim17ROCPRIM_400000_NS6detail17trampoline_kernelINS0_14default_configENS1_27scan_by_key_config_selectorIiiEEZZNS1_16scan_by_key_implILNS1_25lookback_scan_determinismE0ELb0ES3_PKiN6hipcub16HIPCUB_304000_NS21ConstantInputIteratorIilEEPiiNSB_3SumENSB_8EqualityEiEE10hipError_tPvRmT2_T3_T4_T5_mT6_T7_P12ihipStream_tbENKUlT_T0_E_clISt17integral_constantIbLb0EESX_EEDaSS_ST_EUlSS_E_NS1_11comp_targetILNS1_3genE5ELNS1_11target_archE942ELNS1_3gpuE9ELNS1_3repE0EEENS1_30default_config_static_selectorELNS0_4arch9wavefront6targetE1EEEvT1_
; %bb.0:
	s_load_dwordx2 s[70:71], s[0:1], 0x40
	s_load_dword s8, s[0:1], 0x48
	s_load_dwordx4 s[64:67], s[0:1], 0x30
	s_load_dwordx4 s[4:7], s[0:1], 0x0
	s_load_dword s3, s[0:1], 0x10
	s_load_dwordx8 s[56:63], s[0:1], 0x50
	s_waitcnt lgkmcnt(0)
	s_mul_i32 s9, s71, s8
	s_mul_hi_u32 s10, s70, s8
	s_add_i32 s11, s10, s9
	s_lshl_b64 s[68:69], s[6:7], 2
	s_add_u32 s6, s4, s68
	s_addc_u32 s7, s5, s69
	s_cmp_lg_u64 s[60:61], 0
	s_mul_i32 s4, s2, 0x1700
	s_mov_b32 s5, 0
	s_mul_i32 s10, s70, s8
	s_cselect_b64 s[8:9], -1, 0
	s_lshl_b64 s[60:61], s[4:5], 2
	s_add_u32 s6, s6, s60
	s_addc_u32 s7, s7, s61
	s_add_u32 s10, s10, s2
	s_addc_u32 s11, s11, 0
	s_add_u32 s4, s56, -1
	s_addc_u32 s5, s57, -1
	v_mov_b64_e32 v[2:3], s[4:5]
	v_cmp_ge_u64_e64 s[54:55], s[10:11], v[2:3]
	s_mov_b64 s[16:17], 0
	s_mov_b64 s[12:13], -1
	s_and_b64 vcc, exec, s[54:55]
	s_mul_i32 s33, s4, 0xffffe900
	s_barrier
	s_cbranch_vccz .LBB12_98
; %bb.1:
	s_load_dword s12, s[6:7], 0x0
	s_add_i32 s67, s33, s66
	v_cmp_gt_u32_e32 vcc, s67, v0
	s_waitcnt lgkmcnt(0)
	v_mov_b32_e32 v1, s12
	s_and_saveexec_b64 s[4:5], vcc
	s_cbranch_execz .LBB12_3
; %bb.2:
	v_lshlrev_b32_e32 v1, 2, v0
	global_load_dword v1, v1, s[6:7]
.LBB12_3:
	s_or_b64 exec, exec, s[4:5]
	v_or_b32_e32 v2, 0x100, v0
	v_cmp_gt_u32_e32 vcc, s67, v2
	v_mov_b32_e32 v2, s12
	s_and_saveexec_b64 s[4:5], vcc
	s_cbranch_execz .LBB12_5
; %bb.4:
	v_lshlrev_b32_e32 v2, 2, v0
	global_load_dword v2, v2, s[6:7] offset:1024
.LBB12_5:
	s_or_b64 exec, exec, s[4:5]
	v_or_b32_e32 v3, 0x200, v0
	v_cmp_gt_u32_e32 vcc, s67, v3
	v_mov_b32_e32 v3, s12
	s_and_saveexec_b64 s[4:5], vcc
	s_cbranch_execz .LBB12_7
; %bb.6:
	v_lshlrev_b32_e32 v3, 2, v0
	global_load_dword v3, v3, s[6:7] offset:2048
.LBB12_7:
	;; [unrolled: 10-line block ×3, first 2 shown]
	s_or_b64 exec, exec, s[4:5]
	v_or_b32_e32 v6, 0x400, v0
	v_cmp_gt_u32_e32 vcc, s67, v6
	v_mov_b32_e32 v5, s12
	s_and_saveexec_b64 s[4:5], vcc
	s_cbranch_execz .LBB12_11
; %bb.10:
	v_lshlrev_b32_e32 v5, 2, v6
	global_load_dword v5, v5, s[6:7]
.LBB12_11:
	s_or_b64 exec, exec, s[4:5]
	v_or_b32_e32 v7, 0x500, v0
	v_cmp_gt_u32_e32 vcc, s67, v7
	v_mov_b32_e32 v6, s12
	s_and_saveexec_b64 s[4:5], vcc
	s_cbranch_execz .LBB12_13
; %bb.12:
	v_lshlrev_b32_e32 v6, 2, v7
	global_load_dword v6, v6, s[6:7]
.LBB12_13:
	;; [unrolled: 10-line block ×19, first 2 shown]
	s_or_b64 exec, exec, s[4:5]
	v_lshlrev_b32_e32 v18, 2, v0
	s_movk_i32 s4, 0x58
	s_waitcnt vmcnt(0)
	ds_write2st64_b32 v18, v1, v2 offset1:4
	ds_write2st64_b32 v18, v3, v4 offset0:8 offset1:12
	ds_write2st64_b32 v18, v5, v6 offset0:16 offset1:20
	;; [unrolled: 1-line block ×10, first 2 shown]
	ds_write_b32 v18, v24 offset:22528
	v_mad_u32_u24 v1, v0, s4, v18
	s_waitcnt lgkmcnt(0)
	s_barrier
	ds_read2_b32 v[68:69], v1 offset1:1
	ds_read2_b32 v[66:67], v1 offset0:2 offset1:3
	ds_read2_b32 v[64:65], v1 offset0:4 offset1:5
	;; [unrolled: 1-line block ×10, first 2 shown]
	ds_read_b32 v72, v1 offset:88
	s_cmp_eq_u64 s[10:11], 0
	s_mov_b64 s[4:5], s[6:7]
	s_cbranch_scc1 .LBB12_51
; %bb.48:
	s_andn2_b64 vcc, exec, s[8:9]
	s_cbranch_vccnz .LBB12_217
; %bb.49:
	s_lshl_b64 s[4:5], s[10:11], 2
	s_add_u32 s4, s62, s4
	s_addc_u32 s5, s63, s5
	s_add_u32 s4, s4, -4
	s_addc_u32 s5, s5, -1
	s_cbranch_execnz .LBB12_51
.LBB12_50:
	s_add_u32 s4, s6, -4
	s_addc_u32 s5, s7, -1
.LBB12_51:
	s_load_dword s4, s[4:5], 0x0
	s_movk_i32 s5, 0xffa8
	v_mad_i32_i24 v2, v0, s5, v1
	s_waitcnt lgkmcnt(0)
	ds_write_b32 v2, v72 offset:23552
	v_cmp_ne_u32_e32 vcc, 0, v0
	v_mov_b32_e32 v2, s4
	s_waitcnt lgkmcnt(0)
	s_barrier
	s_and_saveexec_b64 s[4:5], vcc
	s_cbranch_execz .LBB12_53
; %bb.52:
	v_mul_i32_i24_e32 v2, 0xffffffa8, v0
	v_add_u32_e32 v2, v1, v2
	ds_read_b32 v2, v2 offset:23548
.LBB12_53:
	s_or_b64 exec, exec, s[4:5]
	v_mul_u32_u24_e32 v73, 23, v0
	v_mov_b32_e32 v3, s3
	v_mov_b64_e32 v[10:11], 0
	s_waitcnt lgkmcnt(0)
	s_barrier
	ds_write2st64_b32 v18, v3, v3 offset1:4
	ds_write2st64_b32 v18, v3, v3 offset0:8 offset1:12
	ds_write2st64_b32 v18, v3, v3 offset0:16 offset1:20
	;; [unrolled: 1-line block ×10, first 2 shown]
	ds_write_b32 v18, v3 offset:22528
	v_cmp_gt_u32_e32 vcc, s67, v73
	s_mov_b64 s[12:13], 0
	v_mov_b64_e32 v[12:13], v[10:11]
	v_mov_b64_e32 v[14:15], v[10:11]
	;; [unrolled: 1-line block ×21, first 2 shown]
	s_waitcnt lgkmcnt(0)
	s_barrier
	s_waitcnt lgkmcnt(0)
                                        ; implicit-def: $sgpr4_sgpr5
                                        ; implicit-def: $vgpr3
	s_and_saveexec_b64 s[14:15], vcc
	s_cbranch_execz .LBB12_97
; %bb.54:
	ds_read_b32 v10, v1
	v_add_u32_e32 v3, 1, v73
	v_cmp_ne_u32_e32 vcc, v2, v68
	v_mov_b64_e32 v[12:13], 0
	s_mov_b64 s[18:19], 0
	v_cndmask_b32_e64 v11, 0, 1, vcc
	v_cmp_gt_u32_e32 vcc, s67, v3
	s_mov_b64 s[4:5], 0
	v_mov_b64_e32 v[14:15], v[12:13]
	v_mov_b64_e32 v[16:17], v[12:13]
	;; [unrolled: 1-line block ×20, first 2 shown]
                                        ; implicit-def: $sgpr20_sgpr21
                                        ; implicit-def: $vgpr3
	s_and_saveexec_b64 s[16:17], vcc
	s_cbranch_execz .LBB12_96
; %bb.55:
	ds_read2_b32 v[70:71], v1 offset0:1 offset1:2
	v_add_u32_e32 v2, 2, v73
	v_cmp_ne_u32_e32 vcc, v68, v69
	v_mov_b64_e32 v[14:15], 0
	s_mov_b64 s[22:23], 0
	v_cndmask_b32_e64 v13, 0, 1, vcc
	v_cmp_gt_u32_e32 vcc, s67, v2
	s_waitcnt lgkmcnt(0)
	v_mov_b32_e32 v12, v70
	v_mov_b64_e32 v[16:17], v[14:15]
	v_mov_b64_e32 v[18:19], v[14:15]
	;; [unrolled: 1-line block ×19, first 2 shown]
                                        ; implicit-def: $sgpr20_sgpr21
                                        ; implicit-def: $vgpr3
	s_and_saveexec_b64 s[18:19], vcc
	s_cbranch_execz .LBB12_95
; %bb.56:
	v_add_u32_e32 v2, 3, v73
	v_cmp_ne_u32_e32 vcc, v69, v66
	v_mov_b64_e32 v[16:17], 0
	v_mov_b32_e32 v14, v71
	v_cndmask_b32_e64 v15, 0, 1, vcc
	v_cmp_gt_u32_e32 vcc, s67, v2
	v_mov_b64_e32 v[18:19], v[16:17]
	v_mov_b64_e32 v[20:21], v[16:17]
	;; [unrolled: 1-line block ×18, first 2 shown]
                                        ; implicit-def: $sgpr24_sgpr25
                                        ; implicit-def: $vgpr3
	s_and_saveexec_b64 s[20:21], vcc
	s_cbranch_execz .LBB12_94
; %bb.57:
	ds_read2_b32 v[68:69], v1 offset0:3 offset1:4
	v_add_u32_e32 v2, 4, v73
	v_cmp_ne_u32_e32 vcc, v66, v67
	v_mov_b64_e32 v[18:19], 0
	s_mov_b64 s[26:27], 0
	v_cndmask_b32_e64 v17, 0, 1, vcc
	v_cmp_gt_u32_e32 vcc, s67, v2
	s_waitcnt lgkmcnt(0)
	v_mov_b32_e32 v16, v68
	v_mov_b64_e32 v[20:21], v[18:19]
	v_mov_b64_e32 v[22:23], v[18:19]
	;; [unrolled: 1-line block ×17, first 2 shown]
                                        ; implicit-def: $sgpr24_sgpr25
                                        ; implicit-def: $vgpr3
	s_and_saveexec_b64 s[22:23], vcc
	s_cbranch_execz .LBB12_93
; %bb.58:
	v_add_u32_e32 v2, 5, v73
	v_cmp_ne_u32_e32 vcc, v67, v64
	v_mov_b64_e32 v[20:21], 0
	v_mov_b32_e32 v18, v69
	v_cndmask_b32_e64 v19, 0, 1, vcc
	v_cmp_gt_u32_e32 vcc, s67, v2
	v_mov_b64_e32 v[22:23], v[20:21]
	v_mov_b64_e32 v[24:25], v[20:21]
	;; [unrolled: 1-line block ×16, first 2 shown]
                                        ; implicit-def: $sgpr28_sgpr29
                                        ; implicit-def: $vgpr3
	s_and_saveexec_b64 s[24:25], vcc
	s_cbranch_execz .LBB12_92
; %bb.59:
	ds_read2_b32 v[66:67], v1 offset0:5 offset1:6
	v_add_u32_e32 v2, 6, v73
	v_cmp_ne_u32_e32 vcc, v64, v65
	v_mov_b64_e32 v[22:23], 0
	s_mov_b64 s[30:31], 0
	v_cndmask_b32_e64 v21, 0, 1, vcc
	v_cmp_gt_u32_e32 vcc, s67, v2
	s_waitcnt lgkmcnt(0)
	v_mov_b32_e32 v20, v66
	v_mov_b64_e32 v[24:25], v[22:23]
	v_mov_b64_e32 v[26:27], v[22:23]
	;; [unrolled: 1-line block ×15, first 2 shown]
                                        ; implicit-def: $sgpr28_sgpr29
                                        ; implicit-def: $vgpr3
	s_and_saveexec_b64 s[26:27], vcc
	s_cbranch_execz .LBB12_91
; %bb.60:
	v_add_u32_e32 v2, 7, v73
	v_cmp_ne_u32_e32 vcc, v65, v62
	v_mov_b64_e32 v[24:25], 0
	v_mov_b32_e32 v22, v67
	v_cndmask_b32_e64 v23, 0, 1, vcc
	v_cmp_gt_u32_e32 vcc, s67, v2
	v_mov_b64_e32 v[26:27], v[24:25]
	v_mov_b64_e32 v[28:29], v[24:25]
	;; [unrolled: 1-line block ×14, first 2 shown]
                                        ; implicit-def: $sgpr34_sgpr35
                                        ; implicit-def: $vgpr3
	s_and_saveexec_b64 s[28:29], vcc
	s_cbranch_execz .LBB12_90
; %bb.61:
	ds_read2_b32 v[64:65], v1 offset0:7 offset1:8
	v_add_u32_e32 v2, 8, v73
	v_cmp_ne_u32_e32 vcc, v62, v63
	v_mov_b64_e32 v[26:27], 0
	s_mov_b64 s[36:37], 0
	v_cndmask_b32_e64 v25, 0, 1, vcc
	v_cmp_gt_u32_e32 vcc, s67, v2
	s_waitcnt lgkmcnt(0)
	v_mov_b32_e32 v24, v64
	v_mov_b64_e32 v[28:29], v[26:27]
	v_mov_b64_e32 v[30:31], v[26:27]
	;; [unrolled: 1-line block ×13, first 2 shown]
                                        ; implicit-def: $sgpr34_sgpr35
                                        ; implicit-def: $vgpr3
	s_and_saveexec_b64 s[30:31], vcc
	s_cbranch_execz .LBB12_89
; %bb.62:
	v_add_u32_e32 v2, 9, v73
	v_cmp_ne_u32_e32 vcc, v63, v60
	v_mov_b64_e32 v[28:29], 0
	v_mov_b32_e32 v26, v65
	v_cndmask_b32_e64 v27, 0, 1, vcc
	v_cmp_gt_u32_e32 vcc, s67, v2
	v_mov_b64_e32 v[30:31], v[28:29]
	v_mov_b64_e32 v[32:33], v[28:29]
	;; [unrolled: 1-line block ×12, first 2 shown]
                                        ; implicit-def: $sgpr38_sgpr39
                                        ; implicit-def: $vgpr3
	s_and_saveexec_b64 s[34:35], vcc
	s_cbranch_execz .LBB12_88
; %bb.63:
	ds_read2_b32 v[62:63], v1 offset0:9 offset1:10
	v_add_u32_e32 v2, 10, v73
	v_cmp_ne_u32_e32 vcc, v60, v61
	v_mov_b64_e32 v[30:31], 0
	s_mov_b64 s[40:41], 0
	v_cndmask_b32_e64 v29, 0, 1, vcc
	v_cmp_gt_u32_e32 vcc, s67, v2
	s_waitcnt lgkmcnt(0)
	v_mov_b32_e32 v28, v62
	v_mov_b64_e32 v[32:33], v[30:31]
	v_mov_b64_e32 v[34:35], v[30:31]
	;; [unrolled: 1-line block ×11, first 2 shown]
                                        ; implicit-def: $sgpr38_sgpr39
                                        ; implicit-def: $vgpr3
	s_and_saveexec_b64 s[36:37], vcc
	s_cbranch_execz .LBB12_87
; %bb.64:
	v_add_u32_e32 v2, 11, v73
	v_cmp_ne_u32_e32 vcc, v61, v58
	v_mov_b64_e32 v[32:33], 0
	v_mov_b32_e32 v30, v63
	v_cndmask_b32_e64 v31, 0, 1, vcc
	v_cmp_gt_u32_e32 vcc, s67, v2
	v_mov_b64_e32 v[34:35], v[32:33]
	v_mov_b64_e32 v[36:37], v[32:33]
	;; [unrolled: 1-line block ×10, first 2 shown]
                                        ; implicit-def: $sgpr42_sgpr43
                                        ; implicit-def: $vgpr3
	s_and_saveexec_b64 s[38:39], vcc
	s_cbranch_execz .LBB12_86
; %bb.65:
	ds_read2_b32 v[60:61], v1 offset0:11 offset1:12
	v_add_u32_e32 v2, 12, v73
	v_cmp_ne_u32_e32 vcc, v58, v59
	v_mov_b64_e32 v[34:35], 0
	s_mov_b64 s[44:45], 0
	v_cndmask_b32_e64 v33, 0, 1, vcc
	v_cmp_gt_u32_e32 vcc, s67, v2
	s_waitcnt lgkmcnt(0)
	v_mov_b32_e32 v32, v60
	v_mov_b64_e32 v[36:37], v[34:35]
	v_mov_b64_e32 v[38:39], v[34:35]
	;; [unrolled: 1-line block ×9, first 2 shown]
                                        ; implicit-def: $sgpr42_sgpr43
                                        ; implicit-def: $vgpr3
	s_and_saveexec_b64 s[40:41], vcc
	s_cbranch_execz .LBB12_85
; %bb.66:
	v_add_u32_e32 v2, 13, v73
	v_cmp_ne_u32_e32 vcc, v59, v56
	v_mov_b64_e32 v[36:37], 0
	v_mov_b32_e32 v34, v61
	v_cndmask_b32_e64 v35, 0, 1, vcc
	v_cmp_gt_u32_e32 vcc, s67, v2
	v_mov_b64_e32 v[38:39], v[36:37]
	v_mov_b64_e32 v[40:41], v[36:37]
	;; [unrolled: 1-line block ×8, first 2 shown]
                                        ; implicit-def: $sgpr46_sgpr47
                                        ; implicit-def: $vgpr3
	s_and_saveexec_b64 s[42:43], vcc
	s_cbranch_execz .LBB12_84
; %bb.67:
	ds_read2_b32 v[58:59], v1 offset0:13 offset1:14
	v_add_u32_e32 v2, 14, v73
	v_cmp_ne_u32_e32 vcc, v56, v57
	v_mov_b64_e32 v[38:39], 0
	s_mov_b64 s[48:49], 0
	v_cndmask_b32_e64 v37, 0, 1, vcc
	v_cmp_gt_u32_e32 vcc, s67, v2
	s_waitcnt lgkmcnt(0)
	v_mov_b32_e32 v36, v58
	v_mov_b64_e32 v[40:41], v[38:39]
	v_mov_b64_e32 v[42:43], v[38:39]
	;; [unrolled: 1-line block ×7, first 2 shown]
                                        ; implicit-def: $sgpr46_sgpr47
                                        ; implicit-def: $vgpr3
	s_and_saveexec_b64 s[44:45], vcc
	s_cbranch_execz .LBB12_83
; %bb.68:
	v_add_u32_e32 v2, 15, v73
	v_cmp_ne_u32_e32 vcc, v57, v54
	v_mov_b64_e32 v[40:41], 0
	v_mov_b32_e32 v38, v59
	v_cndmask_b32_e64 v39, 0, 1, vcc
	v_cmp_gt_u32_e32 vcc, s67, v2
	v_mov_b64_e32 v[42:43], v[40:41]
	v_mov_b64_e32 v[44:45], v[40:41]
	;; [unrolled: 1-line block ×6, first 2 shown]
                                        ; implicit-def: $sgpr50_sgpr51
                                        ; implicit-def: $vgpr3
	s_and_saveexec_b64 s[46:47], vcc
	s_cbranch_execz .LBB12_82
; %bb.69:
	ds_read2_b32 v[56:57], v1 offset0:15 offset1:16
	v_add_u32_e32 v2, 16, v73
	v_cmp_ne_u32_e32 vcc, v54, v55
	v_mov_b64_e32 v[42:43], 0
	s_mov_b64 s[52:53], 0
	v_cndmask_b32_e64 v41, 0, 1, vcc
	v_cmp_gt_u32_e32 vcc, s67, v2
	s_waitcnt lgkmcnt(0)
	v_mov_b32_e32 v40, v56
	v_mov_b64_e32 v[44:45], v[42:43]
	v_mov_b64_e32 v[46:47], v[42:43]
	;; [unrolled: 1-line block ×5, first 2 shown]
                                        ; implicit-def: $sgpr50_sgpr51
                                        ; implicit-def: $vgpr3
	s_and_saveexec_b64 s[48:49], vcc
	s_cbranch_execz .LBB12_81
; %bb.70:
	v_add_u32_e32 v2, 17, v73
	v_cmp_ne_u32_e32 vcc, v55, v8
	v_mov_b64_e32 v[44:45], 0
	v_mov_b32_e32 v42, v57
	v_cndmask_b32_e64 v43, 0, 1, vcc
	v_cmp_gt_u32_e32 vcc, s67, v2
	v_mov_b64_e32 v[46:47], v[44:45]
	v_mov_b64_e32 v[48:49], v[44:45]
	;; [unrolled: 1-line block ×4, first 2 shown]
                                        ; implicit-def: $sgpr56_sgpr57
                                        ; implicit-def: $vgpr3
	s_and_saveexec_b64 s[50:51], vcc
	s_cbranch_execz .LBB12_80
; %bb.71:
	ds_read2_b32 v[54:55], v1 offset0:17 offset1:18
	v_add_u32_e32 v2, 18, v73
	v_cmp_ne_u32_e32 vcc, v8, v9
	v_mov_b64_e32 v[46:47], 0
	s_mov_b64 s[72:73], 0
	v_cndmask_b32_e64 v45, 0, 1, vcc
	v_cmp_gt_u32_e32 vcc, s67, v2
	s_waitcnt lgkmcnt(0)
	v_mov_b32_e32 v44, v54
	v_mov_b64_e32 v[48:49], v[46:47]
	v_mov_b64_e32 v[50:51], v[46:47]
	;; [unrolled: 1-line block ×3, first 2 shown]
                                        ; implicit-def: $sgpr56_sgpr57
                                        ; implicit-def: $vgpr3
	s_and_saveexec_b64 s[52:53], vcc
	s_cbranch_execz .LBB12_79
; %bb.72:
	v_add_u32_e32 v2, 19, v73
	v_cmp_ne_u32_e32 vcc, v9, v6
	v_mov_b64_e32 v[48:49], 0
	v_mov_b32_e32 v46, v55
	v_cndmask_b32_e64 v47, 0, 1, vcc
	v_cmp_gt_u32_e32 vcc, s67, v2
	v_mov_b64_e32 v[50:51], v[48:49]
	v_mov_b64_e32 v[52:53], v[48:49]
                                        ; implicit-def: $sgpr74_sgpr75
                                        ; implicit-def: $vgpr3
	s_and_saveexec_b64 s[56:57], vcc
	s_cbranch_execz .LBB12_78
; %bb.73:
	ds_read2_b32 v[8:9], v1 offset0:19 offset1:20
	v_add_u32_e32 v2, 20, v73
	v_cmp_ne_u32_e32 vcc, v6, v7
	v_mov_b64_e32 v[50:51], 0
	s_mov_b64 s[74:75], 0
	v_cndmask_b32_e64 v49, 0, 1, vcc
	v_cmp_gt_u32_e32 vcc, s67, v2
	s_waitcnt lgkmcnt(0)
	v_mov_b32_e32 v48, v8
	v_mov_b64_e32 v[52:53], v[50:51]
                                        ; implicit-def: $sgpr76_sgpr77
                                        ; implicit-def: $vgpr3
	s_and_saveexec_b64 s[72:73], vcc
	s_cbranch_execz .LBB12_77
; %bb.74:
	v_add_u32_e32 v2, 21, v73
	v_cmp_ne_u32_e32 vcc, v7, v4
	v_mov_b32_e32 v50, v9
	v_mov_b64_e32 v[52:53], 0
	v_cndmask_b32_e64 v51, 0, 1, vcc
	v_cmp_gt_u32_e32 vcc, s67, v2
                                        ; implicit-def: $sgpr76_sgpr77
                                        ; implicit-def: $vgpr3
	s_and_saveexec_b64 s[4:5], vcc
	s_xor_b64 s[78:79], exec, s[4:5]
	s_cbranch_execz .LBB12_76
; %bb.75:
	ds_read2_b32 v[2:3], v1 offset0:21 offset1:22
	v_add_u32_e32 v1, 22, v73
	v_cmp_ne_u32_e64 s[4:5], v4, v5
	v_cmp_ne_u32_e32 vcc, v5, v72
	s_and_b64 s[76:77], vcc, exec
	v_cndmask_b32_e64 v53, 0, 1, s[4:5]
	v_cmp_gt_u32_e64 s[4:5], s67, v1
	s_waitcnt lgkmcnt(0)
	v_mov_b32_e32 v52, v2
	s_and_b64 s[74:75], s[4:5], exec
.LBB12_76:
	s_or_b64 exec, exec, s[78:79]
	s_and_b64 s[76:77], s[76:77], exec
	s_and_b64 s[4:5], s[74:75], exec
.LBB12_77:
	s_or_b64 exec, exec, s[72:73]
	s_and_b64 s[74:75], s[76:77], exec
	s_and_b64 s[72:73], s[4:5], exec
.LBB12_78:
	s_or_b64 exec, exec, s[56:57]
	s_and_b64 s[56:57], s[74:75], exec
	s_and_b64 s[4:5], s[72:73], exec
.LBB12_79:
	s_or_b64 exec, exec, s[52:53]
	s_and_b64 s[56:57], s[56:57], exec
	s_and_b64 s[52:53], s[4:5], exec
.LBB12_80:
	s_or_b64 exec, exec, s[50:51]
	s_and_b64 s[50:51], s[56:57], exec
	s_and_b64 s[4:5], s[52:53], exec
.LBB12_81:
	s_or_b64 exec, exec, s[48:49]
	s_and_b64 s[50:51], s[50:51], exec
	s_and_b64 s[48:49], s[4:5], exec
.LBB12_82:
	s_or_b64 exec, exec, s[46:47]
	s_and_b64 s[46:47], s[50:51], exec
	s_and_b64 s[4:5], s[48:49], exec
.LBB12_83:
	s_or_b64 exec, exec, s[44:45]
	s_and_b64 s[46:47], s[46:47], exec
	s_and_b64 s[44:45], s[4:5], exec
.LBB12_84:
	s_or_b64 exec, exec, s[42:43]
	s_and_b64 s[42:43], s[46:47], exec
	s_and_b64 s[4:5], s[44:45], exec
.LBB12_85:
	s_or_b64 exec, exec, s[40:41]
	s_and_b64 s[42:43], s[42:43], exec
	s_and_b64 s[40:41], s[4:5], exec
.LBB12_86:
	s_or_b64 exec, exec, s[38:39]
	s_and_b64 s[38:39], s[42:43], exec
	s_and_b64 s[4:5], s[40:41], exec
.LBB12_87:
	s_or_b64 exec, exec, s[36:37]
	s_and_b64 s[38:39], s[38:39], exec
	s_and_b64 s[36:37], s[4:5], exec
.LBB12_88:
	s_or_b64 exec, exec, s[34:35]
	s_and_b64 s[34:35], s[38:39], exec
	s_and_b64 s[4:5], s[36:37], exec
.LBB12_89:
	s_or_b64 exec, exec, s[30:31]
	s_and_b64 s[34:35], s[34:35], exec
	s_and_b64 s[30:31], s[4:5], exec
.LBB12_90:
	s_or_b64 exec, exec, s[28:29]
	s_and_b64 s[28:29], s[34:35], exec
	s_and_b64 s[4:5], s[30:31], exec
.LBB12_91:
	s_or_b64 exec, exec, s[26:27]
	s_and_b64 s[28:29], s[28:29], exec
	s_and_b64 s[26:27], s[4:5], exec
.LBB12_92:
	s_or_b64 exec, exec, s[24:25]
	s_and_b64 s[24:25], s[28:29], exec
	s_and_b64 s[4:5], s[26:27], exec
.LBB12_93:
	s_or_b64 exec, exec, s[22:23]
	s_and_b64 s[24:25], s[24:25], exec
	s_and_b64 s[22:23], s[4:5], exec
.LBB12_94:
	s_or_b64 exec, exec, s[20:21]
	s_and_b64 s[20:21], s[24:25], exec
	s_and_b64 s[4:5], s[22:23], exec
.LBB12_95:
	s_or_b64 exec, exec, s[18:19]
	s_and_b64 s[20:21], s[20:21], exec
	s_and_b64 s[18:19], s[4:5], exec
.LBB12_96:
	s_or_b64 exec, exec, s[16:17]
	s_and_b64 s[4:5], s[20:21], exec
	s_and_b64 s[16:17], s[18:19], exec
.LBB12_97:
	s_or_b64 exec, exec, s[14:15]
	s_mov_b64 s[14:15], 0
	s_and_b64 vcc, exec, s[12:13]
	v_lshlrev_b32_e32 v54, 2, v0
	s_cbranch_vccnz .LBB12_99
	s_branch .LBB12_107
.LBB12_98:
                                        ; implicit-def: $sgpr4_sgpr5
                                        ; implicit-def: $vgpr3
                                        ; implicit-def: $vgpr10_vgpr11
                                        ; implicit-def: $vgpr12_vgpr13
                                        ; implicit-def: $vgpr14_vgpr15
                                        ; implicit-def: $vgpr16_vgpr17
                                        ; implicit-def: $vgpr18_vgpr19
                                        ; implicit-def: $vgpr20_vgpr21
                                        ; implicit-def: $vgpr22_vgpr23
                                        ; implicit-def: $vgpr24_vgpr25
                                        ; implicit-def: $vgpr26_vgpr27
                                        ; implicit-def: $vgpr28_vgpr29
                                        ; implicit-def: $vgpr30_vgpr31
                                        ; implicit-def: $vgpr32_vgpr33
                                        ; implicit-def: $vgpr34_vgpr35
                                        ; implicit-def: $vgpr36_vgpr37
                                        ; implicit-def: $vgpr38_vgpr39
                                        ; implicit-def: $vgpr40_vgpr41
                                        ; implicit-def: $vgpr42_vgpr43
                                        ; implicit-def: $vgpr44_vgpr45
                                        ; implicit-def: $vgpr46_vgpr47
                                        ; implicit-def: $vgpr48_vgpr49
                                        ; implicit-def: $vgpr50_vgpr51
                                        ; implicit-def: $vgpr52_vgpr53
                                        ; implicit-def: $sgpr14_sgpr15
	s_and_b64 vcc, exec, s[12:13]
	v_lshlrev_b32_e32 v54, 2, v0
	s_cbranch_vccz .LBB12_107
.LBB12_99:
	v_mov_b32_e32 v55, 0
	v_lshl_add_u64 v[2:3], s[6:7], 0, v[54:55]
	v_add_co_u32_e32 v4, vcc, 0x1000, v2
	global_load_dword v8, v54, s[6:7]
	global_load_dword v9, v54, s[6:7] offset:1024
	s_waitcnt lgkmcnt(0)
	global_load_dword v10, v54, s[6:7] offset:2048
	global_load_dword v11, v54, s[6:7] offset:3072
	v_addc_co_u32_e32 v5, vcc, 0, v3, vcc
	v_add_co_u32_e32 v6, vcc, 0x2000, v2
	s_movk_i32 s4, 0x58
	s_nop 0
	v_addc_co_u32_e32 v7, vcc, 0, v3, vcc
	global_load_dword v12, v[4:5], off
	global_load_dword v13, v[4:5], off offset:1024
	global_load_dword v14, v[4:5], off offset:2048
	;; [unrolled: 1-line block ×3, first 2 shown]
	global_load_dword v16, v[6:7], off
	global_load_dword v17, v[6:7], off offset:1024
	global_load_dword v18, v[6:7], off offset:2048
	;; [unrolled: 1-line block ×3, first 2 shown]
	v_add_co_u32_e32 v4, vcc, 0x3000, v2
	v_mad_u32_u24 v1, v0, s4, v54
	s_nop 0
	v_addc_co_u32_e32 v5, vcc, 0, v3, vcc
	v_add_co_u32_e32 v6, vcc, 0x4000, v2
	s_cmp_eq_u64 s[10:11], 0
	s_nop 0
	v_addc_co_u32_e32 v7, vcc, 0, v3, vcc
	v_add_co_u32_e32 v2, vcc, 0x5000, v2
	global_load_dword v20, v[4:5], off
	global_load_dword v21, v[4:5], off offset:1024
	global_load_dword v22, v[4:5], off offset:2048
	;; [unrolled: 1-line block ×3, first 2 shown]
	global_load_dword v24, v[6:7], off
	global_load_dword v25, v[6:7], off offset:1024
	global_load_dword v26, v[6:7], off offset:2048
	;; [unrolled: 1-line block ×3, first 2 shown]
	v_addc_co_u32_e32 v3, vcc, 0, v3, vcc
	global_load_dword v4, v[2:3], off
	global_load_dword v5, v[2:3], off offset:1024
	global_load_dword v6, v[2:3], off offset:2048
	s_waitcnt vmcnt(21)
	ds_write2st64_b32 v54, v8, v9 offset1:4
	s_waitcnt vmcnt(19)
	ds_write2st64_b32 v54, v10, v11 offset0:8 offset1:12
	s_waitcnt vmcnt(17)
	ds_write2st64_b32 v54, v12, v13 offset0:16 offset1:20
	;; [unrolled: 2-line block ×10, first 2 shown]
	s_waitcnt vmcnt(0)
	ds_write_b32 v54, v6 offset:22528
	s_waitcnt lgkmcnt(0)
	s_barrier
	ds_read2_b32 v[14:15], v1 offset1:1
	ds_read2_b32 v[18:19], v1 offset0:2 offset1:3
	ds_read2_b32 v[22:23], v1 offset0:4 offset1:5
	;; [unrolled: 1-line block ×10, first 2 shown]
	ds_read_b32 v2, v1 offset:88
	s_cbranch_scc1 .LBB12_104
; %bb.100:
	s_andn2_b64 vcc, exec, s[8:9]
	s_cbranch_vccnz .LBB12_218
; %bb.101:
	s_lshl_b64 s[4:5], s[10:11], 2
	s_add_u32 s4, s62, s4
	s_addc_u32 s5, s63, s5
	s_add_u32 s4, s4, -4
	s_addc_u32 s5, s5, -1
	s_cbranch_execnz .LBB12_103
.LBB12_102:
	s_add_u32 s4, s6, -4
	s_addc_u32 s5, s7, -1
.LBB12_103:
	s_mov_b64 s[6:7], s[4:5]
.LBB12_104:
	s_load_dword s4, s[6:7], 0x0
	s_movk_i32 s5, 0xffa8
	v_mad_i32_i24 v3, v0, s5, v1
	v_cmp_ne_u32_e32 vcc, 0, v0
	s_waitcnt lgkmcnt(0)
	ds_write_b32 v3, v2 offset:23552
	v_mov_b32_e32 v10, s4
	s_waitcnt lgkmcnt(0)
	s_barrier
	s_and_saveexec_b64 s[4:5], vcc
	s_cbranch_execz .LBB12_106
; %bb.105:
	v_mul_i32_i24_e32 v3, 0xffffffa8, v0
	v_add_u32_e32 v3, v1, v3
	ds_read_b32 v10, v3 offset:23548
.LBB12_106:
	s_or_b64 exec, exec, s[4:5]
	s_waitcnt lgkmcnt(0)
	v_cmp_ne_u32_e32 vcc, v10, v14
	v_cmp_ne_u32_e64 s[4:5], v5, v2
	v_mov_b32_e32 v2, s3
	v_cndmask_b32_e64 v11, 0, 1, vcc
	v_cmp_ne_u32_e32 vcc, v14, v15
	s_barrier
	s_nop 0
	v_cndmask_b32_e64 v13, 0, 1, vcc
	v_cmp_ne_u32_e32 vcc, v15, v18
	ds_write2st64_b32 v54, v2, v2 offset1:4
	ds_write2st64_b32 v54, v2, v2 offset0:8 offset1:12
	ds_write2st64_b32 v54, v2, v2 offset0:16 offset1:20
	;; [unrolled: 1-line block ×10, first 2 shown]
	ds_write_b32 v54, v2 offset:22528
	s_waitcnt lgkmcnt(0)
	s_barrier
	ds_read2_b32 v[16:17], v1 offset1:1
	ds_read2_b32 v[20:21], v1 offset0:2 offset1:3
	ds_read2_b32 v[24:25], v1 offset0:4 offset1:5
	;; [unrolled: 1-line block ×10, first 2 shown]
	ds_read_b32 v3, v1 offset:88
	v_cndmask_b32_e64 v15, 0, 1, vcc
	v_cmp_ne_u32_e32 vcc, v18, v19
	s_waitcnt lgkmcnt(11)
	v_mov_b32_e32 v12, v17
	v_mov_b32_e32 v10, v16
	v_cndmask_b32_e64 v17, 0, 1, vcc
	v_cmp_ne_u32_e32 vcc, v19, v22
	s_waitcnt lgkmcnt(10)
	v_mov_b32_e32 v16, v21
	v_mov_b32_e32 v14, v20
	;; [unrolled: 5-line block ×5, first 2 shown]
	v_cndmask_b32_e64 v25, 0, 1, vcc
	v_cmp_ne_u32_e32 vcc, v27, v30
	s_waitcnt lgkmcnt(6)
	v_mov_b32_e32 v32, v37
	s_waitcnt lgkmcnt(2)
	v_mov_b32_e32 v48, v51
	v_cndmask_b32_e64 v27, 0, 1, vcc
	v_cmp_ne_u32_e32 vcc, v30, v31
	v_mov_b32_e32 v30, v36
	v_mov_b32_e32 v36, v41
	v_cndmask_b32_e64 v29, 0, 1, vcc
	v_cmp_ne_u32_e32 vcc, v31, v34
	s_waitcnt lgkmcnt(1)
	v_mov_b32_e32 v52, v57
	s_mov_b64 s[16:17], -1
	v_cndmask_b32_e64 v31, 0, 1, vcc
	v_cmp_ne_u32_e32 vcc, v34, v35
	v_mov_b32_e32 v34, v40
	v_mov_b32_e32 v40, v45
	v_cndmask_b32_e64 v33, 0, 1, vcc
	v_cmp_ne_u32_e32 vcc, v35, v38
                                        ; implicit-def: $sgpr14_sgpr15
	s_nop 1
	v_cndmask_b32_e64 v35, 0, 1, vcc
	v_cmp_ne_u32_e32 vcc, v38, v39
	v_mov_b32_e32 v38, v44
	v_mov_b32_e32 v44, v47
	v_cndmask_b32_e64 v37, 0, 1, vcc
	v_cmp_ne_u32_e32 vcc, v39, v42
	s_nop 1
	v_cndmask_b32_e64 v39, 0, 1, vcc
	v_cmp_ne_u32_e32 vcc, v42, v43
	v_mov_b32_e32 v42, v46
	v_mov_b32_e32 v46, v50
	v_cndmask_b32_e64 v41, 0, 1, vcc
	v_cmp_ne_u32_e32 vcc, v43, v8
	v_mov_b32_e32 v50, v56
	s_nop 0
	v_cndmask_b32_e64 v43, 0, 1, vcc
	v_cmp_ne_u32_e32 vcc, v8, v9
	s_nop 1
	v_cndmask_b32_e64 v45, 0, 1, vcc
	v_cmp_ne_u32_e32 vcc, v9, v6
	;; [unrolled: 3-line block ×5, first 2 shown]
	s_nop 1
	v_cndmask_b32_e64 v53, 0, 1, vcc
.LBB12_107:
	v_mov_b64_e32 v[56:57], s[14:15]
	s_and_saveexec_b64 s[6:7], s[16:17]
	s_cbranch_execz .LBB12_109
; %bb.108:
	v_cndmask_b32_e64 v57, 0, 1, s[4:5]
	s_waitcnt lgkmcnt(0)
	v_mov_b32_e32 v56, v3
.LBB12_109:
	s_or_b64 exec, exec, s[6:7]
	s_mov_b32 s48, 0
	s_cmp_lg_u32 s2, 0
	v_or_b32_e32 v55, v57, v53
	v_lshrrev_b32_e32 v1, 5, v0
	v_cmp_gt_u32_e32 vcc, 64, v0
	s_waitcnt lgkmcnt(0)
	s_barrier
	s_cbranch_scc0 .LBB12_144
; %bb.110:
	s_mov_b32 s49, 1
	v_cmp_gt_u64_e64 s[4:5], s[48:49], v[12:13]
	v_cmp_gt_u64_e64 s[6:7], s[48:49], v[14:15]
	v_cmp_gt_u64_e64 s[8:9], s[48:49], v[16:17]
	v_cndmask_b32_e64 v2, 0, v10, s[4:5]
	v_add_u32_e32 v2, v2, v12
	v_cndmask_b32_e64 v2, 0, v2, s[6:7]
	v_add_u32_e32 v2, v2, v14
	v_cndmask_b32_e64 v2, 0, v2, s[8:9]
	v_add_u32_e32 v2, v2, v16
	v_cmp_gt_u64_e64 s[10:11], s[48:49], v[18:19]
	v_cmp_gt_u64_e64 s[12:13], s[48:49], v[20:21]
	v_cmp_gt_u64_e64 s[14:15], s[48:49], v[22:23]
	v_cndmask_b32_e64 v2, 0, v2, s[10:11]
	v_add_u32_e32 v2, v2, v18
	v_cndmask_b32_e64 v2, 0, v2, s[12:13]
	v_add_u32_e32 v2, v2, v20
	v_cndmask_b32_e64 v2, 0, v2, s[14:15]
	v_add_u32_e32 v2, v2, v22
	;; [unrolled: 9-line block ×7, first 2 shown]
	v_cmp_gt_u64_e64 s[48:49], s[48:49], v[56:57]
	s_nop 1
	v_cndmask_b32_e64 v2, 0, v2, s[48:49]
	v_add_u32_e32 v62, v2, v56
	v_or3_b32 v2, v55, v51, v49
	v_or3_b32 v2, v2, v47, v45
	;; [unrolled: 1-line block ×10, first 2 shown]
	v_and_b32_e32 v2, 1, v2
	v_cmp_eq_u32_e64 s[50:51], 1, v2
	v_add_lshl_u32 v2, v1, v0, 3
	s_nop 0
	v_cndmask_b32_e64 v63, v11, 1, s[50:51]
	ds_write_b32 v2, v62
	ds_write_b8 v2, v63 offset:4
	s_waitcnt lgkmcnt(0)
	s_barrier
	s_and_saveexec_b64 s[52:53], vcc
	s_cbranch_execz .LBB12_122
; %bb.111:
	v_lshrrev_b32_e32 v2, 3, v0
	v_add_lshl_u32 v4, v2, v54, 3
	ds_read2_b32 v[6:7], v4 offset0:2 offset1:4
	ds_read_b64 v[2:3], v4
	ds_read_u8 v8, v4 offset:12
	ds_read_u8 v9, v4 offset:20
	ds_read_b32 v58, v4 offset:24
	ds_read_u8 v59, v4 offset:28
	v_mov_b32_e32 v60, 0
	s_waitcnt lgkmcnt(3)
	v_cmp_eq_u16_sdwa s[50:51], v8, v60 src0_sel:BYTE_0 src1_sel:DWORD
	v_and_b32_e32 v5, 1, v3
	s_nop 0
	v_cndmask_b32_e64 v61, 0, v2, s[50:51]
	v_add_u32_e32 v6, v61, v6
	s_waitcnt lgkmcnt(2)
	v_cmp_eq_u16_sdwa s[50:51], v9, v60 src0_sel:BYTE_0 src1_sel:DWORD
	s_nop 1
	v_cndmask_b32_e64 v6, 0, v6, s[50:51]
	v_add_u32_e32 v6, v6, v7
	s_waitcnt lgkmcnt(0)
	v_cmp_eq_u16_e64 s[50:51], 0, v59
	s_nop 1
	v_cndmask_b32_e64 v6, 0, v6, s[50:51]
	v_add_u32_e32 v7, v6, v58
	v_or_b32_e32 v6, v59, v9
	v_or_b32_e32 v6, v6, v8
	v_and_b32_e32 v6, 1, v6
	v_cmp_eq_u32_e64 s[50:51], 1, v6
	v_mbcnt_lo_u32_b32 v8, -1, 0
	v_and_b32_e32 v6, 0xffffff00, v3
	v_cndmask_b32_e64 v9, v5, 1, s[50:51]
	v_mbcnt_hi_u32_b32 v8, -1, v8
	v_and_b32_e32 v59, 15, v8
	v_or_b32_sdwa v58, v6, v9 dst_sel:DWORD dst_unused:UNUSED_PAD src0_sel:DWORD src1_sel:WORD_0
	v_mov_b32_dpp v60, v7 row_shr:1 row_mask:0xf bank_mask:0xf
	v_cmp_ne_u32_e64 s[50:51], 0, v59
	v_mov_b32_dpp v61, v58 row_shr:1 row_mask:0xf bank_mask:0xf
	s_and_saveexec_b64 s[56:57], s[50:51]
; %bb.112:
	v_and_b32_e32 v58, 1, v9
	v_and_b32_e32 v61, 1, v61
	v_cmp_eq_u32_e64 s[50:51], 1, v58
	s_nop 1
	v_cndmask_b32_e64 v61, v61, 1, s[50:51]
	v_cmp_eq_u16_e64 s[50:51], 0, v9
	v_or_b32_sdwa v58, v6, v61 dst_sel:DWORD dst_unused:UNUSED_PAD src0_sel:DWORD src1_sel:WORD_0
	s_nop 0
	v_cndmask_b32_e64 v9, 0, v60, s[50:51]
	v_add_u32_e32 v7, v9, v7
	v_mov_b32_e32 v9, v61
; %bb.113:
	s_or_b64 exec, exec, s[56:57]
	v_mov_b32_dpp v60, v7 row_shr:2 row_mask:0xf bank_mask:0xf
	v_mov_b32_dpp v61, v58 row_shr:2 row_mask:0xf bank_mask:0xf
	v_cmp_lt_u32_e64 s[50:51], 1, v59
	s_and_saveexec_b64 s[56:57], s[50:51]
; %bb.114:
	v_and_b32_e32 v58, 1, v9
	v_and_b32_e32 v61, 1, v61
	v_cmp_eq_u32_e64 s[50:51], 1, v58
	s_nop 1
	v_cndmask_b32_e64 v61, v61, 1, s[50:51]
	v_cmp_eq_u16_e64 s[50:51], 0, v9
	v_or_b32_sdwa v58, v6, v61 dst_sel:DWORD dst_unused:UNUSED_PAD src0_sel:DWORD src1_sel:WORD_0
	s_nop 0
	v_cndmask_b32_e64 v9, 0, v60, s[50:51]
	v_add_u32_e32 v7, v9, v7
	v_mov_b32_e32 v9, v61
; %bb.115:
	s_or_b64 exec, exec, s[56:57]
	v_mov_b32_dpp v60, v7 row_shr:4 row_mask:0xf bank_mask:0xf
	v_mov_b32_dpp v61, v58 row_shr:4 row_mask:0xf bank_mask:0xf
	v_cmp_lt_u32_e64 s[50:51], 3, v59
	;; [unrolled: 18-line block ×3, first 2 shown]
	s_and_saveexec_b64 s[56:57], s[50:51]
; %bb.118:
	v_and_b32_e32 v58, 1, v9
	v_and_b32_e32 v59, 1, v61
	v_cmp_eq_u32_e64 s[50:51], 1, v58
	s_nop 1
	v_cndmask_b32_e64 v59, v59, 1, s[50:51]
	v_cmp_eq_u16_e64 s[50:51], 0, v9
	v_or_b32_sdwa v58, v6, v59 dst_sel:DWORD dst_unused:UNUSED_PAD src0_sel:DWORD src1_sel:WORD_0
	s_nop 0
	v_cndmask_b32_e64 v9, 0, v60, s[50:51]
	v_add_u32_e32 v7, v9, v7
	v_mov_b32_e32 v9, v59
; %bb.119:
	s_or_b64 exec, exec, s[56:57]
	v_and_b32_e32 v61, 16, v8
	v_mov_b32_dpp v59, v7 row_bcast:15 row_mask:0xf bank_mask:0xf
	v_mov_b32_dpp v60, v58 row_bcast:15 row_mask:0xf bank_mask:0xf
	v_cmp_ne_u32_e64 s[50:51], 0, v61
	s_and_saveexec_b64 s[56:57], s[50:51]
; %bb.120:
	v_and_b32_e32 v58, 1, v9
	v_and_b32_e32 v60, 1, v60
	v_cmp_eq_u32_e64 s[50:51], 1, v58
	s_nop 1
	v_cndmask_b32_e64 v60, v60, 1, s[50:51]
	v_cmp_eq_u16_e64 s[50:51], 0, v9
	v_or_b32_sdwa v58, v6, v60 dst_sel:DWORD dst_unused:UNUSED_PAD src0_sel:DWORD src1_sel:WORD_0
	s_nop 0
	v_cndmask_b32_e64 v9, 0, v59, s[50:51]
	v_add_u32_e32 v7, v9, v7
	v_mov_b32_e32 v9, v60
; %bb.121:
	s_or_b64 exec, exec, s[56:57]
	v_mov_b32_dpp v58, v58 row_bcast:31 row_mask:0xf bank_mask:0xf
	v_and_b32_e32 v60, 1, v9
	v_and_b32_e32 v58, 1, v58
	v_cmp_eq_u32_e64 s[50:51], 1, v60
	v_mov_b32_e32 v60, 0
	v_cmp_eq_u16_sdwa s[56:57], v9, v60 src0_sel:BYTE_0 src1_sel:DWORD
	v_cndmask_b32_e64 v58, v58, 1, s[50:51]
	v_cmp_lt_u32_e64 s[50:51], 31, v8
	v_mov_b32_dpp v59, v7 row_bcast:31 row_mask:0xf bank_mask:0xf
	s_movk_i32 s3, 0xff
	v_cndmask_b32_e64 v9, v9, v58, s[50:51]
	s_and_b64 s[50:51], s[50:51], s[56:57]
	v_cndmask_b32_e64 v58, 0, v59, s[50:51]
	v_add_u32_e32 v7, v58, v7
	v_add_u32_e32 v58, -1, v8
	v_and_b32_e32 v59, 64, v8
	v_cmp_lt_i32_e64 s[50:51], v58, v59
	v_and_or_b32 v6, v9, s3, v6
	s_nop 0
	v_cndmask_b32_e64 v8, v58, v8, s[50:51]
	v_lshlrev_b32_e32 v8, 2, v8
	ds_bpermute_b32 v7, v8, v7
	ds_bpermute_b32 v6, v8, v6
	v_cmp_eq_u16_sdwa s[50:51], v3, v60 src0_sel:BYTE_0 src1_sel:DWORD
	; wave barrier
	s_waitcnt lgkmcnt(1)
	s_nop 0
	v_cndmask_b32_e64 v3, 0, v7, s[50:51]
	v_add_u32_e32 v2, v3, v2
	s_waitcnt lgkmcnt(0)
	v_and_b32_e32 v3, 1, v6
	v_cmp_eq_u32_e64 s[50:51], 1, v5
	s_nop 1
	v_cndmask_b32_e64 v3, v3, 1, s[50:51]
	v_cmp_eq_u32_e64 s[50:51], 0, v0
	s_nop 1
	v_cndmask_b32_e64 v5, v2, v62, s[50:51]
	v_cndmask_b32_e64 v6, v3, v63, s[50:51]
	ds_write_b32 v4, v5
	ds_write_b8 v4, v6 offset:4
	; wave barrier
	ds_read_u8 v7, v4 offset:12
	ds_read2_b32 v[2:3], v4 offset0:2 offset1:4
	ds_read_u8 v8, v4 offset:20
	ds_read_b32 v9, v4 offset:24
	ds_read_u8 v58, v4 offset:28
	s_waitcnt lgkmcnt(4)
	v_cmp_eq_u16_e64 s[50:51], 0, v7
	s_nop 1
	v_cndmask_b32_e64 v5, 0, v5, s[50:51]
	s_waitcnt lgkmcnt(3)
	v_add_u32_e32 v2, v5, v2
	v_and_b32_e32 v5, 1, v7
	v_cmp_eq_u32_e64 s[50:51], 1, v5
	s_nop 1
	v_cndmask_b32_e64 v5, v6, 1, s[50:51]
	s_waitcnt lgkmcnt(2)
	v_cmp_eq_u16_e64 s[50:51], 0, v8
	ds_write_b8 v4, v5 offset:12
	s_nop 0
	v_cndmask_b32_e64 v6, 0, v2, s[50:51]
	v_add_u32_e32 v3, v6, v3
	v_and_b32_e32 v6, 1, v8
	v_cmp_eq_u32_e64 s[50:51], 1, v6
	s_nop 1
	v_cndmask_b32_e64 v5, v5, 1, s[50:51]
	s_waitcnt lgkmcnt(1)
	v_cmp_eq_u16_e64 s[50:51], 0, v58
	ds_write2_b32 v4, v2, v3 offset0:2 offset1:4
	ds_write_b8 v4, v5 offset:20
	v_cndmask_b32_e64 v2, 0, v3, s[50:51]
	v_and_b32_e32 v3, 1, v58
	v_add_u32_e32 v2, v2, v9
	v_cmp_eq_u32_e64 s[50:51], 1, v3
	s_nop 1
	v_cndmask_b32_e64 v3, v5, 1, s[50:51]
	ds_write_b32 v4, v2 offset:24
	ds_write_b8 v4, v3 offset:28
.LBB12_122:
	s_or_b64 exec, exec, s[52:53]
	v_cmp_eq_u32_e64 s[50:51], 0, v0
	v_cmp_ne_u32_e64 s[52:53], 0, v0
	s_waitcnt lgkmcnt(0)
	s_barrier
	s_and_saveexec_b64 s[56:57], s[52:53]
	s_cbranch_execz .LBB12_124
; %bb.123:
	v_add_u32_e32 v2, -1, v0
	v_lshrrev_b32_e32 v3, 5, v2
	v_add_lshl_u32 v2, v3, v2, 3
	ds_read_b32 v62, v2
	ds_read_u8 v63, v2 offset:4
.LBB12_124:
	s_or_b64 exec, exec, s[56:57]
	s_and_saveexec_b64 s[62:63], vcc
	s_cbranch_execz .LBB12_143
; %bb.125:
	v_mov_b32_e32 v5, 0
	ds_read_b64 v[2:3], v5 offset:2096
	v_mbcnt_lo_u32_b32 v4, -1, 0
	v_mbcnt_hi_u32_b32 v73, -1, v4
	s_mov_b32 s73, 0
	v_cmp_eq_u32_e64 s[52:53], 0, v73
	s_waitcnt lgkmcnt(0)
	v_readfirstlane_b32 s3, v3
	s_and_saveexec_b64 s[56:57], s[52:53]
	s_cbranch_execz .LBB12_127
; %bb.126:
	s_add_i32 s72, s2, 64
	s_lshl_b64 s[74:75], s[72:73], 4
	s_add_u32 s74, s64, s74
	s_addc_u32 s75, s65, s75
	s_and_b32 s77, s3, 0xff000000
	s_mov_b32 s76, s73
	s_and_b32 s79, s3, 0xff0000
	s_mov_b32 s78, s73
	s_or_b64 s[76:77], s[78:79], s[76:77]
	s_and_b32 s79, s3, 0xff00
	s_or_b64 s[76:77], s[76:77], s[78:79]
	s_and_b32 s79, s3, 0xff
	s_or_b64 s[72:73], s[76:77], s[78:79]
	v_mov_b32_e32 v3, s73
	v_mov_b32_e32 v4, 1
	v_mov_b64_e32 v[6:7], s[74:75]
	;;#ASMSTART
	global_store_dwordx4 v[6:7], v[2:5] off sc1	
s_waitcnt vmcnt(0)
	;;#ASMEND
.LBB12_127:
	s_or_b64 exec, exec, s[56:57]
	v_xad_u32 v58, v73, -1, s2
	v_add_u32_e32 v4, 64, v58
	v_lshl_add_u64 v[60:61], v[4:5], 4, s[64:65]
	;;#ASMSTART
	global_load_dwordx4 v[6:9], v[60:61] off sc1	
s_waitcnt vmcnt(0)
	;;#ASMEND
	s_nop 0
	v_and_b32_e32 v3, 0xff0000, v6
	v_and_b32_e32 v4, 0xff000000, v6
	;; [unrolled: 1-line block ×3, first 2 shown]
	v_or_b32_sdwa v3, v6, v3 dst_sel:DWORD dst_unused:UNUSED_PAD src0_sel:WORD_0 src1_sel:DWORD
	v_or3_b32 v7, 0, 0, v7
	v_or3_b32 v6, v3, v4, 0
	v_cmp_eq_u16_sdwa s[72:73], v8, v5 src0_sel:BYTE_0 src1_sel:DWORD
	s_and_saveexec_b64 s[56:57], s[72:73]
	s_cbranch_execz .LBB12_131
; %bb.128:
	s_mov_b64 s[72:73], 0
	v_mov_b32_e32 v3, 0
.LBB12_129:                             ; =>This Inner Loop Header: Depth=1
	;;#ASMSTART
	global_load_dwordx4 v[6:9], v[60:61] off sc1	
s_waitcnt vmcnt(0)
	;;#ASMEND
	s_nop 0
	v_cmp_ne_u16_sdwa s[74:75], v8, v3 src0_sel:BYTE_0 src1_sel:DWORD
	s_or_b64 s[72:73], s[74:75], s[72:73]
	s_andn2_b64 exec, exec, s[72:73]
	s_cbranch_execnz .LBB12_129
; %bb.130:
	s_or_b64 exec, exec, s[72:73]
	v_and_b32_e32 v7, 0xff, v7
.LBB12_131:
	s_or_b64 exec, exec, s[56:57]
	v_mov_b32_e32 v3, 2
	v_cmp_eq_u16_sdwa s[56:57], v8, v3 src0_sel:BYTE_0 src1_sel:DWORD
	v_lshlrev_b64 v[4:5], v73, -1
	v_and_b32_e32 v64, 63, v73
	v_and_b32_e32 v9, s57, v5
	v_or_b32_e32 v9, 0x80000000, v9
	v_and_b32_e32 v59, s56, v4
	v_ffbl_b32_e32 v9, v9
	v_add_u32_e32 v9, 32, v9
	v_ffbl_b32_e32 v59, v59
	v_cmp_ne_u32_e32 vcc, 63, v64
	v_min_u32_e32 v9, v59, v9
	s_mov_b32 s72, 0
	v_addc_co_u32_e32 v59, vcc, 0, v73, vcc
	v_lshlrev_b32_e32 v65, 2, v59
	ds_bpermute_b32 v59, v65, v7
	ds_bpermute_b32 v60, v65, v6
	v_and_b32_e32 v61, 1, v7
	s_mov_b32 s73, 1
	v_cmp_eq_u32_e32 vcc, 1, v61
	s_waitcnt lgkmcnt(1)
	v_and_b32_e32 v59, 1, v59
	v_cmp_lt_u32_e64 s[56:57], v64, v9
	v_cndmask_b32_e64 v59, v59, 1, vcc
	v_cmp_gt_u64_e32 vcc, s[72:73], v[6:7]
	s_and_b64 vcc, s[56:57], vcc
	v_and_b32_e32 v61, 0xffff, v59
	v_cndmask_b32_e64 v68, v7, v59, s[56:57]
	s_waitcnt lgkmcnt(0)
	v_cndmask_b32_e32 v59, 0, v60, vcc
	v_cmp_gt_u32_e32 vcc, 62, v64
	v_cndmask_b32_e64 v7, v7, v61, s[56:57]
	v_add_u32_e32 v6, v59, v6
	v_cndmask_b32_e64 v60, 0, 1, vcc
	v_lshlrev_b32_e32 v60, 1, v60
	v_add_lshl_u32 v66, v60, v73, 2
	ds_bpermute_b32 v60, v66, v7
	ds_bpermute_b32 v61, v66, v6
	v_and_b32_e32 v59, 1, v68
	v_cmp_eq_u32_e32 vcc, 1, v59
	v_mov_b32_e32 v59, 0
	s_waitcnt lgkmcnt(1)
	v_and_b32_e32 v60, 1, v60
	v_add_u32_e32 v67, 2, v64
	v_cndmask_b32_e64 v60, v60, 1, vcc
	v_cmp_eq_u16_sdwa vcc, v68, v59 src0_sel:BYTE_0 src1_sel:DWORD
	v_and_b32_e32 v69, 0xffff, v60
	v_add_u32_e32 v77, 32, v64
	s_waitcnt lgkmcnt(0)
	v_cndmask_b32_e32 v61, 0, v61, vcc
	v_cmp_gt_u32_e32 vcc, v67, v9
	s_nop 1
	v_cndmask_b32_e32 v60, v60, v68, vcc
	v_cndmask_b32_e64 v61, v61, 0, vcc
	v_cndmask_b32_e32 v7, v69, v7, vcc
	v_cmp_gt_u32_e32 vcc, 60, v64
	v_add_u32_e32 v6, v61, v6
	v_and_b32_e32 v71, 1, v60
	v_cndmask_b32_e64 v68, 0, 1, vcc
	v_lshlrev_b32_e32 v68, 2, v68
	v_add_lshl_u32 v68, v68, v73, 2
	ds_bpermute_b32 v70, v68, v7
	ds_bpermute_b32 v61, v68, v6
	v_cmp_eq_u32_e32 vcc, 1, v71
	v_add_u32_e32 v69, 4, v64
	s_waitcnt lgkmcnt(1)
	v_and_b32_e32 v70, 1, v70
	v_cndmask_b32_e64 v70, v70, 1, vcc
	v_cmp_eq_u16_sdwa vcc, v60, v59 src0_sel:BYTE_0 src1_sel:DWORD
	v_and_b32_e32 v71, 0xffff, v70
	s_waitcnt lgkmcnt(0)
	v_cndmask_b32_e32 v61, 0, v61, vcc
	v_cmp_gt_u32_e32 vcc, v69, v9
	s_nop 1
	v_cndmask_b32_e32 v60, v70, v60, vcc
	v_cndmask_b32_e64 v61, v61, 0, vcc
	v_cndmask_b32_e32 v7, v71, v7, vcc
	v_cmp_gt_u32_e32 vcc, 56, v64
	v_add_u32_e32 v6, v61, v6
	v_and_b32_e32 v74, 1, v60
	v_cndmask_b32_e64 v70, 0, 1, vcc
	v_lshlrev_b32_e32 v70, 3, v70
	v_add_lshl_u32 v70, v70, v73, 2
	ds_bpermute_b32 v72, v70, v7
	ds_bpermute_b32 v61, v70, v6
	v_cmp_eq_u32_e32 vcc, 1, v74
	v_add_u32_e32 v71, 8, v64
	s_waitcnt lgkmcnt(1)
	v_and_b32_e32 v72, 1, v72
	v_cndmask_b32_e64 v72, v72, 1, vcc
	v_cmp_eq_u16_sdwa vcc, v60, v59 src0_sel:BYTE_0 src1_sel:DWORD
	v_and_b32_e32 v74, 0xffff, v72
	;; [unrolled: 22-line block ×3, first 2 shown]
	s_waitcnt lgkmcnt(0)
	v_cndmask_b32_e32 v61, 0, v61, vcc
	v_cmp_gt_u32_e32 vcc, v74, v9
	s_nop 1
	v_cndmask_b32_e32 v60, v75, v60, vcc
	v_cndmask_b32_e64 v61, v61, 0, vcc
	v_cndmask_b32_e32 v7, v76, v7, vcc
	v_cmp_gt_u32_e32 vcc, 32, v64
	v_add_u32_e32 v6, v61, v6
	s_nop 0
	v_cndmask_b32_e64 v75, 0, 1, vcc
	v_lshlrev_b32_e32 v75, 5, v75
	v_add_lshl_u32 v76, v75, v73, 2
	ds_bpermute_b32 v7, v76, v7
	ds_bpermute_b32 v61, v76, v6
	v_and_b32_e32 v73, 1, v60
	v_cmp_eq_u32_e32 vcc, 1, v73
	s_waitcnt lgkmcnt(1)
	v_and_b32_e32 v7, 1, v7
	v_cndmask_b32_e64 v7, v7, 1, vcc
	v_cmp_eq_u16_sdwa vcc, v60, v59 src0_sel:BYTE_0 src1_sel:DWORD
	s_waitcnt lgkmcnt(0)
	s_nop 0
	v_cndmask_b32_e32 v61, 0, v61, vcc
	v_cmp_gt_u32_e32 vcc, v77, v9
	s_nop 1
	v_cndmask_b32_e64 v9, v61, 0, vcc
	v_cndmask_b32_e32 v7, v7, v60, vcc
	v_add_u32_e32 v6, v9, v6
	s_branch .LBB12_133
.LBB12_132:                             ;   in Loop: Header=BB12_133 Depth=1
	s_or_b64 exec, exec, s[56:57]
	v_cmp_eq_u16_sdwa s[56:57], v8, v3 src0_sel:BYTE_0 src1_sel:DWORD
	ds_bpermute_b32 v61, v65, v7
	v_and_b32_e32 v78, 1, v7
	v_and_b32_e32 v9, s57, v5
	v_or_b32_e32 v9, 0x80000000, v9
	v_and_b32_e32 v60, s56, v4
	v_ffbl_b32_e32 v9, v9
	v_add_u32_e32 v9, 32, v9
	v_ffbl_b32_e32 v60, v60
	v_min_u32_e32 v9, v60, v9
	ds_bpermute_b32 v60, v65, v6
	s_waitcnt lgkmcnt(1)
	v_and_b32_e32 v61, 1, v61
	v_cmp_eq_u32_e32 vcc, 1, v78
	v_cmp_lt_u32_e64 s[56:57], v64, v9
	v_subrev_u32_e32 v58, 64, v58
	v_cndmask_b32_e64 v61, v61, 1, vcc
	v_cmp_gt_u64_e32 vcc, s[72:73], v[6:7]
	v_and_b32_e32 v78, 0xffff, v61
	v_cndmask_b32_e64 v61, v7, v61, s[56:57]
	v_cndmask_b32_e64 v7, v7, v78, s[56:57]
	s_and_b64 vcc, s[56:57], vcc
	ds_bpermute_b32 v78, v66, v7
	s_waitcnt lgkmcnt(1)
	v_cndmask_b32_e32 v60, 0, v60, vcc
	v_add_u32_e32 v6, v60, v6
	ds_bpermute_b32 v60, v66, v6
	v_and_b32_e32 v79, 1, v61
	s_waitcnt lgkmcnt(1)
	v_and_b32_e32 v78, 1, v78
	v_cmp_eq_u32_e32 vcc, 1, v79
	s_nop 1
	v_cndmask_b32_e64 v78, v78, 1, vcc
	v_cmp_eq_u16_sdwa vcc, v61, v59 src0_sel:BYTE_0 src1_sel:DWORD
	v_and_b32_e32 v79, 0xffff, v78
	s_waitcnt lgkmcnt(0)
	v_cndmask_b32_e32 v60, 0, v60, vcc
	v_cmp_gt_u32_e32 vcc, v67, v9
	s_nop 1
	v_cndmask_b32_e32 v7, v79, v7, vcc
	v_cndmask_b32_e32 v61, v78, v61, vcc
	ds_bpermute_b32 v78, v68, v7
	v_cndmask_b32_e64 v60, v60, 0, vcc
	v_add_u32_e32 v6, v60, v6
	ds_bpermute_b32 v60, v68, v6
	v_and_b32_e32 v79, 1, v61
	s_waitcnt lgkmcnt(1)
	v_and_b32_e32 v78, 1, v78
	v_cmp_eq_u32_e32 vcc, 1, v79
	s_nop 1
	v_cndmask_b32_e64 v78, v78, 1, vcc
	v_cmp_eq_u16_sdwa vcc, v61, v59 src0_sel:BYTE_0 src1_sel:DWORD
	v_and_b32_e32 v79, 0xffff, v78
	s_waitcnt lgkmcnt(0)
	v_cndmask_b32_e32 v60, 0, v60, vcc
	v_cmp_gt_u32_e32 vcc, v69, v9
	s_nop 1
	v_cndmask_b32_e32 v7, v79, v7, vcc
	v_cndmask_b32_e32 v61, v78, v61, vcc
	ds_bpermute_b32 v78, v70, v7
	v_cndmask_b32_e64 v60, v60, 0, vcc
	;; [unrolled: 18-line block ×3, first 2 shown]
	v_add_u32_e32 v6, v60, v6
	ds_bpermute_b32 v60, v72, v6
	v_and_b32_e32 v79, 1, v61
	s_waitcnt lgkmcnt(1)
	v_and_b32_e32 v78, 1, v78
	v_cmp_eq_u32_e32 vcc, 1, v79
	s_nop 1
	v_cndmask_b32_e64 v78, v78, 1, vcc
	v_cmp_eq_u16_sdwa vcc, v61, v59 src0_sel:BYTE_0 src1_sel:DWORD
	v_and_b32_e32 v79, 0xffff, v78
	s_waitcnt lgkmcnt(0)
	v_cndmask_b32_e32 v60, 0, v60, vcc
	v_cmp_gt_u32_e32 vcc, v74, v9
	s_nop 1
	v_cndmask_b32_e64 v60, v60, 0, vcc
	v_cndmask_b32_e32 v7, v79, v7, vcc
	ds_bpermute_b32 v7, v76, v7
	v_add_u32_e32 v6, v60, v6
	ds_bpermute_b32 v60, v76, v6
	v_cndmask_b32_e32 v61, v78, v61, vcc
	v_and_b32_e32 v78, 1, v61
	v_cmp_eq_u32_e32 vcc, 1, v78
	s_waitcnt lgkmcnt(1)
	s_nop 0
	v_cndmask_b32_e64 v7, v7, 1, vcc
	v_cmp_eq_u16_sdwa vcc, v61, v59 src0_sel:BYTE_0 src1_sel:DWORD
	s_waitcnt lgkmcnt(0)
	s_nop 0
	v_cndmask_b32_e32 v60, 0, v60, vcc
	v_cmp_gt_u32_e32 vcc, v77, v9
	s_nop 1
	v_cndmask_b32_e64 v9, v60, 0, vcc
	v_cndmask_b32_e32 v7, v7, v61, vcc
	v_add_u32_e32 v6, v9, v6
	v_cmp_eq_u16_sdwa vcc, v73, v59 src0_sel:BYTE_0 src1_sel:DWORD
	v_and_b32_e32 v9, 1, v73
	v_and_b32_e32 v7, 1, v7
	v_cndmask_b32_e32 v6, 0, v6, vcc
	v_cmp_eq_u32_e32 vcc, 1, v9
	v_add_u32_e32 v6, v6, v75
	s_nop 0
	v_cndmask_b32_e64 v7, v7, 1, vcc
.LBB12_133:                             ; =>This Loop Header: Depth=1
                                        ;     Child Loop BB12_136 Depth 2
	v_cmp_ne_u16_sdwa s[56:57], v8, v3 src0_sel:BYTE_0 src1_sel:DWORD
	v_mov_b32_e32 v73, v7
	v_mov_b32_e32 v75, v6
	v_cndmask_b32_e64 v7, 0, 1, s[56:57]
	;;#ASMSTART
	;;#ASMEND
	s_nop 0
	v_cmp_ne_u32_e32 vcc, 0, v7
	s_cmp_lg_u64 vcc, exec
	s_cbranch_scc1 .LBB12_138
; %bb.134:                              ;   in Loop: Header=BB12_133 Depth=1
	v_lshl_add_u64 v[60:61], v[58:59], 4, s[64:65]
	;;#ASMSTART
	global_load_dwordx4 v[6:9], v[60:61] off sc1	
s_waitcnt vmcnt(0)
	;;#ASMEND
	s_nop 0
	v_and_b32_e32 v9, 0xff0000, v6
	v_and_b32_e32 v78, 0xff000000, v6
	;; [unrolled: 1-line block ×3, first 2 shown]
	v_or_b32_sdwa v6, v6, v9 dst_sel:DWORD dst_unused:UNUSED_PAD src0_sel:WORD_0 src1_sel:DWORD
	v_or3_b32 v7, 0, 0, v7
	v_or3_b32 v6, v6, v78, 0
	v_cmp_eq_u16_sdwa s[74:75], v8, v59 src0_sel:BYTE_0 src1_sel:DWORD
	s_and_saveexec_b64 s[56:57], s[74:75]
	s_cbranch_execz .LBB12_132
; %bb.135:                              ;   in Loop: Header=BB12_133 Depth=1
	s_mov_b64 s[74:75], 0
.LBB12_136:                             ;   Parent Loop BB12_133 Depth=1
                                        ; =>  This Inner Loop Header: Depth=2
	;;#ASMSTART
	global_load_dwordx4 v[6:9], v[60:61] off sc1	
s_waitcnt vmcnt(0)
	;;#ASMEND
	s_nop 0
	v_cmp_ne_u16_sdwa s[76:77], v8, v59 src0_sel:BYTE_0 src1_sel:DWORD
	s_or_b64 s[74:75], s[76:77], s[74:75]
	s_andn2_b64 exec, exec, s[74:75]
	s_cbranch_execnz .LBB12_136
; %bb.137:                              ;   in Loop: Header=BB12_133 Depth=1
	s_or_b64 exec, exec, s[74:75]
	v_and_b32_e32 v7, 0xff, v7
	s_branch .LBB12_132
.LBB12_138:                             ;   in Loop: Header=BB12_133 Depth=1
                                        ; implicit-def: $vgpr7
                                        ; implicit-def: $vgpr6
                                        ; implicit-def: $vgpr8
	s_cbranch_execz .LBB12_133
; %bb.139:
	s_and_saveexec_b64 s[56:57], s[52:53]
	s_cbranch_execz .LBB12_141
; %bb.140:
	s_and_b32 s52, s3, 0xff
	s_cmp_eq_u32 s52, 0
	s_cselect_b64 vcc, -1, 0
	s_bitcmp1_b32 s3, 0
	s_mov_b32 s53, 0
	s_cselect_b64 s[72:73], -1, 0
	s_add_i32 s52, s2, 64
	s_lshl_b64 s[2:3], s[52:53], 4
	v_cndmask_b32_e32 v3, 0, v75, vcc
	s_add_u32 s2, s64, s2
	v_add_u32_e32 v2, v3, v2
	v_and_b32_e32 v3, 1, v73
	s_addc_u32 s3, s65, s3
	v_mov_b32_e32 v5, 0
	v_cndmask_b32_e64 v3, v3, 1, s[72:73]
	v_mov_b32_e32 v4, 2
	v_mov_b64_e32 v[6:7], s[2:3]
	;;#ASMSTART
	global_store_dwordx4 v[6:7], v[2:5] off sc1	
s_waitcnt vmcnt(0)
	;;#ASMEND
.LBB12_141:
	s_or_b64 exec, exec, s[56:57]
	s_and_b64 exec, exec, s[50:51]
	s_cbranch_execz .LBB12_143
; %bb.142:
	v_mov_b32_e32 v2, 0
	ds_write_b32 v2, v75
	ds_write_b8 v2, v73 offset:4
.LBB12_143:
	s_or_b64 exec, exec, s[62:63]
	s_mov_b32 s2, 0
	v_mov_b32_e32 v2, 0
	s_mov_b32 s3, 1
	s_waitcnt lgkmcnt(0)
	s_barrier
	ds_read_b32 v3, v2
	v_cmp_gt_u64_e32 vcc, s[2:3], v[10:11]
	v_and_b32_e32 v5, 1, v11
	v_and_b32_e32 v6, 1, v63
	v_cndmask_b32_e32 v4, 0, v62, vcc
	v_cmp_eq_u32_e32 vcc, 1, v5
	v_cndmask_b32_e64 v4, v4, 0, s[50:51]
	s_nop 0
	v_cndmask_b32_e64 v5, v6, 1, vcc
	v_cndmask_b32_e64 v5, v5, v11, s[50:51]
	v_cmp_eq_u16_sdwa vcc, v5, v2 src0_sel:BYTE_0 src1_sel:DWORD
	s_waitcnt lgkmcnt(0)
	s_nop 0
	v_cndmask_b32_e32 v2, 0, v3, vcc
	v_add3_u32 v80, v4, v10, v2
	v_cndmask_b32_e64 v2, 0, v80, s[4:5]
	v_add_u32_e32 v58, v2, v12
	v_cndmask_b32_e64 v2, 0, v58, s[6:7]
	v_add_u32_e32 v59, v2, v14
	;; [unrolled: 2-line block ×22, first 2 shown]
	s_load_dwordx2 s[50:51], s[0:1], 0x20
	s_branch .LBB12_164
.LBB12_144:
                                        ; implicit-def: $vgpr78
                                        ; implicit-def: $vgpr77
                                        ; implicit-def: $vgpr76
                                        ; implicit-def: $vgpr75
                                        ; implicit-def: $vgpr74
                                        ; implicit-def: $vgpr73
                                        ; implicit-def: $vgpr72
                                        ; implicit-def: $vgpr71
                                        ; implicit-def: $vgpr70
                                        ; implicit-def: $vgpr69
                                        ; implicit-def: $vgpr68
                                        ; implicit-def: $vgpr67
                                        ; implicit-def: $vgpr66
                                        ; implicit-def: $vgpr65
                                        ; implicit-def: $vgpr64
                                        ; implicit-def: $vgpr63
                                        ; implicit-def: $vgpr62
                                        ; implicit-def: $vgpr61
                                        ; implicit-def: $vgpr60
                                        ; implicit-def: $vgpr59
                                        ; implicit-def: $vgpr58
                                        ; implicit-def: $vgpr80
                                        ; implicit-def: $vgpr79
	s_load_dwordx2 s[50:51], s[0:1], 0x20
	s_cbranch_execz .LBB12_164
; %bb.145:
	s_cmp_lg_u64 s[70:71], 0
	s_cselect_b32 s3, s59, 0
	s_cselect_b32 s2, s58, 0
	s_cmp_lg_u64 s[2:3], 0
	s_cselect_b64 s[4:5], -1, 0
	v_cmp_eq_u32_e32 vcc, 0, v0
	s_mov_b32 s48, 0
	v_cmp_ne_u32_e64 s[0:1], 0, v0
	s_and_b64 s[6:7], vcc, s[4:5]
	s_and_saveexec_b64 s[4:5], s[6:7]
	s_cbranch_execz .LBB12_147
; %bb.146:
	v_mov_b32_e32 v2, 0
	global_load_dword v4, v2, s[2:3]
	global_load_ubyte v5, v2, s[2:3] offset:4
	s_mov_b32 s49, 1
	v_and_b32_e32 v3, 1, v11
	v_cmp_gt_u64_e64 s[2:3], s[48:49], v[10:11]
	s_waitcnt vmcnt(0)
	v_and_b32_e32 v5, 1, v5
	v_cndmask_b32_e64 v4, 0, v4, s[2:3]
	v_cmp_eq_u64_e64 s[2:3], 0, v[2:3]
	v_add_u32_e32 v10, v4, v10
	s_nop 0
	v_cndmask_b32_e64 v11, 1, v5, s[2:3]
.LBB12_147:
	s_or_b64 exec, exec, s[4:5]
	s_mov_b32 s49, 1
	v_cmp_gt_u64_e64 s[4:5], s[48:49], v[12:13]
	v_cmp_gt_u64_e64 s[6:7], s[48:49], v[14:15]
	v_cmp_gt_u64_e64 s[8:9], s[48:49], v[16:17]
	v_cndmask_b32_e64 v2, 0, v10, s[4:5]
	v_add_u32_e32 v58, v2, v12
	v_cndmask_b32_e64 v2, 0, v58, s[6:7]
	v_add_u32_e32 v59, v2, v14
	v_cndmask_b32_e64 v2, 0, v59, s[8:9]
	v_add_u32_e32 v60, v2, v16
	v_cmp_gt_u64_e64 s[10:11], s[48:49], v[18:19]
	v_cmp_gt_u64_e64 s[12:13], s[48:49], v[20:21]
	v_cmp_gt_u64_e64 s[14:15], s[48:49], v[22:23]
	v_cndmask_b32_e64 v2, 0, v60, s[10:11]
	v_add_u32_e32 v61, v2, v18
	v_cndmask_b32_e64 v2, 0, v61, s[12:13]
	v_add_u32_e32 v62, v2, v20
	v_cndmask_b32_e64 v2, 0, v62, s[14:15]
	v_add_u32_e32 v63, v2, v22
	;; [unrolled: 9-line block ×7, first 2 shown]
	v_cmp_gt_u64_e64 s[48:49], s[48:49], v[56:57]
	v_add_lshl_u32 v1, v1, v0, 3
	s_nop 0
	v_cndmask_b32_e64 v2, 0, v78, s[48:49]
	v_add_u32_e32 v79, v2, v56
	v_or3_b32 v2, v55, v51, v49
	v_or3_b32 v2, v2, v47, v45
	;; [unrolled: 1-line block ×10, first 2 shown]
	v_and_b32_e32 v2, 1, v2
	v_cmp_eq_u32_e64 s[2:3], 1, v2
	s_nop 1
	v_cndmask_b32_e64 v4, v11, 1, s[2:3]
	v_cmp_gt_u32_e64 s[2:3], 64, v0
	ds_write_b32 v1, v79
	ds_write_b8 v1, v4 offset:4
	s_waitcnt lgkmcnt(0)
	s_barrier
	s_and_saveexec_b64 s[52:53], s[2:3]
	s_cbranch_execz .LBB12_159
; %bb.148:
	v_lshrrev_b32_e32 v1, 3, v0
	v_add_lshl_u32 v1, v1, v54, 3
	ds_read2_b32 v[6:7], v1 offset0:2 offset1:4
	ds_read_b64 v[2:3], v1
	ds_read_u8 v8, v1 offset:12
	ds_read_u8 v9, v1 offset:20
	ds_read_b32 v13, v1 offset:24
	ds_read_u8 v15, v1 offset:28
	v_mov_b32_e32 v17, 0
	s_waitcnt lgkmcnt(3)
	v_cmp_eq_u16_sdwa s[2:3], v8, v17 src0_sel:BYTE_0 src1_sel:DWORD
	v_and_b32_e32 v5, 1, v3
	s_nop 0
	v_cndmask_b32_e64 v19, 0, v2, s[2:3]
	v_add_u32_e32 v6, v19, v6
	s_waitcnt lgkmcnt(2)
	v_cmp_eq_u16_sdwa s[2:3], v9, v17 src0_sel:BYTE_0 src1_sel:DWORD
	s_nop 1
	v_cndmask_b32_e64 v6, 0, v6, s[2:3]
	v_add_u32_e32 v6, v6, v7
	s_waitcnt lgkmcnt(0)
	v_cmp_eq_u16_e64 s[2:3], 0, v15
	s_nop 1
	v_cndmask_b32_e64 v6, 0, v6, s[2:3]
	v_add_u32_e32 v7, v6, v13
	v_or_b32_e32 v6, v15, v9
	v_or_b32_e32 v6, v6, v8
	v_and_b32_e32 v6, 1, v6
	v_cmp_eq_u32_e64 s[2:3], 1, v6
	v_mbcnt_lo_u32_b32 v8, -1, 0
	v_and_b32_e32 v6, 0xffffff00, v3
	v_cndmask_b32_e64 v9, v5, 1, s[2:3]
	v_mbcnt_hi_u32_b32 v8, -1, v8
	v_and_b32_e32 v15, 15, v8
	v_or_b32_sdwa v13, v6, v9 dst_sel:DWORD dst_unused:UNUSED_PAD src0_sel:DWORD src1_sel:WORD_0
	v_mov_b32_dpp v17, v7 row_shr:1 row_mask:0xf bank_mask:0xf
	v_cmp_ne_u32_e64 s[2:3], 0, v15
	v_mov_b32_dpp v19, v13 row_shr:1 row_mask:0xf bank_mask:0xf
	s_and_saveexec_b64 s[56:57], s[2:3]
; %bb.149:
	v_and_b32_e32 v13, 1, v9
	v_and_b32_e32 v19, 1, v19
	v_cmp_eq_u32_e64 s[2:3], 1, v13
	s_nop 1
	v_cndmask_b32_e64 v19, v19, 1, s[2:3]
	v_cmp_eq_u16_e64 s[2:3], 0, v9
	v_or_b32_sdwa v13, v6, v19 dst_sel:DWORD dst_unused:UNUSED_PAD src0_sel:DWORD src1_sel:WORD_0
	s_nop 0
	v_cndmask_b32_e64 v9, 0, v17, s[2:3]
	v_add_u32_e32 v7, v9, v7
	v_mov_b32_e32 v9, v19
; %bb.150:
	s_or_b64 exec, exec, s[56:57]
	v_mov_b32_dpp v17, v7 row_shr:2 row_mask:0xf bank_mask:0xf
	v_mov_b32_dpp v19, v13 row_shr:2 row_mask:0xf bank_mask:0xf
	v_cmp_lt_u32_e64 s[2:3], 1, v15
	s_and_saveexec_b64 s[56:57], s[2:3]
; %bb.151:
	v_and_b32_e32 v13, 1, v9
	v_and_b32_e32 v19, 1, v19
	v_cmp_eq_u32_e64 s[2:3], 1, v13
	s_nop 1
	v_cndmask_b32_e64 v19, v19, 1, s[2:3]
	v_cmp_eq_u16_e64 s[2:3], 0, v9
	v_or_b32_sdwa v13, v6, v19 dst_sel:DWORD dst_unused:UNUSED_PAD src0_sel:DWORD src1_sel:WORD_0
	s_nop 0
	v_cndmask_b32_e64 v9, 0, v17, s[2:3]
	v_add_u32_e32 v7, v9, v7
	v_mov_b32_e32 v9, v19
; %bb.152:
	s_or_b64 exec, exec, s[56:57]
	v_mov_b32_dpp v17, v7 row_shr:4 row_mask:0xf bank_mask:0xf
	v_mov_b32_dpp v19, v13 row_shr:4 row_mask:0xf bank_mask:0xf
	v_cmp_lt_u32_e64 s[2:3], 3, v15
	;; [unrolled: 18-line block ×3, first 2 shown]
	s_and_saveexec_b64 s[56:57], s[2:3]
; %bb.155:
	v_and_b32_e32 v13, 1, v9
	v_and_b32_e32 v15, 1, v19
	v_cmp_eq_u32_e64 s[2:3], 1, v13
	s_nop 1
	v_cndmask_b32_e64 v15, v15, 1, s[2:3]
	v_cmp_eq_u16_e64 s[2:3], 0, v9
	v_or_b32_sdwa v13, v6, v15 dst_sel:DWORD dst_unused:UNUSED_PAD src0_sel:DWORD src1_sel:WORD_0
	s_nop 0
	v_cndmask_b32_e64 v9, 0, v17, s[2:3]
	v_add_u32_e32 v7, v9, v7
	v_mov_b32_e32 v9, v15
; %bb.156:
	s_or_b64 exec, exec, s[56:57]
	v_and_b32_e32 v19, 16, v8
	v_mov_b32_dpp v15, v7 row_bcast:15 row_mask:0xf bank_mask:0xf
	v_mov_b32_dpp v17, v13 row_bcast:15 row_mask:0xf bank_mask:0xf
	v_cmp_ne_u32_e64 s[2:3], 0, v19
	s_and_saveexec_b64 s[56:57], s[2:3]
; %bb.157:
	v_and_b32_e32 v13, 1, v9
	v_and_b32_e32 v17, 1, v17
	v_cmp_eq_u32_e64 s[2:3], 1, v13
	s_nop 1
	v_cndmask_b32_e64 v17, v17, 1, s[2:3]
	v_cmp_eq_u16_e64 s[2:3], 0, v9
	v_or_b32_sdwa v13, v6, v17 dst_sel:DWORD dst_unused:UNUSED_PAD src0_sel:DWORD src1_sel:WORD_0
	s_nop 0
	v_cndmask_b32_e64 v9, 0, v15, s[2:3]
	v_add_u32_e32 v7, v9, v7
	v_mov_b32_e32 v9, v17
; %bb.158:
	s_or_b64 exec, exec, s[56:57]
	v_mov_b32_dpp v13, v13 row_bcast:31 row_mask:0xf bank_mask:0xf
	v_and_b32_e32 v17, 1, v9
	v_and_b32_e32 v13, 1, v13
	v_cmp_eq_u32_e64 s[2:3], 1, v17
	v_mov_b32_e32 v17, 0
	v_cmp_eq_u16_sdwa s[56:57], v9, v17 src0_sel:BYTE_0 src1_sel:DWORD
	v_cndmask_b32_e64 v13, v13, 1, s[2:3]
	v_cmp_lt_u32_e64 s[2:3], 31, v8
	v_mov_b32_dpp v15, v7 row_bcast:31 row_mask:0xf bank_mask:0xf
	s_movk_i32 s58, 0xff
	v_cndmask_b32_e64 v9, v9, v13, s[2:3]
	s_and_b64 s[2:3], s[2:3], s[56:57]
	v_cndmask_b32_e64 v13, 0, v15, s[2:3]
	v_add_u32_e32 v7, v13, v7
	v_add_u32_e32 v13, -1, v8
	v_and_b32_e32 v15, 64, v8
	v_cmp_lt_i32_e64 s[2:3], v13, v15
	v_and_or_b32 v6, v9, s58, v6
	s_nop 0
	v_cndmask_b32_e64 v8, v13, v8, s[2:3]
	v_lshlrev_b32_e32 v8, 2, v8
	ds_bpermute_b32 v7, v8, v7
	ds_bpermute_b32 v6, v8, v6
	v_cmp_eq_u16_sdwa s[2:3], v3, v17 src0_sel:BYTE_0 src1_sel:DWORD
	; wave barrier
	s_waitcnt lgkmcnt(1)
	s_nop 0
	v_cndmask_b32_e64 v3, 0, v7, s[2:3]
	v_add_u32_e32 v2, v3, v2
	s_waitcnt lgkmcnt(0)
	v_and_b32_e32 v3, 1, v6
	v_cmp_eq_u32_e64 s[2:3], 1, v5
	v_cndmask_b32_e32 v5, v2, v79, vcc
	s_nop 0
	v_cndmask_b32_e64 v3, v3, 1, s[2:3]
	v_cndmask_b32_e32 v4, v3, v4, vcc
	ds_write_b32 v1, v5
	ds_write_b8 v1, v4 offset:4
	; wave barrier
	ds_read_u8 v6, v1 offset:12
	ds_read2_b32 v[2:3], v1 offset0:2 offset1:4
	ds_read_u8 v7, v1 offset:20
	ds_read_b32 v8, v1 offset:24
	ds_read_u8 v9, v1 offset:28
	s_waitcnt lgkmcnt(4)
	v_cmp_eq_u16_e64 s[2:3], 0, v6
	s_nop 1
	v_cndmask_b32_e64 v5, 0, v5, s[2:3]
	s_waitcnt lgkmcnt(3)
	v_add_u32_e32 v2, v5, v2
	v_and_b32_e32 v5, 1, v6
	v_cmp_eq_u32_e64 s[2:3], 1, v5
	s_nop 1
	v_cndmask_b32_e64 v4, v4, 1, s[2:3]
	s_waitcnt lgkmcnt(2)
	v_cmp_eq_u16_e64 s[2:3], 0, v7
	ds_write_b8 v1, v4 offset:12
	s_nop 0
	v_cndmask_b32_e64 v5, 0, v2, s[2:3]
	v_add_u32_e32 v3, v5, v3
	v_and_b32_e32 v5, 1, v7
	v_cmp_eq_u32_e64 s[2:3], 1, v5
	s_nop 1
	v_cndmask_b32_e64 v4, v4, 1, s[2:3]
	s_waitcnt lgkmcnt(1)
	v_cmp_eq_u16_e64 s[2:3], 0, v9
	ds_write2_b32 v1, v2, v3 offset0:2 offset1:4
	ds_write_b8 v1, v4 offset:20
	v_cndmask_b32_e64 v2, 0, v3, s[2:3]
	v_and_b32_e32 v3, 1, v9
	v_add_u32_e32 v2, v2, v8
	v_cmp_eq_u32_e64 s[2:3], 1, v3
	s_nop 1
	v_cndmask_b32_e64 v3, v4, 1, s[2:3]
	ds_write_b32 v1, v2 offset:24
	ds_write_b8 v1, v3 offset:28
.LBB12_159:
	s_or_b64 exec, exec, s[52:53]
	v_mov_b32_e32 v1, v79
	s_waitcnt lgkmcnt(0)
	s_barrier
	s_and_saveexec_b64 s[2:3], s[0:1]
	s_cbranch_execnz .LBB12_215
; %bb.160:
	s_or_b64 exec, exec, s[2:3]
	s_and_saveexec_b64 s[2:3], s[0:1]
	s_cbranch_execnz .LBB12_216
.LBB12_161:
	s_or_b64 exec, exec, s[2:3]
	s_and_saveexec_b64 s[0:1], vcc
	s_cbranch_execz .LBB12_163
.LBB12_162:
	v_mov_b32_e32 v5, 0
	ds_read_b32 v2, v5 offset:2096
	ds_read_u8 v3, v5 offset:2100
	s_add_u32 s2, s64, 0x400
	s_addc_u32 s3, s65, 0
	v_mov_b32_e32 v4, 2
	v_mov_b64_e32 v[6:7], s[2:3]
	s_waitcnt lgkmcnt(0)
	;;#ASMSTART
	global_store_dwordx4 v[6:7], v[2:5] off sc1	
s_waitcnt vmcnt(0)
	;;#ASMEND
.LBB12_163:
	s_or_b64 exec, exec, s[0:1]
	v_mov_b32_e32 v80, v10
.LBB12_164:
	s_waitcnt lgkmcnt(0)
	s_add_u32 s0, s50, s68
	s_addc_u32 s1, s51, s69
	s_add_u32 s0, s0, s60
	s_addc_u32 s1, s1, s61
	s_and_b64 vcc, exec, s[54:55]
	s_cbranch_vccz .LBB12_210
; %bb.165:
	s_movk_i32 s2, 0x5c
	v_mul_i32_i24_e32 v26, 0xffffffa8, v0
	v_mul_u32_u24_e32 v1, 0x5c, v0
	v_mad_u32_u24 v2, v0, s2, v26
	s_barrier
	ds_write2_b32 v1, v80, v58 offset1:1
	ds_write2_b32 v1, v59, v60 offset0:2 offset1:3
	ds_write2_b32 v1, v61, v62 offset0:4 offset1:5
	ds_write2_b32 v1, v63, v64 offset0:6 offset1:7
	ds_write2_b32 v1, v65, v66 offset0:8 offset1:9
	ds_write2_b32 v1, v67, v68 offset0:10 offset1:11
	ds_write2_b32 v1, v69, v70 offset0:12 offset1:13
	ds_write2_b32 v1, v71, v72 offset0:14 offset1:15
	ds_write2_b32 v1, v73, v74 offset0:16 offset1:17
	ds_write2_b32 v1, v75, v76 offset0:18 offset1:19
	ds_write2_b32 v1, v77, v78 offset0:20 offset1:21
	ds_write_b32 v1, v79 offset:88
	s_waitcnt lgkmcnt(0)
	s_barrier
	ds_read2st64_b32 v[24:25], v2 offset0:4 offset1:8
	ds_read2st64_b32 v[22:23], v2 offset0:12 offset1:16
	;; [unrolled: 1-line block ×11, first 2 shown]
	s_add_i32 s33, s33, s66
	v_mov_b32_e32 v55, 0
	v_lshl_add_u64 v[4:5], s[0:1], 0, v[54:55]
	v_cmp_gt_u32_e32 vcc, s33, v0
	s_and_saveexec_b64 s[2:3], vcc
	s_cbranch_execz .LBB12_167
; %bb.166:
	v_add_u32_e32 v1, v1, v26
	ds_read_b32 v1, v1
	s_waitcnt lgkmcnt(0)
	global_store_dword v[4:5], v1, off
.LBB12_167:
	s_or_b64 exec, exec, s[2:3]
	v_or_b32_e32 v1, 0x100, v0
	v_cmp_gt_u32_e32 vcc, s33, v1
	s_and_saveexec_b64 s[2:3], vcc
	s_cbranch_execz .LBB12_169
; %bb.168:
	s_waitcnt lgkmcnt(10)
	global_store_dword v[4:5], v24, off offset:1024
.LBB12_169:
	s_or_b64 exec, exec, s[2:3]
	v_or_b32_e32 v1, 0x200, v0
	v_cmp_gt_u32_e32 vcc, s33, v1
	s_and_saveexec_b64 s[2:3], vcc
	s_cbranch_execz .LBB12_171
; %bb.170:
	s_waitcnt lgkmcnt(10)
	global_store_dword v[4:5], v25, off offset:2048
.LBB12_171:
	;; [unrolled: 9-line block ×3, first 2 shown]
	s_or_b64 exec, exec, s[2:3]
	v_or_b32_e32 v1, 0x400, v0
	v_cmp_gt_u32_e32 vcc, s33, v1
	s_and_saveexec_b64 s[2:3], vcc
	s_cbranch_execz .LBB12_175
; %bb.174:
	s_waitcnt lgkmcnt(10)
	v_add_co_u32_e32 v24, vcc, 0x1000, v4
	s_nop 1
	v_addc_co_u32_e32 v25, vcc, 0, v5, vcc
	s_waitcnt lgkmcnt(9)
	global_store_dword v[24:25], v23, off
.LBB12_175:
	s_or_b64 exec, exec, s[2:3]
	v_or_b32_e32 v1, 0x500, v0
	v_cmp_gt_u32_e32 vcc, s33, v1
	s_and_saveexec_b64 s[2:3], vcc
	s_cbranch_execz .LBB12_177
; %bb.176:
	s_waitcnt lgkmcnt(9)
	v_add_co_u32_e32 v22, vcc, 0x1000, v4
	s_nop 1
	v_addc_co_u32_e32 v23, vcc, 0, v5, vcc
	s_waitcnt lgkmcnt(8)
	global_store_dword v[22:23], v20, off offset:1024
.LBB12_177:
	s_or_b64 exec, exec, s[2:3]
	v_or_b32_e32 v1, 0x600, v0
	v_cmp_gt_u32_e32 vcc, s33, v1
	s_and_saveexec_b64 s[2:3], vcc
	s_cbranch_execz .LBB12_179
; %bb.178:
	s_waitcnt lgkmcnt(9)
	v_add_co_u32_e32 v22, vcc, 0x1000, v4
	s_nop 1
	v_addc_co_u32_e32 v23, vcc, 0, v5, vcc
	s_waitcnt lgkmcnt(8)
	global_store_dword v[22:23], v21, off offset:2048
.LBB12_179:
	s_or_b64 exec, exec, s[2:3]
	v_or_b32_e32 v1, 0x700, v0
	v_cmp_gt_u32_e32 vcc, s33, v1
	s_and_saveexec_b64 s[2:3], vcc
	s_cbranch_execz .LBB12_181
; %bb.180:
	s_waitcnt lgkmcnt(8)
	v_add_co_u32_e32 v20, vcc, 0x1000, v4
	s_nop 1
	v_addc_co_u32_e32 v21, vcc, 0, v5, vcc
	s_waitcnt lgkmcnt(7)
	global_store_dword v[20:21], v18, off offset:3072
.LBB12_181:
	s_or_b64 exec, exec, s[2:3]
	v_or_b32_e32 v1, 0x800, v0
	v_cmp_gt_u32_e32 vcc, s33, v1
	s_and_saveexec_b64 s[2:3], vcc
	s_cbranch_execz .LBB12_183
; %bb.182:
	s_waitcnt lgkmcnt(8)
	v_add_co_u32_e32 v20, vcc, 0x2000, v4
	s_nop 1
	v_addc_co_u32_e32 v21, vcc, 0, v5, vcc
	s_waitcnt lgkmcnt(7)
	global_store_dword v[20:21], v19, off
.LBB12_183:
	s_or_b64 exec, exec, s[2:3]
	v_or_b32_e32 v1, 0x900, v0
	v_cmp_gt_u32_e32 vcc, s33, v1
	s_and_saveexec_b64 s[2:3], vcc
	s_cbranch_execz .LBB12_185
; %bb.184:
	s_waitcnt lgkmcnt(7)
	v_add_co_u32_e32 v18, vcc, 0x2000, v4
	s_nop 1
	v_addc_co_u32_e32 v19, vcc, 0, v5, vcc
	s_waitcnt lgkmcnt(6)
	global_store_dword v[18:19], v16, off offset:1024
.LBB12_185:
	s_or_b64 exec, exec, s[2:3]
	v_or_b32_e32 v1, 0xa00, v0
	v_cmp_gt_u32_e32 vcc, s33, v1
	s_and_saveexec_b64 s[2:3], vcc
	s_cbranch_execz .LBB12_187
; %bb.186:
	s_waitcnt lgkmcnt(7)
	v_add_co_u32_e32 v18, vcc, 0x2000, v4
	s_nop 1
	v_addc_co_u32_e32 v19, vcc, 0, v5, vcc
	s_waitcnt lgkmcnt(6)
	global_store_dword v[18:19], v17, off offset:2048
.LBB12_187:
	s_or_b64 exec, exec, s[2:3]
	v_or_b32_e32 v1, 0xb00, v0
	v_cmp_gt_u32_e32 vcc, s33, v1
	s_and_saveexec_b64 s[2:3], vcc
	s_cbranch_execz .LBB12_189
; %bb.188:
	s_waitcnt lgkmcnt(6)
	v_add_co_u32_e32 v16, vcc, 0x2000, v4
	s_nop 1
	v_addc_co_u32_e32 v17, vcc, 0, v5, vcc
	s_waitcnt lgkmcnt(5)
	global_store_dword v[16:17], v14, off offset:3072
.LBB12_189:
	;; [unrolled: 52-line block ×4, first 2 shown]
	s_or_b64 exec, exec, s[2:3]
	v_or_b32_e32 v1, 0x1400, v0
	v_cmp_gt_u32_e32 vcc, s33, v1
	s_and_saveexec_b64 s[2:3], vcc
	s_cbranch_execz .LBB12_207
; %bb.206:
	s_waitcnt lgkmcnt(2)
	v_add_co_u32_e32 v8, vcc, 0x5000, v4
	s_nop 1
	v_addc_co_u32_e32 v9, vcc, 0, v5, vcc
	s_waitcnt lgkmcnt(1)
	global_store_dword v[8:9], v7, off
.LBB12_207:
	s_or_b64 exec, exec, s[2:3]
	v_or_b32_e32 v1, 0x1500, v0
	v_cmp_gt_u32_e32 vcc, s33, v1
	s_and_saveexec_b64 s[2:3], vcc
	s_cbranch_execz .LBB12_209
; %bb.208:
	v_add_co_u32_e32 v4, vcc, 0x5000, v4
	s_nop 1
	v_addc_co_u32_e32 v5, vcc, 0, v5, vcc
	s_waitcnt lgkmcnt(0)
	global_store_dword v[4:5], v2, off offset:1024
.LBB12_209:
	s_or_b64 exec, exec, s[2:3]
	s_waitcnt lgkmcnt(0)
	v_or_b32_e32 v2, 0x1600, v0
	v_mov_b32_e32 v1, v55
	v_cmp_gt_u32_e64 s[2:3], s33, v2
	s_branch .LBB12_212
.LBB12_210:
	s_mov_b64 s[2:3], 0
                                        ; implicit-def: $vgpr3
	s_cbranch_execz .LBB12_212
; %bb.211:
	v_mul_u32_u24_e32 v1, 0x5c, v0
	s_barrier
	s_movk_i32 s4, 0x5c
	ds_write2_b32 v1, v80, v58 offset1:1
	ds_write2_b32 v1, v59, v60 offset0:2 offset1:3
	ds_write2_b32 v1, v61, v62 offset0:4 offset1:5
	;; [unrolled: 1-line block ×10, first 2 shown]
	ds_write_b32 v1, v79 offset:88
	v_mov_b32_e32 v1, 0
	v_mul_i32_i24_e32 v2, 0xffffffa8, v0
	v_mad_u32_u24 v2, v0, s4, v2
	v_mov_b32_e32 v55, v1
	s_waitcnt lgkmcnt(0)
	s_barrier
	ds_read2st64_b32 v[4:5], v2 offset1:4
	ds_read2st64_b32 v[6:7], v2 offset0:8 offset1:12
	ds_read2st64_b32 v[8:9], v2 offset0:16 offset1:20
	ds_read2st64_b32 v[10:11], v2 offset0:24 offset1:28
	ds_read2st64_b32 v[12:13], v2 offset0:32 offset1:36
	ds_read2st64_b32 v[14:15], v2 offset0:40 offset1:44
	ds_read2st64_b32 v[16:17], v2 offset0:48 offset1:52
	ds_read2st64_b32 v[18:19], v2 offset0:56 offset1:60
	ds_read2st64_b32 v[20:21], v2 offset0:64 offset1:68
	ds_read2st64_b32 v[22:23], v2 offset0:72 offset1:76
	ds_read2st64_b32 v[24:25], v2 offset0:80 offset1:84
	ds_read_b32 v3, v2 offset:22528
	v_lshl_add_u64 v[26:27], s[0:1], 0, v[54:55]
	s_movk_i32 s4, 0x1000
	s_waitcnt lgkmcnt(11)
	global_store_dword v54, v4, s[0:1]
	global_store_dword v54, v5, s[0:1] offset:1024
	s_waitcnt lgkmcnt(10)
	global_store_dword v54, v6, s[0:1] offset:2048
	global_store_dword v54, v7, s[0:1] offset:3072
	v_add_co_u32_e32 v4, vcc, s4, v26
	s_movk_i32 s4, 0x2000
	s_nop 0
	v_addc_co_u32_e32 v5, vcc, 0, v27, vcc
	v_add_co_u32_e32 v6, vcc, s4, v26
	s_movk_i32 s4, 0x3000
	s_nop 0
	v_addc_co_u32_e32 v7, vcc, 0, v27, vcc
	s_waitcnt lgkmcnt(9)
	global_store_dword v[6:7], v8, off offset:-4096
	global_store_dword v[4:5], v9, off offset:1024
	s_waitcnt lgkmcnt(8)
	global_store_dword v[4:5], v10, off offset:2048
	global_store_dword v[4:5], v11, off offset:3072
	s_waitcnt lgkmcnt(7)
	global_store_dword v[6:7], v12, off
	global_store_dword v[6:7], v13, off offset:1024
	s_waitcnt lgkmcnt(6)
	global_store_dword v[6:7], v14, off offset:2048
	global_store_dword v[6:7], v15, off offset:3072
	v_add_co_u32_e32 v4, vcc, s4, v26
	s_or_b64 s[2:3], s[2:3], exec
	s_nop 0
	v_addc_co_u32_e32 v5, vcc, 0, v27, vcc
	s_waitcnt lgkmcnt(5)
	global_store_dword v[4:5], v16, off
	global_store_dword v[4:5], v17, off offset:1024
	s_waitcnt lgkmcnt(4)
	global_store_dword v[4:5], v18, off offset:2048
	global_store_dword v[4:5], v19, off offset:3072
	v_add_co_u32_e32 v4, vcc, 0x4000, v26
	s_nop 1
	v_addc_co_u32_e32 v5, vcc, 0, v27, vcc
	s_waitcnt lgkmcnt(3)
	global_store_dword v[4:5], v20, off
	global_store_dword v[4:5], v21, off offset:1024
	s_waitcnt lgkmcnt(2)
	global_store_dword v[4:5], v22, off offset:2048
	global_store_dword v[4:5], v23, off offset:3072
	v_add_co_u32_e32 v4, vcc, 0x5000, v26
	s_nop 1
	v_addc_co_u32_e32 v5, vcc, 0, v27, vcc
	s_waitcnt lgkmcnt(1)
	global_store_dword v[4:5], v24, off
	global_store_dword v[4:5], v25, off offset:1024
.LBB12_212:
	s_and_saveexec_b64 s[4:5], s[2:3]
	s_cbranch_execnz .LBB12_214
; %bb.213:
	s_endpgm
.LBB12_214:
	v_lshl_add_u64 v[0:1], v[0:1], 2, s[0:1]
	v_add_co_u32_e32 v0, vcc, 0x5000, v0
	s_nop 1
	v_addc_co_u32_e32 v1, vcc, 0, v1, vcc
	s_waitcnt lgkmcnt(0)
	global_store_dword v[0:1], v3, off offset:2048
	s_endpgm
.LBB12_215:
	v_add_u32_e32 v1, -1, v0
	v_lshrrev_b32_e32 v2, 5, v1
	v_add_lshl_u32 v1, v2, v1, 3
	ds_read_b32 v1, v1
	s_or_b64 exec, exec, s[2:3]
	s_and_saveexec_b64 s[2:3], s[0:1]
	s_cbranch_execz .LBB12_161
.LBB12_216:
	v_and_b32_e32 v3, 0xff, v11
	v_mov_b32_e32 v2, 0
	v_cmp_eq_u64_e64 s[0:1], 0, v[2:3]
	;;#ASMSTART
	;;#ASMEND
	s_waitcnt lgkmcnt(0)
	s_nop 0
	v_cndmask_b32_e64 v1, 0, v1, s[0:1]
	v_add_u32_e32 v10, v1, v10
	v_cndmask_b32_e64 v1, 0, v10, s[4:5]
	v_add_u32_e32 v58, v1, v12
	;; [unrolled: 2-line block ×23, first 2 shown]
	s_or_b64 exec, exec, s[2:3]
	s_and_saveexec_b64 s[0:1], vcc
	s_cbranch_execnz .LBB12_162
	s_branch .LBB12_163
.LBB12_217:
                                        ; implicit-def: $sgpr4_sgpr5
	s_branch .LBB12_50
.LBB12_218:
                                        ; implicit-def: $sgpr4_sgpr5
	s_branch .LBB12_102
	.section	.rodata,"a",@progbits
	.p2align	6, 0x0
	.amdhsa_kernel _ZN7rocprim17ROCPRIM_400000_NS6detail17trampoline_kernelINS0_14default_configENS1_27scan_by_key_config_selectorIiiEEZZNS1_16scan_by_key_implILNS1_25lookback_scan_determinismE0ELb0ES3_PKiN6hipcub16HIPCUB_304000_NS21ConstantInputIteratorIilEEPiiNSB_3SumENSB_8EqualityEiEE10hipError_tPvRmT2_T3_T4_T5_mT6_T7_P12ihipStream_tbENKUlT_T0_E_clISt17integral_constantIbLb0EESX_EEDaSS_ST_EUlSS_E_NS1_11comp_targetILNS1_3genE5ELNS1_11target_archE942ELNS1_3gpuE9ELNS1_3repE0EEENS1_30default_config_static_selectorELNS0_4arch9wavefront6targetE1EEEvT1_
		.amdhsa_group_segment_fixed_size 25600
		.amdhsa_private_segment_fixed_size 0
		.amdhsa_kernarg_size 120
		.amdhsa_user_sgpr_count 2
		.amdhsa_user_sgpr_dispatch_ptr 0
		.amdhsa_user_sgpr_queue_ptr 0
		.amdhsa_user_sgpr_kernarg_segment_ptr 1
		.amdhsa_user_sgpr_dispatch_id 0
		.amdhsa_user_sgpr_kernarg_preload_length 0
		.amdhsa_user_sgpr_kernarg_preload_offset 0
		.amdhsa_user_sgpr_private_segment_size 0
		.amdhsa_uses_dynamic_stack 0
		.amdhsa_enable_private_segment 0
		.amdhsa_system_sgpr_workgroup_id_x 1
		.amdhsa_system_sgpr_workgroup_id_y 0
		.amdhsa_system_sgpr_workgroup_id_z 0
		.amdhsa_system_sgpr_workgroup_info 0
		.amdhsa_system_vgpr_workitem_id 0
		.amdhsa_next_free_vgpr 81
		.amdhsa_next_free_sgpr 80
		.amdhsa_accum_offset 84
		.amdhsa_reserve_vcc 1
		.amdhsa_float_round_mode_32 0
		.amdhsa_float_round_mode_16_64 0
		.amdhsa_float_denorm_mode_32 3
		.amdhsa_float_denorm_mode_16_64 3
		.amdhsa_dx10_clamp 1
		.amdhsa_ieee_mode 1
		.amdhsa_fp16_overflow 0
		.amdhsa_tg_split 0
		.amdhsa_exception_fp_ieee_invalid_op 0
		.amdhsa_exception_fp_denorm_src 0
		.amdhsa_exception_fp_ieee_div_zero 0
		.amdhsa_exception_fp_ieee_overflow 0
		.amdhsa_exception_fp_ieee_underflow 0
		.amdhsa_exception_fp_ieee_inexact 0
		.amdhsa_exception_int_div_zero 0
	.end_amdhsa_kernel
	.section	.text._ZN7rocprim17ROCPRIM_400000_NS6detail17trampoline_kernelINS0_14default_configENS1_27scan_by_key_config_selectorIiiEEZZNS1_16scan_by_key_implILNS1_25lookback_scan_determinismE0ELb0ES3_PKiN6hipcub16HIPCUB_304000_NS21ConstantInputIteratorIilEEPiiNSB_3SumENSB_8EqualityEiEE10hipError_tPvRmT2_T3_T4_T5_mT6_T7_P12ihipStream_tbENKUlT_T0_E_clISt17integral_constantIbLb0EESX_EEDaSS_ST_EUlSS_E_NS1_11comp_targetILNS1_3genE5ELNS1_11target_archE942ELNS1_3gpuE9ELNS1_3repE0EEENS1_30default_config_static_selectorELNS0_4arch9wavefront6targetE1EEEvT1_,"axG",@progbits,_ZN7rocprim17ROCPRIM_400000_NS6detail17trampoline_kernelINS0_14default_configENS1_27scan_by_key_config_selectorIiiEEZZNS1_16scan_by_key_implILNS1_25lookback_scan_determinismE0ELb0ES3_PKiN6hipcub16HIPCUB_304000_NS21ConstantInputIteratorIilEEPiiNSB_3SumENSB_8EqualityEiEE10hipError_tPvRmT2_T3_T4_T5_mT6_T7_P12ihipStream_tbENKUlT_T0_E_clISt17integral_constantIbLb0EESX_EEDaSS_ST_EUlSS_E_NS1_11comp_targetILNS1_3genE5ELNS1_11target_archE942ELNS1_3gpuE9ELNS1_3repE0EEENS1_30default_config_static_selectorELNS0_4arch9wavefront6targetE1EEEvT1_,comdat
.Lfunc_end12:
	.size	_ZN7rocprim17ROCPRIM_400000_NS6detail17trampoline_kernelINS0_14default_configENS1_27scan_by_key_config_selectorIiiEEZZNS1_16scan_by_key_implILNS1_25lookback_scan_determinismE0ELb0ES3_PKiN6hipcub16HIPCUB_304000_NS21ConstantInputIteratorIilEEPiiNSB_3SumENSB_8EqualityEiEE10hipError_tPvRmT2_T3_T4_T5_mT6_T7_P12ihipStream_tbENKUlT_T0_E_clISt17integral_constantIbLb0EESX_EEDaSS_ST_EUlSS_E_NS1_11comp_targetILNS1_3genE5ELNS1_11target_archE942ELNS1_3gpuE9ELNS1_3repE0EEENS1_30default_config_static_selectorELNS0_4arch9wavefront6targetE1EEEvT1_, .Lfunc_end12-_ZN7rocprim17ROCPRIM_400000_NS6detail17trampoline_kernelINS0_14default_configENS1_27scan_by_key_config_selectorIiiEEZZNS1_16scan_by_key_implILNS1_25lookback_scan_determinismE0ELb0ES3_PKiN6hipcub16HIPCUB_304000_NS21ConstantInputIteratorIilEEPiiNSB_3SumENSB_8EqualityEiEE10hipError_tPvRmT2_T3_T4_T5_mT6_T7_P12ihipStream_tbENKUlT_T0_E_clISt17integral_constantIbLb0EESX_EEDaSS_ST_EUlSS_E_NS1_11comp_targetILNS1_3genE5ELNS1_11target_archE942ELNS1_3gpuE9ELNS1_3repE0EEENS1_30default_config_static_selectorELNS0_4arch9wavefront6targetE1EEEvT1_
                                        ; -- End function
	.section	.AMDGPU.csdata,"",@progbits
; Kernel info:
; codeLenInByte = 13912
; NumSgprs: 86
; NumVgprs: 81
; NumAgprs: 0
; TotalNumVgprs: 81
; ScratchSize: 0
; MemoryBound: 0
; FloatMode: 240
; IeeeMode: 1
; LDSByteSize: 25600 bytes/workgroup (compile time only)
; SGPRBlocks: 10
; VGPRBlocks: 10
; NumSGPRsForWavesPerEU: 86
; NumVGPRsForWavesPerEU: 81
; AccumOffset: 84
; Occupancy: 2
; WaveLimiterHint : 1
; COMPUTE_PGM_RSRC2:SCRATCH_EN: 0
; COMPUTE_PGM_RSRC2:USER_SGPR: 2
; COMPUTE_PGM_RSRC2:TRAP_HANDLER: 0
; COMPUTE_PGM_RSRC2:TGID_X_EN: 1
; COMPUTE_PGM_RSRC2:TGID_Y_EN: 0
; COMPUTE_PGM_RSRC2:TGID_Z_EN: 0
; COMPUTE_PGM_RSRC2:TIDIG_COMP_CNT: 0
; COMPUTE_PGM_RSRC3_GFX90A:ACCUM_OFFSET: 20
; COMPUTE_PGM_RSRC3_GFX90A:TG_SPLIT: 0
	.section	.text._ZN7rocprim17ROCPRIM_400000_NS6detail17trampoline_kernelINS0_14default_configENS1_27scan_by_key_config_selectorIiiEEZZNS1_16scan_by_key_implILNS1_25lookback_scan_determinismE0ELb0ES3_PKiN6hipcub16HIPCUB_304000_NS21ConstantInputIteratorIilEEPiiNSB_3SumENSB_8EqualityEiEE10hipError_tPvRmT2_T3_T4_T5_mT6_T7_P12ihipStream_tbENKUlT_T0_E_clISt17integral_constantIbLb0EESX_EEDaSS_ST_EUlSS_E_NS1_11comp_targetILNS1_3genE4ELNS1_11target_archE910ELNS1_3gpuE8ELNS1_3repE0EEENS1_30default_config_static_selectorELNS0_4arch9wavefront6targetE1EEEvT1_,"axG",@progbits,_ZN7rocprim17ROCPRIM_400000_NS6detail17trampoline_kernelINS0_14default_configENS1_27scan_by_key_config_selectorIiiEEZZNS1_16scan_by_key_implILNS1_25lookback_scan_determinismE0ELb0ES3_PKiN6hipcub16HIPCUB_304000_NS21ConstantInputIteratorIilEEPiiNSB_3SumENSB_8EqualityEiEE10hipError_tPvRmT2_T3_T4_T5_mT6_T7_P12ihipStream_tbENKUlT_T0_E_clISt17integral_constantIbLb0EESX_EEDaSS_ST_EUlSS_E_NS1_11comp_targetILNS1_3genE4ELNS1_11target_archE910ELNS1_3gpuE8ELNS1_3repE0EEENS1_30default_config_static_selectorELNS0_4arch9wavefront6targetE1EEEvT1_,comdat
	.protected	_ZN7rocprim17ROCPRIM_400000_NS6detail17trampoline_kernelINS0_14default_configENS1_27scan_by_key_config_selectorIiiEEZZNS1_16scan_by_key_implILNS1_25lookback_scan_determinismE0ELb0ES3_PKiN6hipcub16HIPCUB_304000_NS21ConstantInputIteratorIilEEPiiNSB_3SumENSB_8EqualityEiEE10hipError_tPvRmT2_T3_T4_T5_mT6_T7_P12ihipStream_tbENKUlT_T0_E_clISt17integral_constantIbLb0EESX_EEDaSS_ST_EUlSS_E_NS1_11comp_targetILNS1_3genE4ELNS1_11target_archE910ELNS1_3gpuE8ELNS1_3repE0EEENS1_30default_config_static_selectorELNS0_4arch9wavefront6targetE1EEEvT1_ ; -- Begin function _ZN7rocprim17ROCPRIM_400000_NS6detail17trampoline_kernelINS0_14default_configENS1_27scan_by_key_config_selectorIiiEEZZNS1_16scan_by_key_implILNS1_25lookback_scan_determinismE0ELb0ES3_PKiN6hipcub16HIPCUB_304000_NS21ConstantInputIteratorIilEEPiiNSB_3SumENSB_8EqualityEiEE10hipError_tPvRmT2_T3_T4_T5_mT6_T7_P12ihipStream_tbENKUlT_T0_E_clISt17integral_constantIbLb0EESX_EEDaSS_ST_EUlSS_E_NS1_11comp_targetILNS1_3genE4ELNS1_11target_archE910ELNS1_3gpuE8ELNS1_3repE0EEENS1_30default_config_static_selectorELNS0_4arch9wavefront6targetE1EEEvT1_
	.globl	_ZN7rocprim17ROCPRIM_400000_NS6detail17trampoline_kernelINS0_14default_configENS1_27scan_by_key_config_selectorIiiEEZZNS1_16scan_by_key_implILNS1_25lookback_scan_determinismE0ELb0ES3_PKiN6hipcub16HIPCUB_304000_NS21ConstantInputIteratorIilEEPiiNSB_3SumENSB_8EqualityEiEE10hipError_tPvRmT2_T3_T4_T5_mT6_T7_P12ihipStream_tbENKUlT_T0_E_clISt17integral_constantIbLb0EESX_EEDaSS_ST_EUlSS_E_NS1_11comp_targetILNS1_3genE4ELNS1_11target_archE910ELNS1_3gpuE8ELNS1_3repE0EEENS1_30default_config_static_selectorELNS0_4arch9wavefront6targetE1EEEvT1_
	.p2align	8
	.type	_ZN7rocprim17ROCPRIM_400000_NS6detail17trampoline_kernelINS0_14default_configENS1_27scan_by_key_config_selectorIiiEEZZNS1_16scan_by_key_implILNS1_25lookback_scan_determinismE0ELb0ES3_PKiN6hipcub16HIPCUB_304000_NS21ConstantInputIteratorIilEEPiiNSB_3SumENSB_8EqualityEiEE10hipError_tPvRmT2_T3_T4_T5_mT6_T7_P12ihipStream_tbENKUlT_T0_E_clISt17integral_constantIbLb0EESX_EEDaSS_ST_EUlSS_E_NS1_11comp_targetILNS1_3genE4ELNS1_11target_archE910ELNS1_3gpuE8ELNS1_3repE0EEENS1_30default_config_static_selectorELNS0_4arch9wavefront6targetE1EEEvT1_,@function
_ZN7rocprim17ROCPRIM_400000_NS6detail17trampoline_kernelINS0_14default_configENS1_27scan_by_key_config_selectorIiiEEZZNS1_16scan_by_key_implILNS1_25lookback_scan_determinismE0ELb0ES3_PKiN6hipcub16HIPCUB_304000_NS21ConstantInputIteratorIilEEPiiNSB_3SumENSB_8EqualityEiEE10hipError_tPvRmT2_T3_T4_T5_mT6_T7_P12ihipStream_tbENKUlT_T0_E_clISt17integral_constantIbLb0EESX_EEDaSS_ST_EUlSS_E_NS1_11comp_targetILNS1_3genE4ELNS1_11target_archE910ELNS1_3gpuE8ELNS1_3repE0EEENS1_30default_config_static_selectorELNS0_4arch9wavefront6targetE1EEEvT1_: ; @_ZN7rocprim17ROCPRIM_400000_NS6detail17trampoline_kernelINS0_14default_configENS1_27scan_by_key_config_selectorIiiEEZZNS1_16scan_by_key_implILNS1_25lookback_scan_determinismE0ELb0ES3_PKiN6hipcub16HIPCUB_304000_NS21ConstantInputIteratorIilEEPiiNSB_3SumENSB_8EqualityEiEE10hipError_tPvRmT2_T3_T4_T5_mT6_T7_P12ihipStream_tbENKUlT_T0_E_clISt17integral_constantIbLb0EESX_EEDaSS_ST_EUlSS_E_NS1_11comp_targetILNS1_3genE4ELNS1_11target_archE910ELNS1_3gpuE8ELNS1_3repE0EEENS1_30default_config_static_selectorELNS0_4arch9wavefront6targetE1EEEvT1_
; %bb.0:
	.section	.rodata,"a",@progbits
	.p2align	6, 0x0
	.amdhsa_kernel _ZN7rocprim17ROCPRIM_400000_NS6detail17trampoline_kernelINS0_14default_configENS1_27scan_by_key_config_selectorIiiEEZZNS1_16scan_by_key_implILNS1_25lookback_scan_determinismE0ELb0ES3_PKiN6hipcub16HIPCUB_304000_NS21ConstantInputIteratorIilEEPiiNSB_3SumENSB_8EqualityEiEE10hipError_tPvRmT2_T3_T4_T5_mT6_T7_P12ihipStream_tbENKUlT_T0_E_clISt17integral_constantIbLb0EESX_EEDaSS_ST_EUlSS_E_NS1_11comp_targetILNS1_3genE4ELNS1_11target_archE910ELNS1_3gpuE8ELNS1_3repE0EEENS1_30default_config_static_selectorELNS0_4arch9wavefront6targetE1EEEvT1_
		.amdhsa_group_segment_fixed_size 0
		.amdhsa_private_segment_fixed_size 0
		.amdhsa_kernarg_size 120
		.amdhsa_user_sgpr_count 2
		.amdhsa_user_sgpr_dispatch_ptr 0
		.amdhsa_user_sgpr_queue_ptr 0
		.amdhsa_user_sgpr_kernarg_segment_ptr 1
		.amdhsa_user_sgpr_dispatch_id 0
		.amdhsa_user_sgpr_kernarg_preload_length 0
		.amdhsa_user_sgpr_kernarg_preload_offset 0
		.amdhsa_user_sgpr_private_segment_size 0
		.amdhsa_uses_dynamic_stack 0
		.amdhsa_enable_private_segment 0
		.amdhsa_system_sgpr_workgroup_id_x 1
		.amdhsa_system_sgpr_workgroup_id_y 0
		.amdhsa_system_sgpr_workgroup_id_z 0
		.amdhsa_system_sgpr_workgroup_info 0
		.amdhsa_system_vgpr_workitem_id 0
		.amdhsa_next_free_vgpr 1
		.amdhsa_next_free_sgpr 0
		.amdhsa_accum_offset 4
		.amdhsa_reserve_vcc 0
		.amdhsa_float_round_mode_32 0
		.amdhsa_float_round_mode_16_64 0
		.amdhsa_float_denorm_mode_32 3
		.amdhsa_float_denorm_mode_16_64 3
		.amdhsa_dx10_clamp 1
		.amdhsa_ieee_mode 1
		.amdhsa_fp16_overflow 0
		.amdhsa_tg_split 0
		.amdhsa_exception_fp_ieee_invalid_op 0
		.amdhsa_exception_fp_denorm_src 0
		.amdhsa_exception_fp_ieee_div_zero 0
		.amdhsa_exception_fp_ieee_overflow 0
		.amdhsa_exception_fp_ieee_underflow 0
		.amdhsa_exception_fp_ieee_inexact 0
		.amdhsa_exception_int_div_zero 0
	.end_amdhsa_kernel
	.section	.text._ZN7rocprim17ROCPRIM_400000_NS6detail17trampoline_kernelINS0_14default_configENS1_27scan_by_key_config_selectorIiiEEZZNS1_16scan_by_key_implILNS1_25lookback_scan_determinismE0ELb0ES3_PKiN6hipcub16HIPCUB_304000_NS21ConstantInputIteratorIilEEPiiNSB_3SumENSB_8EqualityEiEE10hipError_tPvRmT2_T3_T4_T5_mT6_T7_P12ihipStream_tbENKUlT_T0_E_clISt17integral_constantIbLb0EESX_EEDaSS_ST_EUlSS_E_NS1_11comp_targetILNS1_3genE4ELNS1_11target_archE910ELNS1_3gpuE8ELNS1_3repE0EEENS1_30default_config_static_selectorELNS0_4arch9wavefront6targetE1EEEvT1_,"axG",@progbits,_ZN7rocprim17ROCPRIM_400000_NS6detail17trampoline_kernelINS0_14default_configENS1_27scan_by_key_config_selectorIiiEEZZNS1_16scan_by_key_implILNS1_25lookback_scan_determinismE0ELb0ES3_PKiN6hipcub16HIPCUB_304000_NS21ConstantInputIteratorIilEEPiiNSB_3SumENSB_8EqualityEiEE10hipError_tPvRmT2_T3_T4_T5_mT6_T7_P12ihipStream_tbENKUlT_T0_E_clISt17integral_constantIbLb0EESX_EEDaSS_ST_EUlSS_E_NS1_11comp_targetILNS1_3genE4ELNS1_11target_archE910ELNS1_3gpuE8ELNS1_3repE0EEENS1_30default_config_static_selectorELNS0_4arch9wavefront6targetE1EEEvT1_,comdat
.Lfunc_end13:
	.size	_ZN7rocprim17ROCPRIM_400000_NS6detail17trampoline_kernelINS0_14default_configENS1_27scan_by_key_config_selectorIiiEEZZNS1_16scan_by_key_implILNS1_25lookback_scan_determinismE0ELb0ES3_PKiN6hipcub16HIPCUB_304000_NS21ConstantInputIteratorIilEEPiiNSB_3SumENSB_8EqualityEiEE10hipError_tPvRmT2_T3_T4_T5_mT6_T7_P12ihipStream_tbENKUlT_T0_E_clISt17integral_constantIbLb0EESX_EEDaSS_ST_EUlSS_E_NS1_11comp_targetILNS1_3genE4ELNS1_11target_archE910ELNS1_3gpuE8ELNS1_3repE0EEENS1_30default_config_static_selectorELNS0_4arch9wavefront6targetE1EEEvT1_, .Lfunc_end13-_ZN7rocprim17ROCPRIM_400000_NS6detail17trampoline_kernelINS0_14default_configENS1_27scan_by_key_config_selectorIiiEEZZNS1_16scan_by_key_implILNS1_25lookback_scan_determinismE0ELb0ES3_PKiN6hipcub16HIPCUB_304000_NS21ConstantInputIteratorIilEEPiiNSB_3SumENSB_8EqualityEiEE10hipError_tPvRmT2_T3_T4_T5_mT6_T7_P12ihipStream_tbENKUlT_T0_E_clISt17integral_constantIbLb0EESX_EEDaSS_ST_EUlSS_E_NS1_11comp_targetILNS1_3genE4ELNS1_11target_archE910ELNS1_3gpuE8ELNS1_3repE0EEENS1_30default_config_static_selectorELNS0_4arch9wavefront6targetE1EEEvT1_
                                        ; -- End function
	.section	.AMDGPU.csdata,"",@progbits
; Kernel info:
; codeLenInByte = 0
; NumSgprs: 6
; NumVgprs: 0
; NumAgprs: 0
; TotalNumVgprs: 0
; ScratchSize: 0
; MemoryBound: 0
; FloatMode: 240
; IeeeMode: 1
; LDSByteSize: 0 bytes/workgroup (compile time only)
; SGPRBlocks: 0
; VGPRBlocks: 0
; NumSGPRsForWavesPerEU: 6
; NumVGPRsForWavesPerEU: 1
; AccumOffset: 4
; Occupancy: 8
; WaveLimiterHint : 0
; COMPUTE_PGM_RSRC2:SCRATCH_EN: 0
; COMPUTE_PGM_RSRC2:USER_SGPR: 2
; COMPUTE_PGM_RSRC2:TRAP_HANDLER: 0
; COMPUTE_PGM_RSRC2:TGID_X_EN: 1
; COMPUTE_PGM_RSRC2:TGID_Y_EN: 0
; COMPUTE_PGM_RSRC2:TGID_Z_EN: 0
; COMPUTE_PGM_RSRC2:TIDIG_COMP_CNT: 0
; COMPUTE_PGM_RSRC3_GFX90A:ACCUM_OFFSET: 0
; COMPUTE_PGM_RSRC3_GFX90A:TG_SPLIT: 0
	.section	.text._ZN7rocprim17ROCPRIM_400000_NS6detail17trampoline_kernelINS0_14default_configENS1_27scan_by_key_config_selectorIiiEEZZNS1_16scan_by_key_implILNS1_25lookback_scan_determinismE0ELb0ES3_PKiN6hipcub16HIPCUB_304000_NS21ConstantInputIteratorIilEEPiiNSB_3SumENSB_8EqualityEiEE10hipError_tPvRmT2_T3_T4_T5_mT6_T7_P12ihipStream_tbENKUlT_T0_E_clISt17integral_constantIbLb0EESX_EEDaSS_ST_EUlSS_E_NS1_11comp_targetILNS1_3genE3ELNS1_11target_archE908ELNS1_3gpuE7ELNS1_3repE0EEENS1_30default_config_static_selectorELNS0_4arch9wavefront6targetE1EEEvT1_,"axG",@progbits,_ZN7rocprim17ROCPRIM_400000_NS6detail17trampoline_kernelINS0_14default_configENS1_27scan_by_key_config_selectorIiiEEZZNS1_16scan_by_key_implILNS1_25lookback_scan_determinismE0ELb0ES3_PKiN6hipcub16HIPCUB_304000_NS21ConstantInputIteratorIilEEPiiNSB_3SumENSB_8EqualityEiEE10hipError_tPvRmT2_T3_T4_T5_mT6_T7_P12ihipStream_tbENKUlT_T0_E_clISt17integral_constantIbLb0EESX_EEDaSS_ST_EUlSS_E_NS1_11comp_targetILNS1_3genE3ELNS1_11target_archE908ELNS1_3gpuE7ELNS1_3repE0EEENS1_30default_config_static_selectorELNS0_4arch9wavefront6targetE1EEEvT1_,comdat
	.protected	_ZN7rocprim17ROCPRIM_400000_NS6detail17trampoline_kernelINS0_14default_configENS1_27scan_by_key_config_selectorIiiEEZZNS1_16scan_by_key_implILNS1_25lookback_scan_determinismE0ELb0ES3_PKiN6hipcub16HIPCUB_304000_NS21ConstantInputIteratorIilEEPiiNSB_3SumENSB_8EqualityEiEE10hipError_tPvRmT2_T3_T4_T5_mT6_T7_P12ihipStream_tbENKUlT_T0_E_clISt17integral_constantIbLb0EESX_EEDaSS_ST_EUlSS_E_NS1_11comp_targetILNS1_3genE3ELNS1_11target_archE908ELNS1_3gpuE7ELNS1_3repE0EEENS1_30default_config_static_selectorELNS0_4arch9wavefront6targetE1EEEvT1_ ; -- Begin function _ZN7rocprim17ROCPRIM_400000_NS6detail17trampoline_kernelINS0_14default_configENS1_27scan_by_key_config_selectorIiiEEZZNS1_16scan_by_key_implILNS1_25lookback_scan_determinismE0ELb0ES3_PKiN6hipcub16HIPCUB_304000_NS21ConstantInputIteratorIilEEPiiNSB_3SumENSB_8EqualityEiEE10hipError_tPvRmT2_T3_T4_T5_mT6_T7_P12ihipStream_tbENKUlT_T0_E_clISt17integral_constantIbLb0EESX_EEDaSS_ST_EUlSS_E_NS1_11comp_targetILNS1_3genE3ELNS1_11target_archE908ELNS1_3gpuE7ELNS1_3repE0EEENS1_30default_config_static_selectorELNS0_4arch9wavefront6targetE1EEEvT1_
	.globl	_ZN7rocprim17ROCPRIM_400000_NS6detail17trampoline_kernelINS0_14default_configENS1_27scan_by_key_config_selectorIiiEEZZNS1_16scan_by_key_implILNS1_25lookback_scan_determinismE0ELb0ES3_PKiN6hipcub16HIPCUB_304000_NS21ConstantInputIteratorIilEEPiiNSB_3SumENSB_8EqualityEiEE10hipError_tPvRmT2_T3_T4_T5_mT6_T7_P12ihipStream_tbENKUlT_T0_E_clISt17integral_constantIbLb0EESX_EEDaSS_ST_EUlSS_E_NS1_11comp_targetILNS1_3genE3ELNS1_11target_archE908ELNS1_3gpuE7ELNS1_3repE0EEENS1_30default_config_static_selectorELNS0_4arch9wavefront6targetE1EEEvT1_
	.p2align	8
	.type	_ZN7rocprim17ROCPRIM_400000_NS6detail17trampoline_kernelINS0_14default_configENS1_27scan_by_key_config_selectorIiiEEZZNS1_16scan_by_key_implILNS1_25lookback_scan_determinismE0ELb0ES3_PKiN6hipcub16HIPCUB_304000_NS21ConstantInputIteratorIilEEPiiNSB_3SumENSB_8EqualityEiEE10hipError_tPvRmT2_T3_T4_T5_mT6_T7_P12ihipStream_tbENKUlT_T0_E_clISt17integral_constantIbLb0EESX_EEDaSS_ST_EUlSS_E_NS1_11comp_targetILNS1_3genE3ELNS1_11target_archE908ELNS1_3gpuE7ELNS1_3repE0EEENS1_30default_config_static_selectorELNS0_4arch9wavefront6targetE1EEEvT1_,@function
_ZN7rocprim17ROCPRIM_400000_NS6detail17trampoline_kernelINS0_14default_configENS1_27scan_by_key_config_selectorIiiEEZZNS1_16scan_by_key_implILNS1_25lookback_scan_determinismE0ELb0ES3_PKiN6hipcub16HIPCUB_304000_NS21ConstantInputIteratorIilEEPiiNSB_3SumENSB_8EqualityEiEE10hipError_tPvRmT2_T3_T4_T5_mT6_T7_P12ihipStream_tbENKUlT_T0_E_clISt17integral_constantIbLb0EESX_EEDaSS_ST_EUlSS_E_NS1_11comp_targetILNS1_3genE3ELNS1_11target_archE908ELNS1_3gpuE7ELNS1_3repE0EEENS1_30default_config_static_selectorELNS0_4arch9wavefront6targetE1EEEvT1_: ; @_ZN7rocprim17ROCPRIM_400000_NS6detail17trampoline_kernelINS0_14default_configENS1_27scan_by_key_config_selectorIiiEEZZNS1_16scan_by_key_implILNS1_25lookback_scan_determinismE0ELb0ES3_PKiN6hipcub16HIPCUB_304000_NS21ConstantInputIteratorIilEEPiiNSB_3SumENSB_8EqualityEiEE10hipError_tPvRmT2_T3_T4_T5_mT6_T7_P12ihipStream_tbENKUlT_T0_E_clISt17integral_constantIbLb0EESX_EEDaSS_ST_EUlSS_E_NS1_11comp_targetILNS1_3genE3ELNS1_11target_archE908ELNS1_3gpuE7ELNS1_3repE0EEENS1_30default_config_static_selectorELNS0_4arch9wavefront6targetE1EEEvT1_
; %bb.0:
	.section	.rodata,"a",@progbits
	.p2align	6, 0x0
	.amdhsa_kernel _ZN7rocprim17ROCPRIM_400000_NS6detail17trampoline_kernelINS0_14default_configENS1_27scan_by_key_config_selectorIiiEEZZNS1_16scan_by_key_implILNS1_25lookback_scan_determinismE0ELb0ES3_PKiN6hipcub16HIPCUB_304000_NS21ConstantInputIteratorIilEEPiiNSB_3SumENSB_8EqualityEiEE10hipError_tPvRmT2_T3_T4_T5_mT6_T7_P12ihipStream_tbENKUlT_T0_E_clISt17integral_constantIbLb0EESX_EEDaSS_ST_EUlSS_E_NS1_11comp_targetILNS1_3genE3ELNS1_11target_archE908ELNS1_3gpuE7ELNS1_3repE0EEENS1_30default_config_static_selectorELNS0_4arch9wavefront6targetE1EEEvT1_
		.amdhsa_group_segment_fixed_size 0
		.amdhsa_private_segment_fixed_size 0
		.amdhsa_kernarg_size 120
		.amdhsa_user_sgpr_count 2
		.amdhsa_user_sgpr_dispatch_ptr 0
		.amdhsa_user_sgpr_queue_ptr 0
		.amdhsa_user_sgpr_kernarg_segment_ptr 1
		.amdhsa_user_sgpr_dispatch_id 0
		.amdhsa_user_sgpr_kernarg_preload_length 0
		.amdhsa_user_sgpr_kernarg_preload_offset 0
		.amdhsa_user_sgpr_private_segment_size 0
		.amdhsa_uses_dynamic_stack 0
		.amdhsa_enable_private_segment 0
		.amdhsa_system_sgpr_workgroup_id_x 1
		.amdhsa_system_sgpr_workgroup_id_y 0
		.amdhsa_system_sgpr_workgroup_id_z 0
		.amdhsa_system_sgpr_workgroup_info 0
		.amdhsa_system_vgpr_workitem_id 0
		.amdhsa_next_free_vgpr 1
		.amdhsa_next_free_sgpr 0
		.amdhsa_accum_offset 4
		.amdhsa_reserve_vcc 0
		.amdhsa_float_round_mode_32 0
		.amdhsa_float_round_mode_16_64 0
		.amdhsa_float_denorm_mode_32 3
		.amdhsa_float_denorm_mode_16_64 3
		.amdhsa_dx10_clamp 1
		.amdhsa_ieee_mode 1
		.amdhsa_fp16_overflow 0
		.amdhsa_tg_split 0
		.amdhsa_exception_fp_ieee_invalid_op 0
		.amdhsa_exception_fp_denorm_src 0
		.amdhsa_exception_fp_ieee_div_zero 0
		.amdhsa_exception_fp_ieee_overflow 0
		.amdhsa_exception_fp_ieee_underflow 0
		.amdhsa_exception_fp_ieee_inexact 0
		.amdhsa_exception_int_div_zero 0
	.end_amdhsa_kernel
	.section	.text._ZN7rocprim17ROCPRIM_400000_NS6detail17trampoline_kernelINS0_14default_configENS1_27scan_by_key_config_selectorIiiEEZZNS1_16scan_by_key_implILNS1_25lookback_scan_determinismE0ELb0ES3_PKiN6hipcub16HIPCUB_304000_NS21ConstantInputIteratorIilEEPiiNSB_3SumENSB_8EqualityEiEE10hipError_tPvRmT2_T3_T4_T5_mT6_T7_P12ihipStream_tbENKUlT_T0_E_clISt17integral_constantIbLb0EESX_EEDaSS_ST_EUlSS_E_NS1_11comp_targetILNS1_3genE3ELNS1_11target_archE908ELNS1_3gpuE7ELNS1_3repE0EEENS1_30default_config_static_selectorELNS0_4arch9wavefront6targetE1EEEvT1_,"axG",@progbits,_ZN7rocprim17ROCPRIM_400000_NS6detail17trampoline_kernelINS0_14default_configENS1_27scan_by_key_config_selectorIiiEEZZNS1_16scan_by_key_implILNS1_25lookback_scan_determinismE0ELb0ES3_PKiN6hipcub16HIPCUB_304000_NS21ConstantInputIteratorIilEEPiiNSB_3SumENSB_8EqualityEiEE10hipError_tPvRmT2_T3_T4_T5_mT6_T7_P12ihipStream_tbENKUlT_T0_E_clISt17integral_constantIbLb0EESX_EEDaSS_ST_EUlSS_E_NS1_11comp_targetILNS1_3genE3ELNS1_11target_archE908ELNS1_3gpuE7ELNS1_3repE0EEENS1_30default_config_static_selectorELNS0_4arch9wavefront6targetE1EEEvT1_,comdat
.Lfunc_end14:
	.size	_ZN7rocprim17ROCPRIM_400000_NS6detail17trampoline_kernelINS0_14default_configENS1_27scan_by_key_config_selectorIiiEEZZNS1_16scan_by_key_implILNS1_25lookback_scan_determinismE0ELb0ES3_PKiN6hipcub16HIPCUB_304000_NS21ConstantInputIteratorIilEEPiiNSB_3SumENSB_8EqualityEiEE10hipError_tPvRmT2_T3_T4_T5_mT6_T7_P12ihipStream_tbENKUlT_T0_E_clISt17integral_constantIbLb0EESX_EEDaSS_ST_EUlSS_E_NS1_11comp_targetILNS1_3genE3ELNS1_11target_archE908ELNS1_3gpuE7ELNS1_3repE0EEENS1_30default_config_static_selectorELNS0_4arch9wavefront6targetE1EEEvT1_, .Lfunc_end14-_ZN7rocprim17ROCPRIM_400000_NS6detail17trampoline_kernelINS0_14default_configENS1_27scan_by_key_config_selectorIiiEEZZNS1_16scan_by_key_implILNS1_25lookback_scan_determinismE0ELb0ES3_PKiN6hipcub16HIPCUB_304000_NS21ConstantInputIteratorIilEEPiiNSB_3SumENSB_8EqualityEiEE10hipError_tPvRmT2_T3_T4_T5_mT6_T7_P12ihipStream_tbENKUlT_T0_E_clISt17integral_constantIbLb0EESX_EEDaSS_ST_EUlSS_E_NS1_11comp_targetILNS1_3genE3ELNS1_11target_archE908ELNS1_3gpuE7ELNS1_3repE0EEENS1_30default_config_static_selectorELNS0_4arch9wavefront6targetE1EEEvT1_
                                        ; -- End function
	.section	.AMDGPU.csdata,"",@progbits
; Kernel info:
; codeLenInByte = 0
; NumSgprs: 6
; NumVgprs: 0
; NumAgprs: 0
; TotalNumVgprs: 0
; ScratchSize: 0
; MemoryBound: 0
; FloatMode: 240
; IeeeMode: 1
; LDSByteSize: 0 bytes/workgroup (compile time only)
; SGPRBlocks: 0
; VGPRBlocks: 0
; NumSGPRsForWavesPerEU: 6
; NumVGPRsForWavesPerEU: 1
; AccumOffset: 4
; Occupancy: 8
; WaveLimiterHint : 0
; COMPUTE_PGM_RSRC2:SCRATCH_EN: 0
; COMPUTE_PGM_RSRC2:USER_SGPR: 2
; COMPUTE_PGM_RSRC2:TRAP_HANDLER: 0
; COMPUTE_PGM_RSRC2:TGID_X_EN: 1
; COMPUTE_PGM_RSRC2:TGID_Y_EN: 0
; COMPUTE_PGM_RSRC2:TGID_Z_EN: 0
; COMPUTE_PGM_RSRC2:TIDIG_COMP_CNT: 0
; COMPUTE_PGM_RSRC3_GFX90A:ACCUM_OFFSET: 0
; COMPUTE_PGM_RSRC3_GFX90A:TG_SPLIT: 0
	.section	.text._ZN7rocprim17ROCPRIM_400000_NS6detail17trampoline_kernelINS0_14default_configENS1_27scan_by_key_config_selectorIiiEEZZNS1_16scan_by_key_implILNS1_25lookback_scan_determinismE0ELb0ES3_PKiN6hipcub16HIPCUB_304000_NS21ConstantInputIteratorIilEEPiiNSB_3SumENSB_8EqualityEiEE10hipError_tPvRmT2_T3_T4_T5_mT6_T7_P12ihipStream_tbENKUlT_T0_E_clISt17integral_constantIbLb0EESX_EEDaSS_ST_EUlSS_E_NS1_11comp_targetILNS1_3genE2ELNS1_11target_archE906ELNS1_3gpuE6ELNS1_3repE0EEENS1_30default_config_static_selectorELNS0_4arch9wavefront6targetE1EEEvT1_,"axG",@progbits,_ZN7rocprim17ROCPRIM_400000_NS6detail17trampoline_kernelINS0_14default_configENS1_27scan_by_key_config_selectorIiiEEZZNS1_16scan_by_key_implILNS1_25lookback_scan_determinismE0ELb0ES3_PKiN6hipcub16HIPCUB_304000_NS21ConstantInputIteratorIilEEPiiNSB_3SumENSB_8EqualityEiEE10hipError_tPvRmT2_T3_T4_T5_mT6_T7_P12ihipStream_tbENKUlT_T0_E_clISt17integral_constantIbLb0EESX_EEDaSS_ST_EUlSS_E_NS1_11comp_targetILNS1_3genE2ELNS1_11target_archE906ELNS1_3gpuE6ELNS1_3repE0EEENS1_30default_config_static_selectorELNS0_4arch9wavefront6targetE1EEEvT1_,comdat
	.protected	_ZN7rocprim17ROCPRIM_400000_NS6detail17trampoline_kernelINS0_14default_configENS1_27scan_by_key_config_selectorIiiEEZZNS1_16scan_by_key_implILNS1_25lookback_scan_determinismE0ELb0ES3_PKiN6hipcub16HIPCUB_304000_NS21ConstantInputIteratorIilEEPiiNSB_3SumENSB_8EqualityEiEE10hipError_tPvRmT2_T3_T4_T5_mT6_T7_P12ihipStream_tbENKUlT_T0_E_clISt17integral_constantIbLb0EESX_EEDaSS_ST_EUlSS_E_NS1_11comp_targetILNS1_3genE2ELNS1_11target_archE906ELNS1_3gpuE6ELNS1_3repE0EEENS1_30default_config_static_selectorELNS0_4arch9wavefront6targetE1EEEvT1_ ; -- Begin function _ZN7rocprim17ROCPRIM_400000_NS6detail17trampoline_kernelINS0_14default_configENS1_27scan_by_key_config_selectorIiiEEZZNS1_16scan_by_key_implILNS1_25lookback_scan_determinismE0ELb0ES3_PKiN6hipcub16HIPCUB_304000_NS21ConstantInputIteratorIilEEPiiNSB_3SumENSB_8EqualityEiEE10hipError_tPvRmT2_T3_T4_T5_mT6_T7_P12ihipStream_tbENKUlT_T0_E_clISt17integral_constantIbLb0EESX_EEDaSS_ST_EUlSS_E_NS1_11comp_targetILNS1_3genE2ELNS1_11target_archE906ELNS1_3gpuE6ELNS1_3repE0EEENS1_30default_config_static_selectorELNS0_4arch9wavefront6targetE1EEEvT1_
	.globl	_ZN7rocprim17ROCPRIM_400000_NS6detail17trampoline_kernelINS0_14default_configENS1_27scan_by_key_config_selectorIiiEEZZNS1_16scan_by_key_implILNS1_25lookback_scan_determinismE0ELb0ES3_PKiN6hipcub16HIPCUB_304000_NS21ConstantInputIteratorIilEEPiiNSB_3SumENSB_8EqualityEiEE10hipError_tPvRmT2_T3_T4_T5_mT6_T7_P12ihipStream_tbENKUlT_T0_E_clISt17integral_constantIbLb0EESX_EEDaSS_ST_EUlSS_E_NS1_11comp_targetILNS1_3genE2ELNS1_11target_archE906ELNS1_3gpuE6ELNS1_3repE0EEENS1_30default_config_static_selectorELNS0_4arch9wavefront6targetE1EEEvT1_
	.p2align	8
	.type	_ZN7rocprim17ROCPRIM_400000_NS6detail17trampoline_kernelINS0_14default_configENS1_27scan_by_key_config_selectorIiiEEZZNS1_16scan_by_key_implILNS1_25lookback_scan_determinismE0ELb0ES3_PKiN6hipcub16HIPCUB_304000_NS21ConstantInputIteratorIilEEPiiNSB_3SumENSB_8EqualityEiEE10hipError_tPvRmT2_T3_T4_T5_mT6_T7_P12ihipStream_tbENKUlT_T0_E_clISt17integral_constantIbLb0EESX_EEDaSS_ST_EUlSS_E_NS1_11comp_targetILNS1_3genE2ELNS1_11target_archE906ELNS1_3gpuE6ELNS1_3repE0EEENS1_30default_config_static_selectorELNS0_4arch9wavefront6targetE1EEEvT1_,@function
_ZN7rocprim17ROCPRIM_400000_NS6detail17trampoline_kernelINS0_14default_configENS1_27scan_by_key_config_selectorIiiEEZZNS1_16scan_by_key_implILNS1_25lookback_scan_determinismE0ELb0ES3_PKiN6hipcub16HIPCUB_304000_NS21ConstantInputIteratorIilEEPiiNSB_3SumENSB_8EqualityEiEE10hipError_tPvRmT2_T3_T4_T5_mT6_T7_P12ihipStream_tbENKUlT_T0_E_clISt17integral_constantIbLb0EESX_EEDaSS_ST_EUlSS_E_NS1_11comp_targetILNS1_3genE2ELNS1_11target_archE906ELNS1_3gpuE6ELNS1_3repE0EEENS1_30default_config_static_selectorELNS0_4arch9wavefront6targetE1EEEvT1_: ; @_ZN7rocprim17ROCPRIM_400000_NS6detail17trampoline_kernelINS0_14default_configENS1_27scan_by_key_config_selectorIiiEEZZNS1_16scan_by_key_implILNS1_25lookback_scan_determinismE0ELb0ES3_PKiN6hipcub16HIPCUB_304000_NS21ConstantInputIteratorIilEEPiiNSB_3SumENSB_8EqualityEiEE10hipError_tPvRmT2_T3_T4_T5_mT6_T7_P12ihipStream_tbENKUlT_T0_E_clISt17integral_constantIbLb0EESX_EEDaSS_ST_EUlSS_E_NS1_11comp_targetILNS1_3genE2ELNS1_11target_archE906ELNS1_3gpuE6ELNS1_3repE0EEENS1_30default_config_static_selectorELNS0_4arch9wavefront6targetE1EEEvT1_
; %bb.0:
	.section	.rodata,"a",@progbits
	.p2align	6, 0x0
	.amdhsa_kernel _ZN7rocprim17ROCPRIM_400000_NS6detail17trampoline_kernelINS0_14default_configENS1_27scan_by_key_config_selectorIiiEEZZNS1_16scan_by_key_implILNS1_25lookback_scan_determinismE0ELb0ES3_PKiN6hipcub16HIPCUB_304000_NS21ConstantInputIteratorIilEEPiiNSB_3SumENSB_8EqualityEiEE10hipError_tPvRmT2_T3_T4_T5_mT6_T7_P12ihipStream_tbENKUlT_T0_E_clISt17integral_constantIbLb0EESX_EEDaSS_ST_EUlSS_E_NS1_11comp_targetILNS1_3genE2ELNS1_11target_archE906ELNS1_3gpuE6ELNS1_3repE0EEENS1_30default_config_static_selectorELNS0_4arch9wavefront6targetE1EEEvT1_
		.amdhsa_group_segment_fixed_size 0
		.amdhsa_private_segment_fixed_size 0
		.amdhsa_kernarg_size 120
		.amdhsa_user_sgpr_count 2
		.amdhsa_user_sgpr_dispatch_ptr 0
		.amdhsa_user_sgpr_queue_ptr 0
		.amdhsa_user_sgpr_kernarg_segment_ptr 1
		.amdhsa_user_sgpr_dispatch_id 0
		.amdhsa_user_sgpr_kernarg_preload_length 0
		.amdhsa_user_sgpr_kernarg_preload_offset 0
		.amdhsa_user_sgpr_private_segment_size 0
		.amdhsa_uses_dynamic_stack 0
		.amdhsa_enable_private_segment 0
		.amdhsa_system_sgpr_workgroup_id_x 1
		.amdhsa_system_sgpr_workgroup_id_y 0
		.amdhsa_system_sgpr_workgroup_id_z 0
		.amdhsa_system_sgpr_workgroup_info 0
		.amdhsa_system_vgpr_workitem_id 0
		.amdhsa_next_free_vgpr 1
		.amdhsa_next_free_sgpr 0
		.amdhsa_accum_offset 4
		.amdhsa_reserve_vcc 0
		.amdhsa_float_round_mode_32 0
		.amdhsa_float_round_mode_16_64 0
		.amdhsa_float_denorm_mode_32 3
		.amdhsa_float_denorm_mode_16_64 3
		.amdhsa_dx10_clamp 1
		.amdhsa_ieee_mode 1
		.amdhsa_fp16_overflow 0
		.amdhsa_tg_split 0
		.amdhsa_exception_fp_ieee_invalid_op 0
		.amdhsa_exception_fp_denorm_src 0
		.amdhsa_exception_fp_ieee_div_zero 0
		.amdhsa_exception_fp_ieee_overflow 0
		.amdhsa_exception_fp_ieee_underflow 0
		.amdhsa_exception_fp_ieee_inexact 0
		.amdhsa_exception_int_div_zero 0
	.end_amdhsa_kernel
	.section	.text._ZN7rocprim17ROCPRIM_400000_NS6detail17trampoline_kernelINS0_14default_configENS1_27scan_by_key_config_selectorIiiEEZZNS1_16scan_by_key_implILNS1_25lookback_scan_determinismE0ELb0ES3_PKiN6hipcub16HIPCUB_304000_NS21ConstantInputIteratorIilEEPiiNSB_3SumENSB_8EqualityEiEE10hipError_tPvRmT2_T3_T4_T5_mT6_T7_P12ihipStream_tbENKUlT_T0_E_clISt17integral_constantIbLb0EESX_EEDaSS_ST_EUlSS_E_NS1_11comp_targetILNS1_3genE2ELNS1_11target_archE906ELNS1_3gpuE6ELNS1_3repE0EEENS1_30default_config_static_selectorELNS0_4arch9wavefront6targetE1EEEvT1_,"axG",@progbits,_ZN7rocprim17ROCPRIM_400000_NS6detail17trampoline_kernelINS0_14default_configENS1_27scan_by_key_config_selectorIiiEEZZNS1_16scan_by_key_implILNS1_25lookback_scan_determinismE0ELb0ES3_PKiN6hipcub16HIPCUB_304000_NS21ConstantInputIteratorIilEEPiiNSB_3SumENSB_8EqualityEiEE10hipError_tPvRmT2_T3_T4_T5_mT6_T7_P12ihipStream_tbENKUlT_T0_E_clISt17integral_constantIbLb0EESX_EEDaSS_ST_EUlSS_E_NS1_11comp_targetILNS1_3genE2ELNS1_11target_archE906ELNS1_3gpuE6ELNS1_3repE0EEENS1_30default_config_static_selectorELNS0_4arch9wavefront6targetE1EEEvT1_,comdat
.Lfunc_end15:
	.size	_ZN7rocprim17ROCPRIM_400000_NS6detail17trampoline_kernelINS0_14default_configENS1_27scan_by_key_config_selectorIiiEEZZNS1_16scan_by_key_implILNS1_25lookback_scan_determinismE0ELb0ES3_PKiN6hipcub16HIPCUB_304000_NS21ConstantInputIteratorIilEEPiiNSB_3SumENSB_8EqualityEiEE10hipError_tPvRmT2_T3_T4_T5_mT6_T7_P12ihipStream_tbENKUlT_T0_E_clISt17integral_constantIbLb0EESX_EEDaSS_ST_EUlSS_E_NS1_11comp_targetILNS1_3genE2ELNS1_11target_archE906ELNS1_3gpuE6ELNS1_3repE0EEENS1_30default_config_static_selectorELNS0_4arch9wavefront6targetE1EEEvT1_, .Lfunc_end15-_ZN7rocprim17ROCPRIM_400000_NS6detail17trampoline_kernelINS0_14default_configENS1_27scan_by_key_config_selectorIiiEEZZNS1_16scan_by_key_implILNS1_25lookback_scan_determinismE0ELb0ES3_PKiN6hipcub16HIPCUB_304000_NS21ConstantInputIteratorIilEEPiiNSB_3SumENSB_8EqualityEiEE10hipError_tPvRmT2_T3_T4_T5_mT6_T7_P12ihipStream_tbENKUlT_T0_E_clISt17integral_constantIbLb0EESX_EEDaSS_ST_EUlSS_E_NS1_11comp_targetILNS1_3genE2ELNS1_11target_archE906ELNS1_3gpuE6ELNS1_3repE0EEENS1_30default_config_static_selectorELNS0_4arch9wavefront6targetE1EEEvT1_
                                        ; -- End function
	.section	.AMDGPU.csdata,"",@progbits
; Kernel info:
; codeLenInByte = 0
; NumSgprs: 6
; NumVgprs: 0
; NumAgprs: 0
; TotalNumVgprs: 0
; ScratchSize: 0
; MemoryBound: 0
; FloatMode: 240
; IeeeMode: 1
; LDSByteSize: 0 bytes/workgroup (compile time only)
; SGPRBlocks: 0
; VGPRBlocks: 0
; NumSGPRsForWavesPerEU: 6
; NumVGPRsForWavesPerEU: 1
; AccumOffset: 4
; Occupancy: 8
; WaveLimiterHint : 0
; COMPUTE_PGM_RSRC2:SCRATCH_EN: 0
; COMPUTE_PGM_RSRC2:USER_SGPR: 2
; COMPUTE_PGM_RSRC2:TRAP_HANDLER: 0
; COMPUTE_PGM_RSRC2:TGID_X_EN: 1
; COMPUTE_PGM_RSRC2:TGID_Y_EN: 0
; COMPUTE_PGM_RSRC2:TGID_Z_EN: 0
; COMPUTE_PGM_RSRC2:TIDIG_COMP_CNT: 0
; COMPUTE_PGM_RSRC3_GFX90A:ACCUM_OFFSET: 0
; COMPUTE_PGM_RSRC3_GFX90A:TG_SPLIT: 0
	.section	.text._ZN7rocprim17ROCPRIM_400000_NS6detail17trampoline_kernelINS0_14default_configENS1_27scan_by_key_config_selectorIiiEEZZNS1_16scan_by_key_implILNS1_25lookback_scan_determinismE0ELb0ES3_PKiN6hipcub16HIPCUB_304000_NS21ConstantInputIteratorIilEEPiiNSB_3SumENSB_8EqualityEiEE10hipError_tPvRmT2_T3_T4_T5_mT6_T7_P12ihipStream_tbENKUlT_T0_E_clISt17integral_constantIbLb0EESX_EEDaSS_ST_EUlSS_E_NS1_11comp_targetILNS1_3genE10ELNS1_11target_archE1200ELNS1_3gpuE4ELNS1_3repE0EEENS1_30default_config_static_selectorELNS0_4arch9wavefront6targetE1EEEvT1_,"axG",@progbits,_ZN7rocprim17ROCPRIM_400000_NS6detail17trampoline_kernelINS0_14default_configENS1_27scan_by_key_config_selectorIiiEEZZNS1_16scan_by_key_implILNS1_25lookback_scan_determinismE0ELb0ES3_PKiN6hipcub16HIPCUB_304000_NS21ConstantInputIteratorIilEEPiiNSB_3SumENSB_8EqualityEiEE10hipError_tPvRmT2_T3_T4_T5_mT6_T7_P12ihipStream_tbENKUlT_T0_E_clISt17integral_constantIbLb0EESX_EEDaSS_ST_EUlSS_E_NS1_11comp_targetILNS1_3genE10ELNS1_11target_archE1200ELNS1_3gpuE4ELNS1_3repE0EEENS1_30default_config_static_selectorELNS0_4arch9wavefront6targetE1EEEvT1_,comdat
	.protected	_ZN7rocprim17ROCPRIM_400000_NS6detail17trampoline_kernelINS0_14default_configENS1_27scan_by_key_config_selectorIiiEEZZNS1_16scan_by_key_implILNS1_25lookback_scan_determinismE0ELb0ES3_PKiN6hipcub16HIPCUB_304000_NS21ConstantInputIteratorIilEEPiiNSB_3SumENSB_8EqualityEiEE10hipError_tPvRmT2_T3_T4_T5_mT6_T7_P12ihipStream_tbENKUlT_T0_E_clISt17integral_constantIbLb0EESX_EEDaSS_ST_EUlSS_E_NS1_11comp_targetILNS1_3genE10ELNS1_11target_archE1200ELNS1_3gpuE4ELNS1_3repE0EEENS1_30default_config_static_selectorELNS0_4arch9wavefront6targetE1EEEvT1_ ; -- Begin function _ZN7rocprim17ROCPRIM_400000_NS6detail17trampoline_kernelINS0_14default_configENS1_27scan_by_key_config_selectorIiiEEZZNS1_16scan_by_key_implILNS1_25lookback_scan_determinismE0ELb0ES3_PKiN6hipcub16HIPCUB_304000_NS21ConstantInputIteratorIilEEPiiNSB_3SumENSB_8EqualityEiEE10hipError_tPvRmT2_T3_T4_T5_mT6_T7_P12ihipStream_tbENKUlT_T0_E_clISt17integral_constantIbLb0EESX_EEDaSS_ST_EUlSS_E_NS1_11comp_targetILNS1_3genE10ELNS1_11target_archE1200ELNS1_3gpuE4ELNS1_3repE0EEENS1_30default_config_static_selectorELNS0_4arch9wavefront6targetE1EEEvT1_
	.globl	_ZN7rocprim17ROCPRIM_400000_NS6detail17trampoline_kernelINS0_14default_configENS1_27scan_by_key_config_selectorIiiEEZZNS1_16scan_by_key_implILNS1_25lookback_scan_determinismE0ELb0ES3_PKiN6hipcub16HIPCUB_304000_NS21ConstantInputIteratorIilEEPiiNSB_3SumENSB_8EqualityEiEE10hipError_tPvRmT2_T3_T4_T5_mT6_T7_P12ihipStream_tbENKUlT_T0_E_clISt17integral_constantIbLb0EESX_EEDaSS_ST_EUlSS_E_NS1_11comp_targetILNS1_3genE10ELNS1_11target_archE1200ELNS1_3gpuE4ELNS1_3repE0EEENS1_30default_config_static_selectorELNS0_4arch9wavefront6targetE1EEEvT1_
	.p2align	8
	.type	_ZN7rocprim17ROCPRIM_400000_NS6detail17trampoline_kernelINS0_14default_configENS1_27scan_by_key_config_selectorIiiEEZZNS1_16scan_by_key_implILNS1_25lookback_scan_determinismE0ELb0ES3_PKiN6hipcub16HIPCUB_304000_NS21ConstantInputIteratorIilEEPiiNSB_3SumENSB_8EqualityEiEE10hipError_tPvRmT2_T3_T4_T5_mT6_T7_P12ihipStream_tbENKUlT_T0_E_clISt17integral_constantIbLb0EESX_EEDaSS_ST_EUlSS_E_NS1_11comp_targetILNS1_3genE10ELNS1_11target_archE1200ELNS1_3gpuE4ELNS1_3repE0EEENS1_30default_config_static_selectorELNS0_4arch9wavefront6targetE1EEEvT1_,@function
_ZN7rocprim17ROCPRIM_400000_NS6detail17trampoline_kernelINS0_14default_configENS1_27scan_by_key_config_selectorIiiEEZZNS1_16scan_by_key_implILNS1_25lookback_scan_determinismE0ELb0ES3_PKiN6hipcub16HIPCUB_304000_NS21ConstantInputIteratorIilEEPiiNSB_3SumENSB_8EqualityEiEE10hipError_tPvRmT2_T3_T4_T5_mT6_T7_P12ihipStream_tbENKUlT_T0_E_clISt17integral_constantIbLb0EESX_EEDaSS_ST_EUlSS_E_NS1_11comp_targetILNS1_3genE10ELNS1_11target_archE1200ELNS1_3gpuE4ELNS1_3repE0EEENS1_30default_config_static_selectorELNS0_4arch9wavefront6targetE1EEEvT1_: ; @_ZN7rocprim17ROCPRIM_400000_NS6detail17trampoline_kernelINS0_14default_configENS1_27scan_by_key_config_selectorIiiEEZZNS1_16scan_by_key_implILNS1_25lookback_scan_determinismE0ELb0ES3_PKiN6hipcub16HIPCUB_304000_NS21ConstantInputIteratorIilEEPiiNSB_3SumENSB_8EqualityEiEE10hipError_tPvRmT2_T3_T4_T5_mT6_T7_P12ihipStream_tbENKUlT_T0_E_clISt17integral_constantIbLb0EESX_EEDaSS_ST_EUlSS_E_NS1_11comp_targetILNS1_3genE10ELNS1_11target_archE1200ELNS1_3gpuE4ELNS1_3repE0EEENS1_30default_config_static_selectorELNS0_4arch9wavefront6targetE1EEEvT1_
; %bb.0:
	.section	.rodata,"a",@progbits
	.p2align	6, 0x0
	.amdhsa_kernel _ZN7rocprim17ROCPRIM_400000_NS6detail17trampoline_kernelINS0_14default_configENS1_27scan_by_key_config_selectorIiiEEZZNS1_16scan_by_key_implILNS1_25lookback_scan_determinismE0ELb0ES3_PKiN6hipcub16HIPCUB_304000_NS21ConstantInputIteratorIilEEPiiNSB_3SumENSB_8EqualityEiEE10hipError_tPvRmT2_T3_T4_T5_mT6_T7_P12ihipStream_tbENKUlT_T0_E_clISt17integral_constantIbLb0EESX_EEDaSS_ST_EUlSS_E_NS1_11comp_targetILNS1_3genE10ELNS1_11target_archE1200ELNS1_3gpuE4ELNS1_3repE0EEENS1_30default_config_static_selectorELNS0_4arch9wavefront6targetE1EEEvT1_
		.amdhsa_group_segment_fixed_size 0
		.amdhsa_private_segment_fixed_size 0
		.amdhsa_kernarg_size 120
		.amdhsa_user_sgpr_count 2
		.amdhsa_user_sgpr_dispatch_ptr 0
		.amdhsa_user_sgpr_queue_ptr 0
		.amdhsa_user_sgpr_kernarg_segment_ptr 1
		.amdhsa_user_sgpr_dispatch_id 0
		.amdhsa_user_sgpr_kernarg_preload_length 0
		.amdhsa_user_sgpr_kernarg_preload_offset 0
		.amdhsa_user_sgpr_private_segment_size 0
		.amdhsa_uses_dynamic_stack 0
		.amdhsa_enable_private_segment 0
		.amdhsa_system_sgpr_workgroup_id_x 1
		.amdhsa_system_sgpr_workgroup_id_y 0
		.amdhsa_system_sgpr_workgroup_id_z 0
		.amdhsa_system_sgpr_workgroup_info 0
		.amdhsa_system_vgpr_workitem_id 0
		.amdhsa_next_free_vgpr 1
		.amdhsa_next_free_sgpr 0
		.amdhsa_accum_offset 4
		.amdhsa_reserve_vcc 0
		.amdhsa_float_round_mode_32 0
		.amdhsa_float_round_mode_16_64 0
		.amdhsa_float_denorm_mode_32 3
		.amdhsa_float_denorm_mode_16_64 3
		.amdhsa_dx10_clamp 1
		.amdhsa_ieee_mode 1
		.amdhsa_fp16_overflow 0
		.amdhsa_tg_split 0
		.amdhsa_exception_fp_ieee_invalid_op 0
		.amdhsa_exception_fp_denorm_src 0
		.amdhsa_exception_fp_ieee_div_zero 0
		.amdhsa_exception_fp_ieee_overflow 0
		.amdhsa_exception_fp_ieee_underflow 0
		.amdhsa_exception_fp_ieee_inexact 0
		.amdhsa_exception_int_div_zero 0
	.end_amdhsa_kernel
	.section	.text._ZN7rocprim17ROCPRIM_400000_NS6detail17trampoline_kernelINS0_14default_configENS1_27scan_by_key_config_selectorIiiEEZZNS1_16scan_by_key_implILNS1_25lookback_scan_determinismE0ELb0ES3_PKiN6hipcub16HIPCUB_304000_NS21ConstantInputIteratorIilEEPiiNSB_3SumENSB_8EqualityEiEE10hipError_tPvRmT2_T3_T4_T5_mT6_T7_P12ihipStream_tbENKUlT_T0_E_clISt17integral_constantIbLb0EESX_EEDaSS_ST_EUlSS_E_NS1_11comp_targetILNS1_3genE10ELNS1_11target_archE1200ELNS1_3gpuE4ELNS1_3repE0EEENS1_30default_config_static_selectorELNS0_4arch9wavefront6targetE1EEEvT1_,"axG",@progbits,_ZN7rocprim17ROCPRIM_400000_NS6detail17trampoline_kernelINS0_14default_configENS1_27scan_by_key_config_selectorIiiEEZZNS1_16scan_by_key_implILNS1_25lookback_scan_determinismE0ELb0ES3_PKiN6hipcub16HIPCUB_304000_NS21ConstantInputIteratorIilEEPiiNSB_3SumENSB_8EqualityEiEE10hipError_tPvRmT2_T3_T4_T5_mT6_T7_P12ihipStream_tbENKUlT_T0_E_clISt17integral_constantIbLb0EESX_EEDaSS_ST_EUlSS_E_NS1_11comp_targetILNS1_3genE10ELNS1_11target_archE1200ELNS1_3gpuE4ELNS1_3repE0EEENS1_30default_config_static_selectorELNS0_4arch9wavefront6targetE1EEEvT1_,comdat
.Lfunc_end16:
	.size	_ZN7rocprim17ROCPRIM_400000_NS6detail17trampoline_kernelINS0_14default_configENS1_27scan_by_key_config_selectorIiiEEZZNS1_16scan_by_key_implILNS1_25lookback_scan_determinismE0ELb0ES3_PKiN6hipcub16HIPCUB_304000_NS21ConstantInputIteratorIilEEPiiNSB_3SumENSB_8EqualityEiEE10hipError_tPvRmT2_T3_T4_T5_mT6_T7_P12ihipStream_tbENKUlT_T0_E_clISt17integral_constantIbLb0EESX_EEDaSS_ST_EUlSS_E_NS1_11comp_targetILNS1_3genE10ELNS1_11target_archE1200ELNS1_3gpuE4ELNS1_3repE0EEENS1_30default_config_static_selectorELNS0_4arch9wavefront6targetE1EEEvT1_, .Lfunc_end16-_ZN7rocprim17ROCPRIM_400000_NS6detail17trampoline_kernelINS0_14default_configENS1_27scan_by_key_config_selectorIiiEEZZNS1_16scan_by_key_implILNS1_25lookback_scan_determinismE0ELb0ES3_PKiN6hipcub16HIPCUB_304000_NS21ConstantInputIteratorIilEEPiiNSB_3SumENSB_8EqualityEiEE10hipError_tPvRmT2_T3_T4_T5_mT6_T7_P12ihipStream_tbENKUlT_T0_E_clISt17integral_constantIbLb0EESX_EEDaSS_ST_EUlSS_E_NS1_11comp_targetILNS1_3genE10ELNS1_11target_archE1200ELNS1_3gpuE4ELNS1_3repE0EEENS1_30default_config_static_selectorELNS0_4arch9wavefront6targetE1EEEvT1_
                                        ; -- End function
	.section	.AMDGPU.csdata,"",@progbits
; Kernel info:
; codeLenInByte = 0
; NumSgprs: 6
; NumVgprs: 0
; NumAgprs: 0
; TotalNumVgprs: 0
; ScratchSize: 0
; MemoryBound: 0
; FloatMode: 240
; IeeeMode: 1
; LDSByteSize: 0 bytes/workgroup (compile time only)
; SGPRBlocks: 0
; VGPRBlocks: 0
; NumSGPRsForWavesPerEU: 6
; NumVGPRsForWavesPerEU: 1
; AccumOffset: 4
; Occupancy: 8
; WaveLimiterHint : 0
; COMPUTE_PGM_RSRC2:SCRATCH_EN: 0
; COMPUTE_PGM_RSRC2:USER_SGPR: 2
; COMPUTE_PGM_RSRC2:TRAP_HANDLER: 0
; COMPUTE_PGM_RSRC2:TGID_X_EN: 1
; COMPUTE_PGM_RSRC2:TGID_Y_EN: 0
; COMPUTE_PGM_RSRC2:TGID_Z_EN: 0
; COMPUTE_PGM_RSRC2:TIDIG_COMP_CNT: 0
; COMPUTE_PGM_RSRC3_GFX90A:ACCUM_OFFSET: 0
; COMPUTE_PGM_RSRC3_GFX90A:TG_SPLIT: 0
	.section	.text._ZN7rocprim17ROCPRIM_400000_NS6detail17trampoline_kernelINS0_14default_configENS1_27scan_by_key_config_selectorIiiEEZZNS1_16scan_by_key_implILNS1_25lookback_scan_determinismE0ELb0ES3_PKiN6hipcub16HIPCUB_304000_NS21ConstantInputIteratorIilEEPiiNSB_3SumENSB_8EqualityEiEE10hipError_tPvRmT2_T3_T4_T5_mT6_T7_P12ihipStream_tbENKUlT_T0_E_clISt17integral_constantIbLb0EESX_EEDaSS_ST_EUlSS_E_NS1_11comp_targetILNS1_3genE9ELNS1_11target_archE1100ELNS1_3gpuE3ELNS1_3repE0EEENS1_30default_config_static_selectorELNS0_4arch9wavefront6targetE1EEEvT1_,"axG",@progbits,_ZN7rocprim17ROCPRIM_400000_NS6detail17trampoline_kernelINS0_14default_configENS1_27scan_by_key_config_selectorIiiEEZZNS1_16scan_by_key_implILNS1_25lookback_scan_determinismE0ELb0ES3_PKiN6hipcub16HIPCUB_304000_NS21ConstantInputIteratorIilEEPiiNSB_3SumENSB_8EqualityEiEE10hipError_tPvRmT2_T3_T4_T5_mT6_T7_P12ihipStream_tbENKUlT_T0_E_clISt17integral_constantIbLb0EESX_EEDaSS_ST_EUlSS_E_NS1_11comp_targetILNS1_3genE9ELNS1_11target_archE1100ELNS1_3gpuE3ELNS1_3repE0EEENS1_30default_config_static_selectorELNS0_4arch9wavefront6targetE1EEEvT1_,comdat
	.protected	_ZN7rocprim17ROCPRIM_400000_NS6detail17trampoline_kernelINS0_14default_configENS1_27scan_by_key_config_selectorIiiEEZZNS1_16scan_by_key_implILNS1_25lookback_scan_determinismE0ELb0ES3_PKiN6hipcub16HIPCUB_304000_NS21ConstantInputIteratorIilEEPiiNSB_3SumENSB_8EqualityEiEE10hipError_tPvRmT2_T3_T4_T5_mT6_T7_P12ihipStream_tbENKUlT_T0_E_clISt17integral_constantIbLb0EESX_EEDaSS_ST_EUlSS_E_NS1_11comp_targetILNS1_3genE9ELNS1_11target_archE1100ELNS1_3gpuE3ELNS1_3repE0EEENS1_30default_config_static_selectorELNS0_4arch9wavefront6targetE1EEEvT1_ ; -- Begin function _ZN7rocprim17ROCPRIM_400000_NS6detail17trampoline_kernelINS0_14default_configENS1_27scan_by_key_config_selectorIiiEEZZNS1_16scan_by_key_implILNS1_25lookback_scan_determinismE0ELb0ES3_PKiN6hipcub16HIPCUB_304000_NS21ConstantInputIteratorIilEEPiiNSB_3SumENSB_8EqualityEiEE10hipError_tPvRmT2_T3_T4_T5_mT6_T7_P12ihipStream_tbENKUlT_T0_E_clISt17integral_constantIbLb0EESX_EEDaSS_ST_EUlSS_E_NS1_11comp_targetILNS1_3genE9ELNS1_11target_archE1100ELNS1_3gpuE3ELNS1_3repE0EEENS1_30default_config_static_selectorELNS0_4arch9wavefront6targetE1EEEvT1_
	.globl	_ZN7rocprim17ROCPRIM_400000_NS6detail17trampoline_kernelINS0_14default_configENS1_27scan_by_key_config_selectorIiiEEZZNS1_16scan_by_key_implILNS1_25lookback_scan_determinismE0ELb0ES3_PKiN6hipcub16HIPCUB_304000_NS21ConstantInputIteratorIilEEPiiNSB_3SumENSB_8EqualityEiEE10hipError_tPvRmT2_T3_T4_T5_mT6_T7_P12ihipStream_tbENKUlT_T0_E_clISt17integral_constantIbLb0EESX_EEDaSS_ST_EUlSS_E_NS1_11comp_targetILNS1_3genE9ELNS1_11target_archE1100ELNS1_3gpuE3ELNS1_3repE0EEENS1_30default_config_static_selectorELNS0_4arch9wavefront6targetE1EEEvT1_
	.p2align	8
	.type	_ZN7rocprim17ROCPRIM_400000_NS6detail17trampoline_kernelINS0_14default_configENS1_27scan_by_key_config_selectorIiiEEZZNS1_16scan_by_key_implILNS1_25lookback_scan_determinismE0ELb0ES3_PKiN6hipcub16HIPCUB_304000_NS21ConstantInputIteratorIilEEPiiNSB_3SumENSB_8EqualityEiEE10hipError_tPvRmT2_T3_T4_T5_mT6_T7_P12ihipStream_tbENKUlT_T0_E_clISt17integral_constantIbLb0EESX_EEDaSS_ST_EUlSS_E_NS1_11comp_targetILNS1_3genE9ELNS1_11target_archE1100ELNS1_3gpuE3ELNS1_3repE0EEENS1_30default_config_static_selectorELNS0_4arch9wavefront6targetE1EEEvT1_,@function
_ZN7rocprim17ROCPRIM_400000_NS6detail17trampoline_kernelINS0_14default_configENS1_27scan_by_key_config_selectorIiiEEZZNS1_16scan_by_key_implILNS1_25lookback_scan_determinismE0ELb0ES3_PKiN6hipcub16HIPCUB_304000_NS21ConstantInputIteratorIilEEPiiNSB_3SumENSB_8EqualityEiEE10hipError_tPvRmT2_T3_T4_T5_mT6_T7_P12ihipStream_tbENKUlT_T0_E_clISt17integral_constantIbLb0EESX_EEDaSS_ST_EUlSS_E_NS1_11comp_targetILNS1_3genE9ELNS1_11target_archE1100ELNS1_3gpuE3ELNS1_3repE0EEENS1_30default_config_static_selectorELNS0_4arch9wavefront6targetE1EEEvT1_: ; @_ZN7rocprim17ROCPRIM_400000_NS6detail17trampoline_kernelINS0_14default_configENS1_27scan_by_key_config_selectorIiiEEZZNS1_16scan_by_key_implILNS1_25lookback_scan_determinismE0ELb0ES3_PKiN6hipcub16HIPCUB_304000_NS21ConstantInputIteratorIilEEPiiNSB_3SumENSB_8EqualityEiEE10hipError_tPvRmT2_T3_T4_T5_mT6_T7_P12ihipStream_tbENKUlT_T0_E_clISt17integral_constantIbLb0EESX_EEDaSS_ST_EUlSS_E_NS1_11comp_targetILNS1_3genE9ELNS1_11target_archE1100ELNS1_3gpuE3ELNS1_3repE0EEENS1_30default_config_static_selectorELNS0_4arch9wavefront6targetE1EEEvT1_
; %bb.0:
	.section	.rodata,"a",@progbits
	.p2align	6, 0x0
	.amdhsa_kernel _ZN7rocprim17ROCPRIM_400000_NS6detail17trampoline_kernelINS0_14default_configENS1_27scan_by_key_config_selectorIiiEEZZNS1_16scan_by_key_implILNS1_25lookback_scan_determinismE0ELb0ES3_PKiN6hipcub16HIPCUB_304000_NS21ConstantInputIteratorIilEEPiiNSB_3SumENSB_8EqualityEiEE10hipError_tPvRmT2_T3_T4_T5_mT6_T7_P12ihipStream_tbENKUlT_T0_E_clISt17integral_constantIbLb0EESX_EEDaSS_ST_EUlSS_E_NS1_11comp_targetILNS1_3genE9ELNS1_11target_archE1100ELNS1_3gpuE3ELNS1_3repE0EEENS1_30default_config_static_selectorELNS0_4arch9wavefront6targetE1EEEvT1_
		.amdhsa_group_segment_fixed_size 0
		.amdhsa_private_segment_fixed_size 0
		.amdhsa_kernarg_size 120
		.amdhsa_user_sgpr_count 2
		.amdhsa_user_sgpr_dispatch_ptr 0
		.amdhsa_user_sgpr_queue_ptr 0
		.amdhsa_user_sgpr_kernarg_segment_ptr 1
		.amdhsa_user_sgpr_dispatch_id 0
		.amdhsa_user_sgpr_kernarg_preload_length 0
		.amdhsa_user_sgpr_kernarg_preload_offset 0
		.amdhsa_user_sgpr_private_segment_size 0
		.amdhsa_uses_dynamic_stack 0
		.amdhsa_enable_private_segment 0
		.amdhsa_system_sgpr_workgroup_id_x 1
		.amdhsa_system_sgpr_workgroup_id_y 0
		.amdhsa_system_sgpr_workgroup_id_z 0
		.amdhsa_system_sgpr_workgroup_info 0
		.amdhsa_system_vgpr_workitem_id 0
		.amdhsa_next_free_vgpr 1
		.amdhsa_next_free_sgpr 0
		.amdhsa_accum_offset 4
		.amdhsa_reserve_vcc 0
		.amdhsa_float_round_mode_32 0
		.amdhsa_float_round_mode_16_64 0
		.amdhsa_float_denorm_mode_32 3
		.amdhsa_float_denorm_mode_16_64 3
		.amdhsa_dx10_clamp 1
		.amdhsa_ieee_mode 1
		.amdhsa_fp16_overflow 0
		.amdhsa_tg_split 0
		.amdhsa_exception_fp_ieee_invalid_op 0
		.amdhsa_exception_fp_denorm_src 0
		.amdhsa_exception_fp_ieee_div_zero 0
		.amdhsa_exception_fp_ieee_overflow 0
		.amdhsa_exception_fp_ieee_underflow 0
		.amdhsa_exception_fp_ieee_inexact 0
		.amdhsa_exception_int_div_zero 0
	.end_amdhsa_kernel
	.section	.text._ZN7rocprim17ROCPRIM_400000_NS6detail17trampoline_kernelINS0_14default_configENS1_27scan_by_key_config_selectorIiiEEZZNS1_16scan_by_key_implILNS1_25lookback_scan_determinismE0ELb0ES3_PKiN6hipcub16HIPCUB_304000_NS21ConstantInputIteratorIilEEPiiNSB_3SumENSB_8EqualityEiEE10hipError_tPvRmT2_T3_T4_T5_mT6_T7_P12ihipStream_tbENKUlT_T0_E_clISt17integral_constantIbLb0EESX_EEDaSS_ST_EUlSS_E_NS1_11comp_targetILNS1_3genE9ELNS1_11target_archE1100ELNS1_3gpuE3ELNS1_3repE0EEENS1_30default_config_static_selectorELNS0_4arch9wavefront6targetE1EEEvT1_,"axG",@progbits,_ZN7rocprim17ROCPRIM_400000_NS6detail17trampoline_kernelINS0_14default_configENS1_27scan_by_key_config_selectorIiiEEZZNS1_16scan_by_key_implILNS1_25lookback_scan_determinismE0ELb0ES3_PKiN6hipcub16HIPCUB_304000_NS21ConstantInputIteratorIilEEPiiNSB_3SumENSB_8EqualityEiEE10hipError_tPvRmT2_T3_T4_T5_mT6_T7_P12ihipStream_tbENKUlT_T0_E_clISt17integral_constantIbLb0EESX_EEDaSS_ST_EUlSS_E_NS1_11comp_targetILNS1_3genE9ELNS1_11target_archE1100ELNS1_3gpuE3ELNS1_3repE0EEENS1_30default_config_static_selectorELNS0_4arch9wavefront6targetE1EEEvT1_,comdat
.Lfunc_end17:
	.size	_ZN7rocprim17ROCPRIM_400000_NS6detail17trampoline_kernelINS0_14default_configENS1_27scan_by_key_config_selectorIiiEEZZNS1_16scan_by_key_implILNS1_25lookback_scan_determinismE0ELb0ES3_PKiN6hipcub16HIPCUB_304000_NS21ConstantInputIteratorIilEEPiiNSB_3SumENSB_8EqualityEiEE10hipError_tPvRmT2_T3_T4_T5_mT6_T7_P12ihipStream_tbENKUlT_T0_E_clISt17integral_constantIbLb0EESX_EEDaSS_ST_EUlSS_E_NS1_11comp_targetILNS1_3genE9ELNS1_11target_archE1100ELNS1_3gpuE3ELNS1_3repE0EEENS1_30default_config_static_selectorELNS0_4arch9wavefront6targetE1EEEvT1_, .Lfunc_end17-_ZN7rocprim17ROCPRIM_400000_NS6detail17trampoline_kernelINS0_14default_configENS1_27scan_by_key_config_selectorIiiEEZZNS1_16scan_by_key_implILNS1_25lookback_scan_determinismE0ELb0ES3_PKiN6hipcub16HIPCUB_304000_NS21ConstantInputIteratorIilEEPiiNSB_3SumENSB_8EqualityEiEE10hipError_tPvRmT2_T3_T4_T5_mT6_T7_P12ihipStream_tbENKUlT_T0_E_clISt17integral_constantIbLb0EESX_EEDaSS_ST_EUlSS_E_NS1_11comp_targetILNS1_3genE9ELNS1_11target_archE1100ELNS1_3gpuE3ELNS1_3repE0EEENS1_30default_config_static_selectorELNS0_4arch9wavefront6targetE1EEEvT1_
                                        ; -- End function
	.section	.AMDGPU.csdata,"",@progbits
; Kernel info:
; codeLenInByte = 0
; NumSgprs: 6
; NumVgprs: 0
; NumAgprs: 0
; TotalNumVgprs: 0
; ScratchSize: 0
; MemoryBound: 0
; FloatMode: 240
; IeeeMode: 1
; LDSByteSize: 0 bytes/workgroup (compile time only)
; SGPRBlocks: 0
; VGPRBlocks: 0
; NumSGPRsForWavesPerEU: 6
; NumVGPRsForWavesPerEU: 1
; AccumOffset: 4
; Occupancy: 8
; WaveLimiterHint : 0
; COMPUTE_PGM_RSRC2:SCRATCH_EN: 0
; COMPUTE_PGM_RSRC2:USER_SGPR: 2
; COMPUTE_PGM_RSRC2:TRAP_HANDLER: 0
; COMPUTE_PGM_RSRC2:TGID_X_EN: 1
; COMPUTE_PGM_RSRC2:TGID_Y_EN: 0
; COMPUTE_PGM_RSRC2:TGID_Z_EN: 0
; COMPUTE_PGM_RSRC2:TIDIG_COMP_CNT: 0
; COMPUTE_PGM_RSRC3_GFX90A:ACCUM_OFFSET: 0
; COMPUTE_PGM_RSRC3_GFX90A:TG_SPLIT: 0
	.section	.text._ZN7rocprim17ROCPRIM_400000_NS6detail17trampoline_kernelINS0_14default_configENS1_27scan_by_key_config_selectorIiiEEZZNS1_16scan_by_key_implILNS1_25lookback_scan_determinismE0ELb0ES3_PKiN6hipcub16HIPCUB_304000_NS21ConstantInputIteratorIilEEPiiNSB_3SumENSB_8EqualityEiEE10hipError_tPvRmT2_T3_T4_T5_mT6_T7_P12ihipStream_tbENKUlT_T0_E_clISt17integral_constantIbLb0EESX_EEDaSS_ST_EUlSS_E_NS1_11comp_targetILNS1_3genE8ELNS1_11target_archE1030ELNS1_3gpuE2ELNS1_3repE0EEENS1_30default_config_static_selectorELNS0_4arch9wavefront6targetE1EEEvT1_,"axG",@progbits,_ZN7rocprim17ROCPRIM_400000_NS6detail17trampoline_kernelINS0_14default_configENS1_27scan_by_key_config_selectorIiiEEZZNS1_16scan_by_key_implILNS1_25lookback_scan_determinismE0ELb0ES3_PKiN6hipcub16HIPCUB_304000_NS21ConstantInputIteratorIilEEPiiNSB_3SumENSB_8EqualityEiEE10hipError_tPvRmT2_T3_T4_T5_mT6_T7_P12ihipStream_tbENKUlT_T0_E_clISt17integral_constantIbLb0EESX_EEDaSS_ST_EUlSS_E_NS1_11comp_targetILNS1_3genE8ELNS1_11target_archE1030ELNS1_3gpuE2ELNS1_3repE0EEENS1_30default_config_static_selectorELNS0_4arch9wavefront6targetE1EEEvT1_,comdat
	.protected	_ZN7rocprim17ROCPRIM_400000_NS6detail17trampoline_kernelINS0_14default_configENS1_27scan_by_key_config_selectorIiiEEZZNS1_16scan_by_key_implILNS1_25lookback_scan_determinismE0ELb0ES3_PKiN6hipcub16HIPCUB_304000_NS21ConstantInputIteratorIilEEPiiNSB_3SumENSB_8EqualityEiEE10hipError_tPvRmT2_T3_T4_T5_mT6_T7_P12ihipStream_tbENKUlT_T0_E_clISt17integral_constantIbLb0EESX_EEDaSS_ST_EUlSS_E_NS1_11comp_targetILNS1_3genE8ELNS1_11target_archE1030ELNS1_3gpuE2ELNS1_3repE0EEENS1_30default_config_static_selectorELNS0_4arch9wavefront6targetE1EEEvT1_ ; -- Begin function _ZN7rocprim17ROCPRIM_400000_NS6detail17trampoline_kernelINS0_14default_configENS1_27scan_by_key_config_selectorIiiEEZZNS1_16scan_by_key_implILNS1_25lookback_scan_determinismE0ELb0ES3_PKiN6hipcub16HIPCUB_304000_NS21ConstantInputIteratorIilEEPiiNSB_3SumENSB_8EqualityEiEE10hipError_tPvRmT2_T3_T4_T5_mT6_T7_P12ihipStream_tbENKUlT_T0_E_clISt17integral_constantIbLb0EESX_EEDaSS_ST_EUlSS_E_NS1_11comp_targetILNS1_3genE8ELNS1_11target_archE1030ELNS1_3gpuE2ELNS1_3repE0EEENS1_30default_config_static_selectorELNS0_4arch9wavefront6targetE1EEEvT1_
	.globl	_ZN7rocprim17ROCPRIM_400000_NS6detail17trampoline_kernelINS0_14default_configENS1_27scan_by_key_config_selectorIiiEEZZNS1_16scan_by_key_implILNS1_25lookback_scan_determinismE0ELb0ES3_PKiN6hipcub16HIPCUB_304000_NS21ConstantInputIteratorIilEEPiiNSB_3SumENSB_8EqualityEiEE10hipError_tPvRmT2_T3_T4_T5_mT6_T7_P12ihipStream_tbENKUlT_T0_E_clISt17integral_constantIbLb0EESX_EEDaSS_ST_EUlSS_E_NS1_11comp_targetILNS1_3genE8ELNS1_11target_archE1030ELNS1_3gpuE2ELNS1_3repE0EEENS1_30default_config_static_selectorELNS0_4arch9wavefront6targetE1EEEvT1_
	.p2align	8
	.type	_ZN7rocprim17ROCPRIM_400000_NS6detail17trampoline_kernelINS0_14default_configENS1_27scan_by_key_config_selectorIiiEEZZNS1_16scan_by_key_implILNS1_25lookback_scan_determinismE0ELb0ES3_PKiN6hipcub16HIPCUB_304000_NS21ConstantInputIteratorIilEEPiiNSB_3SumENSB_8EqualityEiEE10hipError_tPvRmT2_T3_T4_T5_mT6_T7_P12ihipStream_tbENKUlT_T0_E_clISt17integral_constantIbLb0EESX_EEDaSS_ST_EUlSS_E_NS1_11comp_targetILNS1_3genE8ELNS1_11target_archE1030ELNS1_3gpuE2ELNS1_3repE0EEENS1_30default_config_static_selectorELNS0_4arch9wavefront6targetE1EEEvT1_,@function
_ZN7rocprim17ROCPRIM_400000_NS6detail17trampoline_kernelINS0_14default_configENS1_27scan_by_key_config_selectorIiiEEZZNS1_16scan_by_key_implILNS1_25lookback_scan_determinismE0ELb0ES3_PKiN6hipcub16HIPCUB_304000_NS21ConstantInputIteratorIilEEPiiNSB_3SumENSB_8EqualityEiEE10hipError_tPvRmT2_T3_T4_T5_mT6_T7_P12ihipStream_tbENKUlT_T0_E_clISt17integral_constantIbLb0EESX_EEDaSS_ST_EUlSS_E_NS1_11comp_targetILNS1_3genE8ELNS1_11target_archE1030ELNS1_3gpuE2ELNS1_3repE0EEENS1_30default_config_static_selectorELNS0_4arch9wavefront6targetE1EEEvT1_: ; @_ZN7rocprim17ROCPRIM_400000_NS6detail17trampoline_kernelINS0_14default_configENS1_27scan_by_key_config_selectorIiiEEZZNS1_16scan_by_key_implILNS1_25lookback_scan_determinismE0ELb0ES3_PKiN6hipcub16HIPCUB_304000_NS21ConstantInputIteratorIilEEPiiNSB_3SumENSB_8EqualityEiEE10hipError_tPvRmT2_T3_T4_T5_mT6_T7_P12ihipStream_tbENKUlT_T0_E_clISt17integral_constantIbLb0EESX_EEDaSS_ST_EUlSS_E_NS1_11comp_targetILNS1_3genE8ELNS1_11target_archE1030ELNS1_3gpuE2ELNS1_3repE0EEENS1_30default_config_static_selectorELNS0_4arch9wavefront6targetE1EEEvT1_
; %bb.0:
	.section	.rodata,"a",@progbits
	.p2align	6, 0x0
	.amdhsa_kernel _ZN7rocprim17ROCPRIM_400000_NS6detail17trampoline_kernelINS0_14default_configENS1_27scan_by_key_config_selectorIiiEEZZNS1_16scan_by_key_implILNS1_25lookback_scan_determinismE0ELb0ES3_PKiN6hipcub16HIPCUB_304000_NS21ConstantInputIteratorIilEEPiiNSB_3SumENSB_8EqualityEiEE10hipError_tPvRmT2_T3_T4_T5_mT6_T7_P12ihipStream_tbENKUlT_T0_E_clISt17integral_constantIbLb0EESX_EEDaSS_ST_EUlSS_E_NS1_11comp_targetILNS1_3genE8ELNS1_11target_archE1030ELNS1_3gpuE2ELNS1_3repE0EEENS1_30default_config_static_selectorELNS0_4arch9wavefront6targetE1EEEvT1_
		.amdhsa_group_segment_fixed_size 0
		.amdhsa_private_segment_fixed_size 0
		.amdhsa_kernarg_size 120
		.amdhsa_user_sgpr_count 2
		.amdhsa_user_sgpr_dispatch_ptr 0
		.amdhsa_user_sgpr_queue_ptr 0
		.amdhsa_user_sgpr_kernarg_segment_ptr 1
		.amdhsa_user_sgpr_dispatch_id 0
		.amdhsa_user_sgpr_kernarg_preload_length 0
		.amdhsa_user_sgpr_kernarg_preload_offset 0
		.amdhsa_user_sgpr_private_segment_size 0
		.amdhsa_uses_dynamic_stack 0
		.amdhsa_enable_private_segment 0
		.amdhsa_system_sgpr_workgroup_id_x 1
		.amdhsa_system_sgpr_workgroup_id_y 0
		.amdhsa_system_sgpr_workgroup_id_z 0
		.amdhsa_system_sgpr_workgroup_info 0
		.amdhsa_system_vgpr_workitem_id 0
		.amdhsa_next_free_vgpr 1
		.amdhsa_next_free_sgpr 0
		.amdhsa_accum_offset 4
		.amdhsa_reserve_vcc 0
		.amdhsa_float_round_mode_32 0
		.amdhsa_float_round_mode_16_64 0
		.amdhsa_float_denorm_mode_32 3
		.amdhsa_float_denorm_mode_16_64 3
		.amdhsa_dx10_clamp 1
		.amdhsa_ieee_mode 1
		.amdhsa_fp16_overflow 0
		.amdhsa_tg_split 0
		.amdhsa_exception_fp_ieee_invalid_op 0
		.amdhsa_exception_fp_denorm_src 0
		.amdhsa_exception_fp_ieee_div_zero 0
		.amdhsa_exception_fp_ieee_overflow 0
		.amdhsa_exception_fp_ieee_underflow 0
		.amdhsa_exception_fp_ieee_inexact 0
		.amdhsa_exception_int_div_zero 0
	.end_amdhsa_kernel
	.section	.text._ZN7rocprim17ROCPRIM_400000_NS6detail17trampoline_kernelINS0_14default_configENS1_27scan_by_key_config_selectorIiiEEZZNS1_16scan_by_key_implILNS1_25lookback_scan_determinismE0ELb0ES3_PKiN6hipcub16HIPCUB_304000_NS21ConstantInputIteratorIilEEPiiNSB_3SumENSB_8EqualityEiEE10hipError_tPvRmT2_T3_T4_T5_mT6_T7_P12ihipStream_tbENKUlT_T0_E_clISt17integral_constantIbLb0EESX_EEDaSS_ST_EUlSS_E_NS1_11comp_targetILNS1_3genE8ELNS1_11target_archE1030ELNS1_3gpuE2ELNS1_3repE0EEENS1_30default_config_static_selectorELNS0_4arch9wavefront6targetE1EEEvT1_,"axG",@progbits,_ZN7rocprim17ROCPRIM_400000_NS6detail17trampoline_kernelINS0_14default_configENS1_27scan_by_key_config_selectorIiiEEZZNS1_16scan_by_key_implILNS1_25lookback_scan_determinismE0ELb0ES3_PKiN6hipcub16HIPCUB_304000_NS21ConstantInputIteratorIilEEPiiNSB_3SumENSB_8EqualityEiEE10hipError_tPvRmT2_T3_T4_T5_mT6_T7_P12ihipStream_tbENKUlT_T0_E_clISt17integral_constantIbLb0EESX_EEDaSS_ST_EUlSS_E_NS1_11comp_targetILNS1_3genE8ELNS1_11target_archE1030ELNS1_3gpuE2ELNS1_3repE0EEENS1_30default_config_static_selectorELNS0_4arch9wavefront6targetE1EEEvT1_,comdat
.Lfunc_end18:
	.size	_ZN7rocprim17ROCPRIM_400000_NS6detail17trampoline_kernelINS0_14default_configENS1_27scan_by_key_config_selectorIiiEEZZNS1_16scan_by_key_implILNS1_25lookback_scan_determinismE0ELb0ES3_PKiN6hipcub16HIPCUB_304000_NS21ConstantInputIteratorIilEEPiiNSB_3SumENSB_8EqualityEiEE10hipError_tPvRmT2_T3_T4_T5_mT6_T7_P12ihipStream_tbENKUlT_T0_E_clISt17integral_constantIbLb0EESX_EEDaSS_ST_EUlSS_E_NS1_11comp_targetILNS1_3genE8ELNS1_11target_archE1030ELNS1_3gpuE2ELNS1_3repE0EEENS1_30default_config_static_selectorELNS0_4arch9wavefront6targetE1EEEvT1_, .Lfunc_end18-_ZN7rocprim17ROCPRIM_400000_NS6detail17trampoline_kernelINS0_14default_configENS1_27scan_by_key_config_selectorIiiEEZZNS1_16scan_by_key_implILNS1_25lookback_scan_determinismE0ELb0ES3_PKiN6hipcub16HIPCUB_304000_NS21ConstantInputIteratorIilEEPiiNSB_3SumENSB_8EqualityEiEE10hipError_tPvRmT2_T3_T4_T5_mT6_T7_P12ihipStream_tbENKUlT_T0_E_clISt17integral_constantIbLb0EESX_EEDaSS_ST_EUlSS_E_NS1_11comp_targetILNS1_3genE8ELNS1_11target_archE1030ELNS1_3gpuE2ELNS1_3repE0EEENS1_30default_config_static_selectorELNS0_4arch9wavefront6targetE1EEEvT1_
                                        ; -- End function
	.section	.AMDGPU.csdata,"",@progbits
; Kernel info:
; codeLenInByte = 0
; NumSgprs: 6
; NumVgprs: 0
; NumAgprs: 0
; TotalNumVgprs: 0
; ScratchSize: 0
; MemoryBound: 0
; FloatMode: 240
; IeeeMode: 1
; LDSByteSize: 0 bytes/workgroup (compile time only)
; SGPRBlocks: 0
; VGPRBlocks: 0
; NumSGPRsForWavesPerEU: 6
; NumVGPRsForWavesPerEU: 1
; AccumOffset: 4
; Occupancy: 8
; WaveLimiterHint : 0
; COMPUTE_PGM_RSRC2:SCRATCH_EN: 0
; COMPUTE_PGM_RSRC2:USER_SGPR: 2
; COMPUTE_PGM_RSRC2:TRAP_HANDLER: 0
; COMPUTE_PGM_RSRC2:TGID_X_EN: 1
; COMPUTE_PGM_RSRC2:TGID_Y_EN: 0
; COMPUTE_PGM_RSRC2:TGID_Z_EN: 0
; COMPUTE_PGM_RSRC2:TIDIG_COMP_CNT: 0
; COMPUTE_PGM_RSRC3_GFX90A:ACCUM_OFFSET: 0
; COMPUTE_PGM_RSRC3_GFX90A:TG_SPLIT: 0
	.section	.text._ZN7rocprim17ROCPRIM_400000_NS6detail30init_device_scan_by_key_kernelINS1_19lookback_scan_stateINS0_5tupleIJibEEELb1ELb1EEEPKijNS1_16block_id_wrapperIjLb1EEEEEvT_jjPNSB_10value_typeET0_PNSt15iterator_traitsISE_E10value_typeEmT1_T2_,"axG",@progbits,_ZN7rocprim17ROCPRIM_400000_NS6detail30init_device_scan_by_key_kernelINS1_19lookback_scan_stateINS0_5tupleIJibEEELb1ELb1EEEPKijNS1_16block_id_wrapperIjLb1EEEEEvT_jjPNSB_10value_typeET0_PNSt15iterator_traitsISE_E10value_typeEmT1_T2_,comdat
	.protected	_ZN7rocprim17ROCPRIM_400000_NS6detail30init_device_scan_by_key_kernelINS1_19lookback_scan_stateINS0_5tupleIJibEEELb1ELb1EEEPKijNS1_16block_id_wrapperIjLb1EEEEEvT_jjPNSB_10value_typeET0_PNSt15iterator_traitsISE_E10value_typeEmT1_T2_ ; -- Begin function _ZN7rocprim17ROCPRIM_400000_NS6detail30init_device_scan_by_key_kernelINS1_19lookback_scan_stateINS0_5tupleIJibEEELb1ELb1EEEPKijNS1_16block_id_wrapperIjLb1EEEEEvT_jjPNSB_10value_typeET0_PNSt15iterator_traitsISE_E10value_typeEmT1_T2_
	.globl	_ZN7rocprim17ROCPRIM_400000_NS6detail30init_device_scan_by_key_kernelINS1_19lookback_scan_stateINS0_5tupleIJibEEELb1ELb1EEEPKijNS1_16block_id_wrapperIjLb1EEEEEvT_jjPNSB_10value_typeET0_PNSt15iterator_traitsISE_E10value_typeEmT1_T2_
	.p2align	8
	.type	_ZN7rocprim17ROCPRIM_400000_NS6detail30init_device_scan_by_key_kernelINS1_19lookback_scan_stateINS0_5tupleIJibEEELb1ELb1EEEPKijNS1_16block_id_wrapperIjLb1EEEEEvT_jjPNSB_10value_typeET0_PNSt15iterator_traitsISE_E10value_typeEmT1_T2_,@function
_ZN7rocprim17ROCPRIM_400000_NS6detail30init_device_scan_by_key_kernelINS1_19lookback_scan_stateINS0_5tupleIJibEEELb1ELb1EEEPKijNS1_16block_id_wrapperIjLb1EEEEEvT_jjPNSB_10value_typeET0_PNSt15iterator_traitsISE_E10value_typeEmT1_T2_: ; @_ZN7rocprim17ROCPRIM_400000_NS6detail30init_device_scan_by_key_kernelINS1_19lookback_scan_stateINS0_5tupleIJibEEELb1ELb1EEEPKijNS1_16block_id_wrapperIjLb1EEEEEvT_jjPNSB_10value_typeET0_PNSt15iterator_traitsISE_E10value_typeEmT1_T2_
; %bb.0:
	s_load_dword s3, s[0:1], 0x4c
	s_load_dwordx8 s[4:11], s[0:1], 0x0
	s_load_dword s18, s[0:1], 0x40
	s_waitcnt lgkmcnt(0)
	s_and_b32 s19, s3, 0xffff
	s_mul_i32 s2, s2, s19
	s_cmp_eq_u64 s[8:9], 0
	v_add_u32_e32 v4, s2, v0
	s_cbranch_scc1 .LBB19_10
; %bb.1:
	s_cmp_lt_u32 s7, s6
	s_cselect_b32 s2, s7, 0
	s_mov_b32 s13, 0
	v_cmp_eq_u32_e32 vcc, s2, v4
	s_and_saveexec_b64 s[2:3], vcc
	s_cbranch_execz .LBB19_9
; %bb.2:
	s_add_i32 s12, s7, 64
	s_lshl_b64 s[12:13], s[12:13], 4
	s_add_u32 s16, s4, s12
	s_addc_u32 s17, s5, s13
	v_mov_b64_e32 v[0:1], s[16:17]
	;;#ASMSTART
	global_load_dwordx4 v[0:3], v[0:1] off sc1	
s_waitcnt vmcnt(0)
	;;#ASMEND
	v_mov_b32_e32 v7, 0
	v_and_b32_e32 v6, 0xff, v2
	s_mov_b64 s[14:15], 0
	v_cmp_eq_u64_e32 vcc, 0, v[6:7]
	s_and_saveexec_b64 s[12:13], vcc
	s_cbranch_execz .LBB19_8
; %bb.3:
	s_mov_b32 s7, 1
	v_mov_b64_e32 v[8:9], s[16:17]
.LBB19_4:                               ; =>This Loop Header: Depth=1
                                        ;     Child Loop BB19_5 Depth 2
	s_max_u32 s16, s7, 1
.LBB19_5:                               ;   Parent Loop BB19_4 Depth=1
                                        ; =>  This Inner Loop Header: Depth=2
	s_add_i32 s16, s16, -1
	s_cmp_eq_u32 s16, 0
	s_sleep 1
	s_cbranch_scc0 .LBB19_5
; %bb.6:                                ;   in Loop: Header=BB19_4 Depth=1
	s_cmp_lt_u32 s7, 32
	s_cselect_b64 s[16:17], -1, 0
	s_cmp_lg_u64 s[16:17], 0
	;;#ASMSTART
	global_load_dwordx4 v[0:3], v[8:9] off sc1	
s_waitcnt vmcnt(0)
	;;#ASMEND
	s_addc_u32 s7, s7, 0
	v_and_b32_e32 v6, 0xff, v2
	v_cmp_ne_u64_e32 vcc, 0, v[6:7]
	s_or_b64 s[14:15], vcc, s[14:15]
	s_andn2_b64 exec, exec, s[14:15]
	s_cbranch_execnz .LBB19_4
; %bb.7:
	s_or_b64 exec, exec, s[14:15]
.LBB19_8:
	s_or_b64 exec, exec, s[12:13]
	v_mov_b32_e32 v2, 0
	global_store_dword v2, v0, s[8:9]
	global_store_byte v2, v1, s[8:9] offset:4
.LBB19_9:
	s_or_b64 exec, exec, s[2:3]
.LBB19_10:
	v_cmp_eq_u32_e32 vcc, 0, v4
	s_and_saveexec_b64 s[2:3], vcc
	s_cbranch_execz .LBB19_12
; %bb.11:
	s_load_dwordx2 s[8:9], s[0:1], 0x38
	v_mov_b32_e32 v0, 0
	s_waitcnt lgkmcnt(0)
	global_store_dword v0, v0, s[8:9]
.LBB19_12:
	s_or_b64 exec, exec, s[2:3]
	v_cmp_gt_u32_e32 vcc, s6, v4
	s_and_saveexec_b64 s[2:3], vcc
	s_cbranch_execz .LBB19_14
; %bb.13:
	v_add_u32_e32 v0, 64, v4
	v_mov_b32_e32 v1, 0
	v_lshl_add_u64 v[6:7], v[0:1], 4, s[4:5]
	v_mov_b32_e32 v0, v1
	v_mov_b32_e32 v2, v1
	;; [unrolled: 1-line block ×3, first 2 shown]
	global_store_dwordx4 v[6:7], v[0:3], off
.LBB19_14:
	s_or_b64 exec, exec, s[2:3]
	v_cmp_gt_u32_e32 vcc, 64, v4
	v_mov_b32_e32 v5, 0
	s_and_saveexec_b64 s[2:3], vcc
	s_cbranch_execz .LBB19_16
; %bb.15:
	v_lshl_add_u64 v[6:7], v[4:5], 4, s[4:5]
	v_mov_b32_e32 v2, 0xff
	v_mov_b32_e32 v0, v5
	;; [unrolled: 1-line block ×4, first 2 shown]
	global_store_dwordx4 v[6:7], v[0:3], off
.LBB19_16:
	s_or_b64 exec, exec, s[2:3]
	s_load_dwordx2 s[2:3], s[0:1], 0x28
	s_waitcnt lgkmcnt(0)
	v_cmp_gt_u64_e32 vcc, s[2:3], v[4:5]
	s_and_saveexec_b64 s[4:5], vcc
	s_cbranch_execz .LBB19_19
; %bb.17:
	s_load_dword s12, s[0:1], 0x30
	s_load_dwordx2 s[6:7], s[0:1], 0x20
	s_mov_b32 s5, 0
	s_mov_b32 s1, s5
	s_mul_i32 s0, s18, s19
	s_waitcnt lgkmcnt(0)
	s_add_i32 s4, s12, -1
	s_lshl_b64 s[4:5], s[4:5], 2
	s_add_u32 s4, s10, s4
	v_mad_u64_u32 v[0:1], s[8:9], s12, v4, 0
	s_addc_u32 s5, s11, s5
	v_lshl_add_u64 v[0:1], v[0:1], 2, s[4:5]
	s_mul_hi_u32 s5, s12, s0
	s_mul_i32 s4, s12, s0
	s_lshl_b64 s[4:5], s[4:5], 2
	v_lshl_add_u64 v[2:3], v[4:5], 2, s[6:7]
	s_lshl_b64 s[6:7], s[0:1], 2
	s_mov_b64 s[8:9], 0
.LBB19_18:                              ; =>This Inner Loop Header: Depth=1
	global_load_dword v6, v[0:1], off
	v_lshl_add_u64 v[4:5], v[4:5], 0, s[0:1]
	v_cmp_le_u64_e32 vcc, s[2:3], v[4:5]
	v_lshl_add_u64 v[0:1], v[0:1], 0, s[4:5]
	s_or_b64 s[8:9], vcc, s[8:9]
	s_waitcnt vmcnt(0)
	global_store_dword v[2:3], v6, off
	v_lshl_add_u64 v[2:3], v[2:3], 0, s[6:7]
	s_andn2_b64 exec, exec, s[8:9]
	s_cbranch_execnz .LBB19_18
.LBB19_19:
	s_endpgm
	.section	.rodata,"a",@progbits
	.p2align	6, 0x0
	.amdhsa_kernel _ZN7rocprim17ROCPRIM_400000_NS6detail30init_device_scan_by_key_kernelINS1_19lookback_scan_stateINS0_5tupleIJibEEELb1ELb1EEEPKijNS1_16block_id_wrapperIjLb1EEEEEvT_jjPNSB_10value_typeET0_PNSt15iterator_traitsISE_E10value_typeEmT1_T2_
		.amdhsa_group_segment_fixed_size 0
		.amdhsa_private_segment_fixed_size 0
		.amdhsa_kernarg_size 320
		.amdhsa_user_sgpr_count 2
		.amdhsa_user_sgpr_dispatch_ptr 0
		.amdhsa_user_sgpr_queue_ptr 0
		.amdhsa_user_sgpr_kernarg_segment_ptr 1
		.amdhsa_user_sgpr_dispatch_id 0
		.amdhsa_user_sgpr_kernarg_preload_length 0
		.amdhsa_user_sgpr_kernarg_preload_offset 0
		.amdhsa_user_sgpr_private_segment_size 0
		.amdhsa_uses_dynamic_stack 0
		.amdhsa_enable_private_segment 0
		.amdhsa_system_sgpr_workgroup_id_x 1
		.amdhsa_system_sgpr_workgroup_id_y 0
		.amdhsa_system_sgpr_workgroup_id_z 0
		.amdhsa_system_sgpr_workgroup_info 0
		.amdhsa_system_vgpr_workitem_id 0
		.amdhsa_next_free_vgpr 10
		.amdhsa_next_free_sgpr 20
		.amdhsa_accum_offset 12
		.amdhsa_reserve_vcc 1
		.amdhsa_float_round_mode_32 0
		.amdhsa_float_round_mode_16_64 0
		.amdhsa_float_denorm_mode_32 3
		.amdhsa_float_denorm_mode_16_64 3
		.amdhsa_dx10_clamp 1
		.amdhsa_ieee_mode 1
		.amdhsa_fp16_overflow 0
		.amdhsa_tg_split 0
		.amdhsa_exception_fp_ieee_invalid_op 0
		.amdhsa_exception_fp_denorm_src 0
		.amdhsa_exception_fp_ieee_div_zero 0
		.amdhsa_exception_fp_ieee_overflow 0
		.amdhsa_exception_fp_ieee_underflow 0
		.amdhsa_exception_fp_ieee_inexact 0
		.amdhsa_exception_int_div_zero 0
	.end_amdhsa_kernel
	.section	.text._ZN7rocprim17ROCPRIM_400000_NS6detail30init_device_scan_by_key_kernelINS1_19lookback_scan_stateINS0_5tupleIJibEEELb1ELb1EEEPKijNS1_16block_id_wrapperIjLb1EEEEEvT_jjPNSB_10value_typeET0_PNSt15iterator_traitsISE_E10value_typeEmT1_T2_,"axG",@progbits,_ZN7rocprim17ROCPRIM_400000_NS6detail30init_device_scan_by_key_kernelINS1_19lookback_scan_stateINS0_5tupleIJibEEELb1ELb1EEEPKijNS1_16block_id_wrapperIjLb1EEEEEvT_jjPNSB_10value_typeET0_PNSt15iterator_traitsISE_E10value_typeEmT1_T2_,comdat
.Lfunc_end19:
	.size	_ZN7rocprim17ROCPRIM_400000_NS6detail30init_device_scan_by_key_kernelINS1_19lookback_scan_stateINS0_5tupleIJibEEELb1ELb1EEEPKijNS1_16block_id_wrapperIjLb1EEEEEvT_jjPNSB_10value_typeET0_PNSt15iterator_traitsISE_E10value_typeEmT1_T2_, .Lfunc_end19-_ZN7rocprim17ROCPRIM_400000_NS6detail30init_device_scan_by_key_kernelINS1_19lookback_scan_stateINS0_5tupleIJibEEELb1ELb1EEEPKijNS1_16block_id_wrapperIjLb1EEEEEvT_jjPNSB_10value_typeET0_PNSt15iterator_traitsISE_E10value_typeEmT1_T2_
                                        ; -- End function
	.section	.AMDGPU.csdata,"",@progbits
; Kernel info:
; codeLenInByte = 584
; NumSgprs: 26
; NumVgprs: 10
; NumAgprs: 0
; TotalNumVgprs: 10
; ScratchSize: 0
; MemoryBound: 0
; FloatMode: 240
; IeeeMode: 1
; LDSByteSize: 0 bytes/workgroup (compile time only)
; SGPRBlocks: 3
; VGPRBlocks: 1
; NumSGPRsForWavesPerEU: 26
; NumVGPRsForWavesPerEU: 10
; AccumOffset: 12
; Occupancy: 8
; WaveLimiterHint : 0
; COMPUTE_PGM_RSRC2:SCRATCH_EN: 0
; COMPUTE_PGM_RSRC2:USER_SGPR: 2
; COMPUTE_PGM_RSRC2:TRAP_HANDLER: 0
; COMPUTE_PGM_RSRC2:TGID_X_EN: 1
; COMPUTE_PGM_RSRC2:TGID_Y_EN: 0
; COMPUTE_PGM_RSRC2:TGID_Z_EN: 0
; COMPUTE_PGM_RSRC2:TIDIG_COMP_CNT: 0
; COMPUTE_PGM_RSRC3_GFX90A:ACCUM_OFFSET: 2
; COMPUTE_PGM_RSRC3_GFX90A:TG_SPLIT: 0
	.section	.text._ZN7rocprim17ROCPRIM_400000_NS6detail30init_device_scan_by_key_kernelINS1_19lookback_scan_stateINS0_5tupleIJibEEELb1ELb1EEENS1_16block_id_wrapperIjLb1EEEEEvT_jjPNS9_10value_typeET0_,"axG",@progbits,_ZN7rocprim17ROCPRIM_400000_NS6detail30init_device_scan_by_key_kernelINS1_19lookback_scan_stateINS0_5tupleIJibEEELb1ELb1EEENS1_16block_id_wrapperIjLb1EEEEEvT_jjPNS9_10value_typeET0_,comdat
	.protected	_ZN7rocprim17ROCPRIM_400000_NS6detail30init_device_scan_by_key_kernelINS1_19lookback_scan_stateINS0_5tupleIJibEEELb1ELb1EEENS1_16block_id_wrapperIjLb1EEEEEvT_jjPNS9_10value_typeET0_ ; -- Begin function _ZN7rocprim17ROCPRIM_400000_NS6detail30init_device_scan_by_key_kernelINS1_19lookback_scan_stateINS0_5tupleIJibEEELb1ELb1EEENS1_16block_id_wrapperIjLb1EEEEEvT_jjPNS9_10value_typeET0_
	.globl	_ZN7rocprim17ROCPRIM_400000_NS6detail30init_device_scan_by_key_kernelINS1_19lookback_scan_stateINS0_5tupleIJibEEELb1ELb1EEENS1_16block_id_wrapperIjLb1EEEEEvT_jjPNS9_10value_typeET0_
	.p2align	8
	.type	_ZN7rocprim17ROCPRIM_400000_NS6detail30init_device_scan_by_key_kernelINS1_19lookback_scan_stateINS0_5tupleIJibEEELb1ELb1EEENS1_16block_id_wrapperIjLb1EEEEEvT_jjPNS9_10value_typeET0_,@function
_ZN7rocprim17ROCPRIM_400000_NS6detail30init_device_scan_by_key_kernelINS1_19lookback_scan_stateINS0_5tupleIJibEEELb1ELb1EEENS1_16block_id_wrapperIjLb1EEEEEvT_jjPNS9_10value_typeET0_: ; @_ZN7rocprim17ROCPRIM_400000_NS6detail30init_device_scan_by_key_kernelINS1_19lookback_scan_stateINS0_5tupleIJibEEELb1ELb1EEENS1_16block_id_wrapperIjLb1EEEEEvT_jjPNS9_10value_typeET0_
; %bb.0:
	s_load_dword s3, s[0:1], 0x2c
	s_load_dwordx8 s[4:11], s[0:1], 0x0
	s_waitcnt lgkmcnt(0)
	s_and_b32 s0, s3, 0xffff
	s_mul_i32 s2, s2, s0
	s_cmp_eq_u64 s[8:9], 0
	v_add_u32_e32 v0, s2, v0
	s_cbranch_scc1 .LBB20_10
; %bb.1:
	s_cmp_lt_u32 s7, s6
	s_cselect_b32 s0, s7, 0
	s_mov_b32 s3, 0
	v_cmp_eq_u32_e32 vcc, s0, v0
	s_and_saveexec_b64 s[0:1], vcc
	s_cbranch_execz .LBB20_9
; %bb.2:
	s_add_i32 s2, s7, 64
	s_lshl_b64 s[2:3], s[2:3], 4
	s_add_u32 s14, s4, s2
	s_addc_u32 s15, s5, s3
	v_mov_b64_e32 v[2:3], s[14:15]
	;;#ASMSTART
	global_load_dwordx4 v[2:5], v[2:3] off sc1	
s_waitcnt vmcnt(0)
	;;#ASMEND
	v_mov_b32_e32 v7, 0
	v_and_b32_e32 v6, 0xff, v4
	s_mov_b64 s[12:13], 0
	v_cmp_eq_u64_e32 vcc, 0, v[6:7]
	s_and_saveexec_b64 s[2:3], vcc
	s_cbranch_execz .LBB20_8
; %bb.3:
	s_mov_b32 s7, 1
	v_mov_b64_e32 v[8:9], s[14:15]
.LBB20_4:                               ; =>This Loop Header: Depth=1
                                        ;     Child Loop BB20_5 Depth 2
	s_max_u32 s14, s7, 1
.LBB20_5:                               ;   Parent Loop BB20_4 Depth=1
                                        ; =>  This Inner Loop Header: Depth=2
	s_add_i32 s14, s14, -1
	s_cmp_eq_u32 s14, 0
	s_sleep 1
	s_cbranch_scc0 .LBB20_5
; %bb.6:                                ;   in Loop: Header=BB20_4 Depth=1
	s_cmp_lt_u32 s7, 32
	s_cselect_b64 s[14:15], -1, 0
	s_cmp_lg_u64 s[14:15], 0
	;;#ASMSTART
	global_load_dwordx4 v[2:5], v[8:9] off sc1	
s_waitcnt vmcnt(0)
	;;#ASMEND
	s_addc_u32 s7, s7, 0
	v_and_b32_e32 v6, 0xff, v4
	v_cmp_ne_u64_e32 vcc, 0, v[6:7]
	s_or_b64 s[12:13], vcc, s[12:13]
	s_andn2_b64 exec, exec, s[12:13]
	s_cbranch_execnz .LBB20_4
; %bb.7:
	s_or_b64 exec, exec, s[12:13]
.LBB20_8:
	s_or_b64 exec, exec, s[2:3]
	v_mov_b32_e32 v1, 0
	global_store_dword v1, v2, s[8:9]
	global_store_byte v1, v3, s[8:9] offset:4
.LBB20_9:
	s_or_b64 exec, exec, s[0:1]
.LBB20_10:
	v_cmp_eq_u32_e32 vcc, 0, v0
	s_and_saveexec_b64 s[0:1], vcc
	s_cbranch_execnz .LBB20_14
; %bb.11:
	s_or_b64 exec, exec, s[0:1]
	v_cmp_gt_u32_e32 vcc, s6, v0
	s_and_saveexec_b64 s[0:1], vcc
	s_cbranch_execnz .LBB20_15
.LBB20_12:
	s_or_b64 exec, exec, s[0:1]
	v_cmp_gt_u32_e32 vcc, 64, v0
	s_and_saveexec_b64 s[0:1], vcc
	s_cbranch_execnz .LBB20_16
.LBB20_13:
	s_endpgm
.LBB20_14:
	v_mov_b32_e32 v1, 0
	global_store_dword v1, v1, s[10:11]
	s_or_b64 exec, exec, s[0:1]
	v_cmp_gt_u32_e32 vcc, s6, v0
	s_and_saveexec_b64 s[0:1], vcc
	s_cbranch_execz .LBB20_12
.LBB20_15:
	v_add_u32_e32 v2, 64, v0
	v_mov_b32_e32 v3, 0
	v_lshl_add_u64 v[6:7], v[2:3], 4, s[4:5]
	v_mov_b32_e32 v2, v3
	v_mov_b32_e32 v4, v3
	;; [unrolled: 1-line block ×3, first 2 shown]
	global_store_dwordx4 v[6:7], v[2:5], off
	s_or_b64 exec, exec, s[0:1]
	v_cmp_gt_u32_e32 vcc, 64, v0
	s_and_saveexec_b64 s[0:1], vcc
	s_cbranch_execz .LBB20_13
.LBB20_16:
	v_mov_b32_e32 v1, 0
	v_lshl_add_u64 v[4:5], v[0:1], 4, s[4:5]
	v_mov_b32_e32 v2, 0xff
	v_mov_b32_e32 v0, v1
	;; [unrolled: 1-line block ×3, first 2 shown]
	global_store_dwordx4 v[4:5], v[0:3], off
	s_endpgm
	.section	.rodata,"a",@progbits
	.p2align	6, 0x0
	.amdhsa_kernel _ZN7rocprim17ROCPRIM_400000_NS6detail30init_device_scan_by_key_kernelINS1_19lookback_scan_stateINS0_5tupleIJibEEELb1ELb1EEENS1_16block_id_wrapperIjLb1EEEEEvT_jjPNS9_10value_typeET0_
		.amdhsa_group_segment_fixed_size 0
		.amdhsa_private_segment_fixed_size 0
		.amdhsa_kernarg_size 288
		.amdhsa_user_sgpr_count 2
		.amdhsa_user_sgpr_dispatch_ptr 0
		.amdhsa_user_sgpr_queue_ptr 0
		.amdhsa_user_sgpr_kernarg_segment_ptr 1
		.amdhsa_user_sgpr_dispatch_id 0
		.amdhsa_user_sgpr_kernarg_preload_length 0
		.amdhsa_user_sgpr_kernarg_preload_offset 0
		.amdhsa_user_sgpr_private_segment_size 0
		.amdhsa_uses_dynamic_stack 0
		.amdhsa_enable_private_segment 0
		.amdhsa_system_sgpr_workgroup_id_x 1
		.amdhsa_system_sgpr_workgroup_id_y 0
		.amdhsa_system_sgpr_workgroup_id_z 0
		.amdhsa_system_sgpr_workgroup_info 0
		.amdhsa_system_vgpr_workitem_id 0
		.amdhsa_next_free_vgpr 10
		.amdhsa_next_free_sgpr 16
		.amdhsa_accum_offset 12
		.amdhsa_reserve_vcc 1
		.amdhsa_float_round_mode_32 0
		.amdhsa_float_round_mode_16_64 0
		.amdhsa_float_denorm_mode_32 3
		.amdhsa_float_denorm_mode_16_64 3
		.amdhsa_dx10_clamp 1
		.amdhsa_ieee_mode 1
		.amdhsa_fp16_overflow 0
		.amdhsa_tg_split 0
		.amdhsa_exception_fp_ieee_invalid_op 0
		.amdhsa_exception_fp_denorm_src 0
		.amdhsa_exception_fp_ieee_div_zero 0
		.amdhsa_exception_fp_ieee_overflow 0
		.amdhsa_exception_fp_ieee_underflow 0
		.amdhsa_exception_fp_ieee_inexact 0
		.amdhsa_exception_int_div_zero 0
	.end_amdhsa_kernel
	.section	.text._ZN7rocprim17ROCPRIM_400000_NS6detail30init_device_scan_by_key_kernelINS1_19lookback_scan_stateINS0_5tupleIJibEEELb1ELb1EEENS1_16block_id_wrapperIjLb1EEEEEvT_jjPNS9_10value_typeET0_,"axG",@progbits,_ZN7rocprim17ROCPRIM_400000_NS6detail30init_device_scan_by_key_kernelINS1_19lookback_scan_stateINS0_5tupleIJibEEELb1ELb1EEENS1_16block_id_wrapperIjLb1EEEEEvT_jjPNS9_10value_typeET0_,comdat
.Lfunc_end20:
	.size	_ZN7rocprim17ROCPRIM_400000_NS6detail30init_device_scan_by_key_kernelINS1_19lookback_scan_stateINS0_5tupleIJibEEELb1ELb1EEENS1_16block_id_wrapperIjLb1EEEEEvT_jjPNS9_10value_typeET0_, .Lfunc_end20-_ZN7rocprim17ROCPRIM_400000_NS6detail30init_device_scan_by_key_kernelINS1_19lookback_scan_stateINS0_5tupleIJibEEELb1ELb1EEENS1_16block_id_wrapperIjLb1EEEEEvT_jjPNS9_10value_typeET0_
                                        ; -- End function
	.section	.AMDGPU.csdata,"",@progbits
; Kernel info:
; codeLenInByte = 416
; NumSgprs: 22
; NumVgprs: 10
; NumAgprs: 0
; TotalNumVgprs: 10
; ScratchSize: 0
; MemoryBound: 0
; FloatMode: 240
; IeeeMode: 1
; LDSByteSize: 0 bytes/workgroup (compile time only)
; SGPRBlocks: 2
; VGPRBlocks: 1
; NumSGPRsForWavesPerEU: 22
; NumVGPRsForWavesPerEU: 10
; AccumOffset: 12
; Occupancy: 8
; WaveLimiterHint : 0
; COMPUTE_PGM_RSRC2:SCRATCH_EN: 0
; COMPUTE_PGM_RSRC2:USER_SGPR: 2
; COMPUTE_PGM_RSRC2:TRAP_HANDLER: 0
; COMPUTE_PGM_RSRC2:TGID_X_EN: 1
; COMPUTE_PGM_RSRC2:TGID_Y_EN: 0
; COMPUTE_PGM_RSRC2:TGID_Z_EN: 0
; COMPUTE_PGM_RSRC2:TIDIG_COMP_CNT: 0
; COMPUTE_PGM_RSRC3_GFX90A:ACCUM_OFFSET: 2
; COMPUTE_PGM_RSRC3_GFX90A:TG_SPLIT: 0
	.section	.text._ZN7rocprim17ROCPRIM_400000_NS6detail17trampoline_kernelINS0_14default_configENS1_27scan_by_key_config_selectorIiiEEZZNS1_16scan_by_key_implILNS1_25lookback_scan_determinismE0ELb0ES3_PKiN6hipcub16HIPCUB_304000_NS21ConstantInputIteratorIilEEPiiNSB_3SumENSB_8EqualityEiEE10hipError_tPvRmT2_T3_T4_T5_mT6_T7_P12ihipStream_tbENKUlT_T0_E_clISt17integral_constantIbLb1EESX_EEDaSS_ST_EUlSS_E_NS1_11comp_targetILNS1_3genE0ELNS1_11target_archE4294967295ELNS1_3gpuE0ELNS1_3repE0EEENS1_30default_config_static_selectorELNS0_4arch9wavefront6targetE1EEEvT1_,"axG",@progbits,_ZN7rocprim17ROCPRIM_400000_NS6detail17trampoline_kernelINS0_14default_configENS1_27scan_by_key_config_selectorIiiEEZZNS1_16scan_by_key_implILNS1_25lookback_scan_determinismE0ELb0ES3_PKiN6hipcub16HIPCUB_304000_NS21ConstantInputIteratorIilEEPiiNSB_3SumENSB_8EqualityEiEE10hipError_tPvRmT2_T3_T4_T5_mT6_T7_P12ihipStream_tbENKUlT_T0_E_clISt17integral_constantIbLb1EESX_EEDaSS_ST_EUlSS_E_NS1_11comp_targetILNS1_3genE0ELNS1_11target_archE4294967295ELNS1_3gpuE0ELNS1_3repE0EEENS1_30default_config_static_selectorELNS0_4arch9wavefront6targetE1EEEvT1_,comdat
	.protected	_ZN7rocprim17ROCPRIM_400000_NS6detail17trampoline_kernelINS0_14default_configENS1_27scan_by_key_config_selectorIiiEEZZNS1_16scan_by_key_implILNS1_25lookback_scan_determinismE0ELb0ES3_PKiN6hipcub16HIPCUB_304000_NS21ConstantInputIteratorIilEEPiiNSB_3SumENSB_8EqualityEiEE10hipError_tPvRmT2_T3_T4_T5_mT6_T7_P12ihipStream_tbENKUlT_T0_E_clISt17integral_constantIbLb1EESX_EEDaSS_ST_EUlSS_E_NS1_11comp_targetILNS1_3genE0ELNS1_11target_archE4294967295ELNS1_3gpuE0ELNS1_3repE0EEENS1_30default_config_static_selectorELNS0_4arch9wavefront6targetE1EEEvT1_ ; -- Begin function _ZN7rocprim17ROCPRIM_400000_NS6detail17trampoline_kernelINS0_14default_configENS1_27scan_by_key_config_selectorIiiEEZZNS1_16scan_by_key_implILNS1_25lookback_scan_determinismE0ELb0ES3_PKiN6hipcub16HIPCUB_304000_NS21ConstantInputIteratorIilEEPiiNSB_3SumENSB_8EqualityEiEE10hipError_tPvRmT2_T3_T4_T5_mT6_T7_P12ihipStream_tbENKUlT_T0_E_clISt17integral_constantIbLb1EESX_EEDaSS_ST_EUlSS_E_NS1_11comp_targetILNS1_3genE0ELNS1_11target_archE4294967295ELNS1_3gpuE0ELNS1_3repE0EEENS1_30default_config_static_selectorELNS0_4arch9wavefront6targetE1EEEvT1_
	.globl	_ZN7rocprim17ROCPRIM_400000_NS6detail17trampoline_kernelINS0_14default_configENS1_27scan_by_key_config_selectorIiiEEZZNS1_16scan_by_key_implILNS1_25lookback_scan_determinismE0ELb0ES3_PKiN6hipcub16HIPCUB_304000_NS21ConstantInputIteratorIilEEPiiNSB_3SumENSB_8EqualityEiEE10hipError_tPvRmT2_T3_T4_T5_mT6_T7_P12ihipStream_tbENKUlT_T0_E_clISt17integral_constantIbLb1EESX_EEDaSS_ST_EUlSS_E_NS1_11comp_targetILNS1_3genE0ELNS1_11target_archE4294967295ELNS1_3gpuE0ELNS1_3repE0EEENS1_30default_config_static_selectorELNS0_4arch9wavefront6targetE1EEEvT1_
	.p2align	8
	.type	_ZN7rocprim17ROCPRIM_400000_NS6detail17trampoline_kernelINS0_14default_configENS1_27scan_by_key_config_selectorIiiEEZZNS1_16scan_by_key_implILNS1_25lookback_scan_determinismE0ELb0ES3_PKiN6hipcub16HIPCUB_304000_NS21ConstantInputIteratorIilEEPiiNSB_3SumENSB_8EqualityEiEE10hipError_tPvRmT2_T3_T4_T5_mT6_T7_P12ihipStream_tbENKUlT_T0_E_clISt17integral_constantIbLb1EESX_EEDaSS_ST_EUlSS_E_NS1_11comp_targetILNS1_3genE0ELNS1_11target_archE4294967295ELNS1_3gpuE0ELNS1_3repE0EEENS1_30default_config_static_selectorELNS0_4arch9wavefront6targetE1EEEvT1_,@function
_ZN7rocprim17ROCPRIM_400000_NS6detail17trampoline_kernelINS0_14default_configENS1_27scan_by_key_config_selectorIiiEEZZNS1_16scan_by_key_implILNS1_25lookback_scan_determinismE0ELb0ES3_PKiN6hipcub16HIPCUB_304000_NS21ConstantInputIteratorIilEEPiiNSB_3SumENSB_8EqualityEiEE10hipError_tPvRmT2_T3_T4_T5_mT6_T7_P12ihipStream_tbENKUlT_T0_E_clISt17integral_constantIbLb1EESX_EEDaSS_ST_EUlSS_E_NS1_11comp_targetILNS1_3genE0ELNS1_11target_archE4294967295ELNS1_3gpuE0ELNS1_3repE0EEENS1_30default_config_static_selectorELNS0_4arch9wavefront6targetE1EEEvT1_: ; @_ZN7rocprim17ROCPRIM_400000_NS6detail17trampoline_kernelINS0_14default_configENS1_27scan_by_key_config_selectorIiiEEZZNS1_16scan_by_key_implILNS1_25lookback_scan_determinismE0ELb0ES3_PKiN6hipcub16HIPCUB_304000_NS21ConstantInputIteratorIilEEPiiNSB_3SumENSB_8EqualityEiEE10hipError_tPvRmT2_T3_T4_T5_mT6_T7_P12ihipStream_tbENKUlT_T0_E_clISt17integral_constantIbLb1EESX_EEDaSS_ST_EUlSS_E_NS1_11comp_targetILNS1_3genE0ELNS1_11target_archE4294967295ELNS1_3gpuE0ELNS1_3repE0EEENS1_30default_config_static_selectorELNS0_4arch9wavefront6targetE1EEEvT1_
; %bb.0:
	.section	.rodata,"a",@progbits
	.p2align	6, 0x0
	.amdhsa_kernel _ZN7rocprim17ROCPRIM_400000_NS6detail17trampoline_kernelINS0_14default_configENS1_27scan_by_key_config_selectorIiiEEZZNS1_16scan_by_key_implILNS1_25lookback_scan_determinismE0ELb0ES3_PKiN6hipcub16HIPCUB_304000_NS21ConstantInputIteratorIilEEPiiNSB_3SumENSB_8EqualityEiEE10hipError_tPvRmT2_T3_T4_T5_mT6_T7_P12ihipStream_tbENKUlT_T0_E_clISt17integral_constantIbLb1EESX_EEDaSS_ST_EUlSS_E_NS1_11comp_targetILNS1_3genE0ELNS1_11target_archE4294967295ELNS1_3gpuE0ELNS1_3repE0EEENS1_30default_config_static_selectorELNS0_4arch9wavefront6targetE1EEEvT1_
		.amdhsa_group_segment_fixed_size 0
		.amdhsa_private_segment_fixed_size 0
		.amdhsa_kernarg_size 120
		.amdhsa_user_sgpr_count 2
		.amdhsa_user_sgpr_dispatch_ptr 0
		.amdhsa_user_sgpr_queue_ptr 0
		.amdhsa_user_sgpr_kernarg_segment_ptr 1
		.amdhsa_user_sgpr_dispatch_id 0
		.amdhsa_user_sgpr_kernarg_preload_length 0
		.amdhsa_user_sgpr_kernarg_preload_offset 0
		.amdhsa_user_sgpr_private_segment_size 0
		.amdhsa_uses_dynamic_stack 0
		.amdhsa_enable_private_segment 0
		.amdhsa_system_sgpr_workgroup_id_x 1
		.amdhsa_system_sgpr_workgroup_id_y 0
		.amdhsa_system_sgpr_workgroup_id_z 0
		.amdhsa_system_sgpr_workgroup_info 0
		.amdhsa_system_vgpr_workitem_id 0
		.amdhsa_next_free_vgpr 1
		.amdhsa_next_free_sgpr 0
		.amdhsa_accum_offset 4
		.amdhsa_reserve_vcc 0
		.amdhsa_float_round_mode_32 0
		.amdhsa_float_round_mode_16_64 0
		.amdhsa_float_denorm_mode_32 3
		.amdhsa_float_denorm_mode_16_64 3
		.amdhsa_dx10_clamp 1
		.amdhsa_ieee_mode 1
		.amdhsa_fp16_overflow 0
		.amdhsa_tg_split 0
		.amdhsa_exception_fp_ieee_invalid_op 0
		.amdhsa_exception_fp_denorm_src 0
		.amdhsa_exception_fp_ieee_div_zero 0
		.amdhsa_exception_fp_ieee_overflow 0
		.amdhsa_exception_fp_ieee_underflow 0
		.amdhsa_exception_fp_ieee_inexact 0
		.amdhsa_exception_int_div_zero 0
	.end_amdhsa_kernel
	.section	.text._ZN7rocprim17ROCPRIM_400000_NS6detail17trampoline_kernelINS0_14default_configENS1_27scan_by_key_config_selectorIiiEEZZNS1_16scan_by_key_implILNS1_25lookback_scan_determinismE0ELb0ES3_PKiN6hipcub16HIPCUB_304000_NS21ConstantInputIteratorIilEEPiiNSB_3SumENSB_8EqualityEiEE10hipError_tPvRmT2_T3_T4_T5_mT6_T7_P12ihipStream_tbENKUlT_T0_E_clISt17integral_constantIbLb1EESX_EEDaSS_ST_EUlSS_E_NS1_11comp_targetILNS1_3genE0ELNS1_11target_archE4294967295ELNS1_3gpuE0ELNS1_3repE0EEENS1_30default_config_static_selectorELNS0_4arch9wavefront6targetE1EEEvT1_,"axG",@progbits,_ZN7rocprim17ROCPRIM_400000_NS6detail17trampoline_kernelINS0_14default_configENS1_27scan_by_key_config_selectorIiiEEZZNS1_16scan_by_key_implILNS1_25lookback_scan_determinismE0ELb0ES3_PKiN6hipcub16HIPCUB_304000_NS21ConstantInputIteratorIilEEPiiNSB_3SumENSB_8EqualityEiEE10hipError_tPvRmT2_T3_T4_T5_mT6_T7_P12ihipStream_tbENKUlT_T0_E_clISt17integral_constantIbLb1EESX_EEDaSS_ST_EUlSS_E_NS1_11comp_targetILNS1_3genE0ELNS1_11target_archE4294967295ELNS1_3gpuE0ELNS1_3repE0EEENS1_30default_config_static_selectorELNS0_4arch9wavefront6targetE1EEEvT1_,comdat
.Lfunc_end21:
	.size	_ZN7rocprim17ROCPRIM_400000_NS6detail17trampoline_kernelINS0_14default_configENS1_27scan_by_key_config_selectorIiiEEZZNS1_16scan_by_key_implILNS1_25lookback_scan_determinismE0ELb0ES3_PKiN6hipcub16HIPCUB_304000_NS21ConstantInputIteratorIilEEPiiNSB_3SumENSB_8EqualityEiEE10hipError_tPvRmT2_T3_T4_T5_mT6_T7_P12ihipStream_tbENKUlT_T0_E_clISt17integral_constantIbLb1EESX_EEDaSS_ST_EUlSS_E_NS1_11comp_targetILNS1_3genE0ELNS1_11target_archE4294967295ELNS1_3gpuE0ELNS1_3repE0EEENS1_30default_config_static_selectorELNS0_4arch9wavefront6targetE1EEEvT1_, .Lfunc_end21-_ZN7rocprim17ROCPRIM_400000_NS6detail17trampoline_kernelINS0_14default_configENS1_27scan_by_key_config_selectorIiiEEZZNS1_16scan_by_key_implILNS1_25lookback_scan_determinismE0ELb0ES3_PKiN6hipcub16HIPCUB_304000_NS21ConstantInputIteratorIilEEPiiNSB_3SumENSB_8EqualityEiEE10hipError_tPvRmT2_T3_T4_T5_mT6_T7_P12ihipStream_tbENKUlT_T0_E_clISt17integral_constantIbLb1EESX_EEDaSS_ST_EUlSS_E_NS1_11comp_targetILNS1_3genE0ELNS1_11target_archE4294967295ELNS1_3gpuE0ELNS1_3repE0EEENS1_30default_config_static_selectorELNS0_4arch9wavefront6targetE1EEEvT1_
                                        ; -- End function
	.section	.AMDGPU.csdata,"",@progbits
; Kernel info:
; codeLenInByte = 0
; NumSgprs: 6
; NumVgprs: 0
; NumAgprs: 0
; TotalNumVgprs: 0
; ScratchSize: 0
; MemoryBound: 0
; FloatMode: 240
; IeeeMode: 1
; LDSByteSize: 0 bytes/workgroup (compile time only)
; SGPRBlocks: 0
; VGPRBlocks: 0
; NumSGPRsForWavesPerEU: 6
; NumVGPRsForWavesPerEU: 1
; AccumOffset: 4
; Occupancy: 8
; WaveLimiterHint : 0
; COMPUTE_PGM_RSRC2:SCRATCH_EN: 0
; COMPUTE_PGM_RSRC2:USER_SGPR: 2
; COMPUTE_PGM_RSRC2:TRAP_HANDLER: 0
; COMPUTE_PGM_RSRC2:TGID_X_EN: 1
; COMPUTE_PGM_RSRC2:TGID_Y_EN: 0
; COMPUTE_PGM_RSRC2:TGID_Z_EN: 0
; COMPUTE_PGM_RSRC2:TIDIG_COMP_CNT: 0
; COMPUTE_PGM_RSRC3_GFX90A:ACCUM_OFFSET: 0
; COMPUTE_PGM_RSRC3_GFX90A:TG_SPLIT: 0
	.section	.text._ZN7rocprim17ROCPRIM_400000_NS6detail17trampoline_kernelINS0_14default_configENS1_27scan_by_key_config_selectorIiiEEZZNS1_16scan_by_key_implILNS1_25lookback_scan_determinismE0ELb0ES3_PKiN6hipcub16HIPCUB_304000_NS21ConstantInputIteratorIilEEPiiNSB_3SumENSB_8EqualityEiEE10hipError_tPvRmT2_T3_T4_T5_mT6_T7_P12ihipStream_tbENKUlT_T0_E_clISt17integral_constantIbLb1EESX_EEDaSS_ST_EUlSS_E_NS1_11comp_targetILNS1_3genE10ELNS1_11target_archE1201ELNS1_3gpuE5ELNS1_3repE0EEENS1_30default_config_static_selectorELNS0_4arch9wavefront6targetE1EEEvT1_,"axG",@progbits,_ZN7rocprim17ROCPRIM_400000_NS6detail17trampoline_kernelINS0_14default_configENS1_27scan_by_key_config_selectorIiiEEZZNS1_16scan_by_key_implILNS1_25lookback_scan_determinismE0ELb0ES3_PKiN6hipcub16HIPCUB_304000_NS21ConstantInputIteratorIilEEPiiNSB_3SumENSB_8EqualityEiEE10hipError_tPvRmT2_T3_T4_T5_mT6_T7_P12ihipStream_tbENKUlT_T0_E_clISt17integral_constantIbLb1EESX_EEDaSS_ST_EUlSS_E_NS1_11comp_targetILNS1_3genE10ELNS1_11target_archE1201ELNS1_3gpuE5ELNS1_3repE0EEENS1_30default_config_static_selectorELNS0_4arch9wavefront6targetE1EEEvT1_,comdat
	.protected	_ZN7rocprim17ROCPRIM_400000_NS6detail17trampoline_kernelINS0_14default_configENS1_27scan_by_key_config_selectorIiiEEZZNS1_16scan_by_key_implILNS1_25lookback_scan_determinismE0ELb0ES3_PKiN6hipcub16HIPCUB_304000_NS21ConstantInputIteratorIilEEPiiNSB_3SumENSB_8EqualityEiEE10hipError_tPvRmT2_T3_T4_T5_mT6_T7_P12ihipStream_tbENKUlT_T0_E_clISt17integral_constantIbLb1EESX_EEDaSS_ST_EUlSS_E_NS1_11comp_targetILNS1_3genE10ELNS1_11target_archE1201ELNS1_3gpuE5ELNS1_3repE0EEENS1_30default_config_static_selectorELNS0_4arch9wavefront6targetE1EEEvT1_ ; -- Begin function _ZN7rocprim17ROCPRIM_400000_NS6detail17trampoline_kernelINS0_14default_configENS1_27scan_by_key_config_selectorIiiEEZZNS1_16scan_by_key_implILNS1_25lookback_scan_determinismE0ELb0ES3_PKiN6hipcub16HIPCUB_304000_NS21ConstantInputIteratorIilEEPiiNSB_3SumENSB_8EqualityEiEE10hipError_tPvRmT2_T3_T4_T5_mT6_T7_P12ihipStream_tbENKUlT_T0_E_clISt17integral_constantIbLb1EESX_EEDaSS_ST_EUlSS_E_NS1_11comp_targetILNS1_3genE10ELNS1_11target_archE1201ELNS1_3gpuE5ELNS1_3repE0EEENS1_30default_config_static_selectorELNS0_4arch9wavefront6targetE1EEEvT1_
	.globl	_ZN7rocprim17ROCPRIM_400000_NS6detail17trampoline_kernelINS0_14default_configENS1_27scan_by_key_config_selectorIiiEEZZNS1_16scan_by_key_implILNS1_25lookback_scan_determinismE0ELb0ES3_PKiN6hipcub16HIPCUB_304000_NS21ConstantInputIteratorIilEEPiiNSB_3SumENSB_8EqualityEiEE10hipError_tPvRmT2_T3_T4_T5_mT6_T7_P12ihipStream_tbENKUlT_T0_E_clISt17integral_constantIbLb1EESX_EEDaSS_ST_EUlSS_E_NS1_11comp_targetILNS1_3genE10ELNS1_11target_archE1201ELNS1_3gpuE5ELNS1_3repE0EEENS1_30default_config_static_selectorELNS0_4arch9wavefront6targetE1EEEvT1_
	.p2align	8
	.type	_ZN7rocprim17ROCPRIM_400000_NS6detail17trampoline_kernelINS0_14default_configENS1_27scan_by_key_config_selectorIiiEEZZNS1_16scan_by_key_implILNS1_25lookback_scan_determinismE0ELb0ES3_PKiN6hipcub16HIPCUB_304000_NS21ConstantInputIteratorIilEEPiiNSB_3SumENSB_8EqualityEiEE10hipError_tPvRmT2_T3_T4_T5_mT6_T7_P12ihipStream_tbENKUlT_T0_E_clISt17integral_constantIbLb1EESX_EEDaSS_ST_EUlSS_E_NS1_11comp_targetILNS1_3genE10ELNS1_11target_archE1201ELNS1_3gpuE5ELNS1_3repE0EEENS1_30default_config_static_selectorELNS0_4arch9wavefront6targetE1EEEvT1_,@function
_ZN7rocprim17ROCPRIM_400000_NS6detail17trampoline_kernelINS0_14default_configENS1_27scan_by_key_config_selectorIiiEEZZNS1_16scan_by_key_implILNS1_25lookback_scan_determinismE0ELb0ES3_PKiN6hipcub16HIPCUB_304000_NS21ConstantInputIteratorIilEEPiiNSB_3SumENSB_8EqualityEiEE10hipError_tPvRmT2_T3_T4_T5_mT6_T7_P12ihipStream_tbENKUlT_T0_E_clISt17integral_constantIbLb1EESX_EEDaSS_ST_EUlSS_E_NS1_11comp_targetILNS1_3genE10ELNS1_11target_archE1201ELNS1_3gpuE5ELNS1_3repE0EEENS1_30default_config_static_selectorELNS0_4arch9wavefront6targetE1EEEvT1_: ; @_ZN7rocprim17ROCPRIM_400000_NS6detail17trampoline_kernelINS0_14default_configENS1_27scan_by_key_config_selectorIiiEEZZNS1_16scan_by_key_implILNS1_25lookback_scan_determinismE0ELb0ES3_PKiN6hipcub16HIPCUB_304000_NS21ConstantInputIteratorIilEEPiiNSB_3SumENSB_8EqualityEiEE10hipError_tPvRmT2_T3_T4_T5_mT6_T7_P12ihipStream_tbENKUlT_T0_E_clISt17integral_constantIbLb1EESX_EEDaSS_ST_EUlSS_E_NS1_11comp_targetILNS1_3genE10ELNS1_11target_archE1201ELNS1_3gpuE5ELNS1_3repE0EEENS1_30default_config_static_selectorELNS0_4arch9wavefront6targetE1EEEvT1_
; %bb.0:
	.section	.rodata,"a",@progbits
	.p2align	6, 0x0
	.amdhsa_kernel _ZN7rocprim17ROCPRIM_400000_NS6detail17trampoline_kernelINS0_14default_configENS1_27scan_by_key_config_selectorIiiEEZZNS1_16scan_by_key_implILNS1_25lookback_scan_determinismE0ELb0ES3_PKiN6hipcub16HIPCUB_304000_NS21ConstantInputIteratorIilEEPiiNSB_3SumENSB_8EqualityEiEE10hipError_tPvRmT2_T3_T4_T5_mT6_T7_P12ihipStream_tbENKUlT_T0_E_clISt17integral_constantIbLb1EESX_EEDaSS_ST_EUlSS_E_NS1_11comp_targetILNS1_3genE10ELNS1_11target_archE1201ELNS1_3gpuE5ELNS1_3repE0EEENS1_30default_config_static_selectorELNS0_4arch9wavefront6targetE1EEEvT1_
		.amdhsa_group_segment_fixed_size 0
		.amdhsa_private_segment_fixed_size 0
		.amdhsa_kernarg_size 120
		.amdhsa_user_sgpr_count 2
		.amdhsa_user_sgpr_dispatch_ptr 0
		.amdhsa_user_sgpr_queue_ptr 0
		.amdhsa_user_sgpr_kernarg_segment_ptr 1
		.amdhsa_user_sgpr_dispatch_id 0
		.amdhsa_user_sgpr_kernarg_preload_length 0
		.amdhsa_user_sgpr_kernarg_preload_offset 0
		.amdhsa_user_sgpr_private_segment_size 0
		.amdhsa_uses_dynamic_stack 0
		.amdhsa_enable_private_segment 0
		.amdhsa_system_sgpr_workgroup_id_x 1
		.amdhsa_system_sgpr_workgroup_id_y 0
		.amdhsa_system_sgpr_workgroup_id_z 0
		.amdhsa_system_sgpr_workgroup_info 0
		.amdhsa_system_vgpr_workitem_id 0
		.amdhsa_next_free_vgpr 1
		.amdhsa_next_free_sgpr 0
		.amdhsa_accum_offset 4
		.amdhsa_reserve_vcc 0
		.amdhsa_float_round_mode_32 0
		.amdhsa_float_round_mode_16_64 0
		.amdhsa_float_denorm_mode_32 3
		.amdhsa_float_denorm_mode_16_64 3
		.amdhsa_dx10_clamp 1
		.amdhsa_ieee_mode 1
		.amdhsa_fp16_overflow 0
		.amdhsa_tg_split 0
		.amdhsa_exception_fp_ieee_invalid_op 0
		.amdhsa_exception_fp_denorm_src 0
		.amdhsa_exception_fp_ieee_div_zero 0
		.amdhsa_exception_fp_ieee_overflow 0
		.amdhsa_exception_fp_ieee_underflow 0
		.amdhsa_exception_fp_ieee_inexact 0
		.amdhsa_exception_int_div_zero 0
	.end_amdhsa_kernel
	.section	.text._ZN7rocprim17ROCPRIM_400000_NS6detail17trampoline_kernelINS0_14default_configENS1_27scan_by_key_config_selectorIiiEEZZNS1_16scan_by_key_implILNS1_25lookback_scan_determinismE0ELb0ES3_PKiN6hipcub16HIPCUB_304000_NS21ConstantInputIteratorIilEEPiiNSB_3SumENSB_8EqualityEiEE10hipError_tPvRmT2_T3_T4_T5_mT6_T7_P12ihipStream_tbENKUlT_T0_E_clISt17integral_constantIbLb1EESX_EEDaSS_ST_EUlSS_E_NS1_11comp_targetILNS1_3genE10ELNS1_11target_archE1201ELNS1_3gpuE5ELNS1_3repE0EEENS1_30default_config_static_selectorELNS0_4arch9wavefront6targetE1EEEvT1_,"axG",@progbits,_ZN7rocprim17ROCPRIM_400000_NS6detail17trampoline_kernelINS0_14default_configENS1_27scan_by_key_config_selectorIiiEEZZNS1_16scan_by_key_implILNS1_25lookback_scan_determinismE0ELb0ES3_PKiN6hipcub16HIPCUB_304000_NS21ConstantInputIteratorIilEEPiiNSB_3SumENSB_8EqualityEiEE10hipError_tPvRmT2_T3_T4_T5_mT6_T7_P12ihipStream_tbENKUlT_T0_E_clISt17integral_constantIbLb1EESX_EEDaSS_ST_EUlSS_E_NS1_11comp_targetILNS1_3genE10ELNS1_11target_archE1201ELNS1_3gpuE5ELNS1_3repE0EEENS1_30default_config_static_selectorELNS0_4arch9wavefront6targetE1EEEvT1_,comdat
.Lfunc_end22:
	.size	_ZN7rocprim17ROCPRIM_400000_NS6detail17trampoline_kernelINS0_14default_configENS1_27scan_by_key_config_selectorIiiEEZZNS1_16scan_by_key_implILNS1_25lookback_scan_determinismE0ELb0ES3_PKiN6hipcub16HIPCUB_304000_NS21ConstantInputIteratorIilEEPiiNSB_3SumENSB_8EqualityEiEE10hipError_tPvRmT2_T3_T4_T5_mT6_T7_P12ihipStream_tbENKUlT_T0_E_clISt17integral_constantIbLb1EESX_EEDaSS_ST_EUlSS_E_NS1_11comp_targetILNS1_3genE10ELNS1_11target_archE1201ELNS1_3gpuE5ELNS1_3repE0EEENS1_30default_config_static_selectorELNS0_4arch9wavefront6targetE1EEEvT1_, .Lfunc_end22-_ZN7rocprim17ROCPRIM_400000_NS6detail17trampoline_kernelINS0_14default_configENS1_27scan_by_key_config_selectorIiiEEZZNS1_16scan_by_key_implILNS1_25lookback_scan_determinismE0ELb0ES3_PKiN6hipcub16HIPCUB_304000_NS21ConstantInputIteratorIilEEPiiNSB_3SumENSB_8EqualityEiEE10hipError_tPvRmT2_T3_T4_T5_mT6_T7_P12ihipStream_tbENKUlT_T0_E_clISt17integral_constantIbLb1EESX_EEDaSS_ST_EUlSS_E_NS1_11comp_targetILNS1_3genE10ELNS1_11target_archE1201ELNS1_3gpuE5ELNS1_3repE0EEENS1_30default_config_static_selectorELNS0_4arch9wavefront6targetE1EEEvT1_
                                        ; -- End function
	.section	.AMDGPU.csdata,"",@progbits
; Kernel info:
; codeLenInByte = 0
; NumSgprs: 6
; NumVgprs: 0
; NumAgprs: 0
; TotalNumVgprs: 0
; ScratchSize: 0
; MemoryBound: 0
; FloatMode: 240
; IeeeMode: 1
; LDSByteSize: 0 bytes/workgroup (compile time only)
; SGPRBlocks: 0
; VGPRBlocks: 0
; NumSGPRsForWavesPerEU: 6
; NumVGPRsForWavesPerEU: 1
; AccumOffset: 4
; Occupancy: 8
; WaveLimiterHint : 0
; COMPUTE_PGM_RSRC2:SCRATCH_EN: 0
; COMPUTE_PGM_RSRC2:USER_SGPR: 2
; COMPUTE_PGM_RSRC2:TRAP_HANDLER: 0
; COMPUTE_PGM_RSRC2:TGID_X_EN: 1
; COMPUTE_PGM_RSRC2:TGID_Y_EN: 0
; COMPUTE_PGM_RSRC2:TGID_Z_EN: 0
; COMPUTE_PGM_RSRC2:TIDIG_COMP_CNT: 0
; COMPUTE_PGM_RSRC3_GFX90A:ACCUM_OFFSET: 0
; COMPUTE_PGM_RSRC3_GFX90A:TG_SPLIT: 0
	.section	.text._ZN7rocprim17ROCPRIM_400000_NS6detail17trampoline_kernelINS0_14default_configENS1_27scan_by_key_config_selectorIiiEEZZNS1_16scan_by_key_implILNS1_25lookback_scan_determinismE0ELb0ES3_PKiN6hipcub16HIPCUB_304000_NS21ConstantInputIteratorIilEEPiiNSB_3SumENSB_8EqualityEiEE10hipError_tPvRmT2_T3_T4_T5_mT6_T7_P12ihipStream_tbENKUlT_T0_E_clISt17integral_constantIbLb1EESX_EEDaSS_ST_EUlSS_E_NS1_11comp_targetILNS1_3genE5ELNS1_11target_archE942ELNS1_3gpuE9ELNS1_3repE0EEENS1_30default_config_static_selectorELNS0_4arch9wavefront6targetE1EEEvT1_,"axG",@progbits,_ZN7rocprim17ROCPRIM_400000_NS6detail17trampoline_kernelINS0_14default_configENS1_27scan_by_key_config_selectorIiiEEZZNS1_16scan_by_key_implILNS1_25lookback_scan_determinismE0ELb0ES3_PKiN6hipcub16HIPCUB_304000_NS21ConstantInputIteratorIilEEPiiNSB_3SumENSB_8EqualityEiEE10hipError_tPvRmT2_T3_T4_T5_mT6_T7_P12ihipStream_tbENKUlT_T0_E_clISt17integral_constantIbLb1EESX_EEDaSS_ST_EUlSS_E_NS1_11comp_targetILNS1_3genE5ELNS1_11target_archE942ELNS1_3gpuE9ELNS1_3repE0EEENS1_30default_config_static_selectorELNS0_4arch9wavefront6targetE1EEEvT1_,comdat
	.protected	_ZN7rocprim17ROCPRIM_400000_NS6detail17trampoline_kernelINS0_14default_configENS1_27scan_by_key_config_selectorIiiEEZZNS1_16scan_by_key_implILNS1_25lookback_scan_determinismE0ELb0ES3_PKiN6hipcub16HIPCUB_304000_NS21ConstantInputIteratorIilEEPiiNSB_3SumENSB_8EqualityEiEE10hipError_tPvRmT2_T3_T4_T5_mT6_T7_P12ihipStream_tbENKUlT_T0_E_clISt17integral_constantIbLb1EESX_EEDaSS_ST_EUlSS_E_NS1_11comp_targetILNS1_3genE5ELNS1_11target_archE942ELNS1_3gpuE9ELNS1_3repE0EEENS1_30default_config_static_selectorELNS0_4arch9wavefront6targetE1EEEvT1_ ; -- Begin function _ZN7rocprim17ROCPRIM_400000_NS6detail17trampoline_kernelINS0_14default_configENS1_27scan_by_key_config_selectorIiiEEZZNS1_16scan_by_key_implILNS1_25lookback_scan_determinismE0ELb0ES3_PKiN6hipcub16HIPCUB_304000_NS21ConstantInputIteratorIilEEPiiNSB_3SumENSB_8EqualityEiEE10hipError_tPvRmT2_T3_T4_T5_mT6_T7_P12ihipStream_tbENKUlT_T0_E_clISt17integral_constantIbLb1EESX_EEDaSS_ST_EUlSS_E_NS1_11comp_targetILNS1_3genE5ELNS1_11target_archE942ELNS1_3gpuE9ELNS1_3repE0EEENS1_30default_config_static_selectorELNS0_4arch9wavefront6targetE1EEEvT1_
	.globl	_ZN7rocprim17ROCPRIM_400000_NS6detail17trampoline_kernelINS0_14default_configENS1_27scan_by_key_config_selectorIiiEEZZNS1_16scan_by_key_implILNS1_25lookback_scan_determinismE0ELb0ES3_PKiN6hipcub16HIPCUB_304000_NS21ConstantInputIteratorIilEEPiiNSB_3SumENSB_8EqualityEiEE10hipError_tPvRmT2_T3_T4_T5_mT6_T7_P12ihipStream_tbENKUlT_T0_E_clISt17integral_constantIbLb1EESX_EEDaSS_ST_EUlSS_E_NS1_11comp_targetILNS1_3genE5ELNS1_11target_archE942ELNS1_3gpuE9ELNS1_3repE0EEENS1_30default_config_static_selectorELNS0_4arch9wavefront6targetE1EEEvT1_
	.p2align	8
	.type	_ZN7rocprim17ROCPRIM_400000_NS6detail17trampoline_kernelINS0_14default_configENS1_27scan_by_key_config_selectorIiiEEZZNS1_16scan_by_key_implILNS1_25lookback_scan_determinismE0ELb0ES3_PKiN6hipcub16HIPCUB_304000_NS21ConstantInputIteratorIilEEPiiNSB_3SumENSB_8EqualityEiEE10hipError_tPvRmT2_T3_T4_T5_mT6_T7_P12ihipStream_tbENKUlT_T0_E_clISt17integral_constantIbLb1EESX_EEDaSS_ST_EUlSS_E_NS1_11comp_targetILNS1_3genE5ELNS1_11target_archE942ELNS1_3gpuE9ELNS1_3repE0EEENS1_30default_config_static_selectorELNS0_4arch9wavefront6targetE1EEEvT1_,@function
_ZN7rocprim17ROCPRIM_400000_NS6detail17trampoline_kernelINS0_14default_configENS1_27scan_by_key_config_selectorIiiEEZZNS1_16scan_by_key_implILNS1_25lookback_scan_determinismE0ELb0ES3_PKiN6hipcub16HIPCUB_304000_NS21ConstantInputIteratorIilEEPiiNSB_3SumENSB_8EqualityEiEE10hipError_tPvRmT2_T3_T4_T5_mT6_T7_P12ihipStream_tbENKUlT_T0_E_clISt17integral_constantIbLb1EESX_EEDaSS_ST_EUlSS_E_NS1_11comp_targetILNS1_3genE5ELNS1_11target_archE942ELNS1_3gpuE9ELNS1_3repE0EEENS1_30default_config_static_selectorELNS0_4arch9wavefront6targetE1EEEvT1_: ; @_ZN7rocprim17ROCPRIM_400000_NS6detail17trampoline_kernelINS0_14default_configENS1_27scan_by_key_config_selectorIiiEEZZNS1_16scan_by_key_implILNS1_25lookback_scan_determinismE0ELb0ES3_PKiN6hipcub16HIPCUB_304000_NS21ConstantInputIteratorIilEEPiiNSB_3SumENSB_8EqualityEiEE10hipError_tPvRmT2_T3_T4_T5_mT6_T7_P12ihipStream_tbENKUlT_T0_E_clISt17integral_constantIbLb1EESX_EEDaSS_ST_EUlSS_E_NS1_11comp_targetILNS1_3genE5ELNS1_11target_archE942ELNS1_3gpuE9ELNS1_3repE0EEENS1_30default_config_static_selectorELNS0_4arch9wavefront6targetE1EEEvT1_
; %bb.0:
	s_load_dword s82, s[0:1], 0x10
	s_load_dwordx2 s[68:69], s[0:1], 0x20
	s_load_dwordx4 s[64:67], s[0:1], 0x30
	s_load_dwordx2 s[72:73], s[0:1], 0x40
	v_cmp_ne_u32_e64 s[4:5], 0, v0
	v_cmp_eq_u32_e64 s[54:55], 0, v0
	s_and_saveexec_b64 s[2:3], s[54:55]
	s_cbranch_execz .LBB23_4
; %bb.1:
	s_mov_b64 s[8:9], exec
	v_mbcnt_lo_u32_b32 v1, s8, 0
	v_mbcnt_hi_u32_b32 v1, s9, v1
	v_cmp_eq_u32_e32 vcc, 0, v1
                                        ; implicit-def: $vgpr2
	s_and_saveexec_b64 s[6:7], vcc
	s_cbranch_execz .LBB23_3
; %bb.2:
	s_load_dwordx2 s[10:11], s[0:1], 0x70
	s_bcnt1_i32_b64 s8, s[8:9]
	v_mov_b32_e32 v2, 0
	v_mov_b32_e32 v3, s8
	s_waitcnt lgkmcnt(0)
	global_atomic_add v2, v2, v3, s[10:11] sc0
.LBB23_3:
	s_or_b64 exec, exec, s[6:7]
	s_waitcnt vmcnt(0)
	v_readfirstlane_b32 s6, v2
	v_mov_b32_e32 v2, 0
	s_nop 0
	v_add_u32_e32 v1, s6, v1
	ds_write_b32 v2, v1
.LBB23_4:
	s_or_b64 exec, exec, s[2:3]
	s_load_dwordx4 s[8:11], s[0:1], 0x0
	s_load_dword s2, s[0:1], 0x48
	s_load_dwordx8 s[56:63], s[0:1], 0x50
	v_mov_b32_e32 v1, 0
	s_waitcnt lgkmcnt(0)
	s_barrier
	ds_read_b32 v2, v1
	s_mul_i32 s0, s73, s2
	s_mul_hi_u32 s1, s72, s2
	s_add_i32 s3, s1, s0
	s_lshl_b64 s[70:71], s[10:11], 2
	s_add_u32 s6, s8, s70
	s_addc_u32 s7, s9, s71
	s_waitcnt lgkmcnt(0)
	v_readfirstlane_b32 s67, v2
	s_cmp_lg_u64 s[60:61], 0
	s_mov_b32 s1, 0
	s_mul_i32 s0, s67, 0x1700
	s_cselect_b64 s[8:9], -1, 0
	s_lshl_b64 s[60:61], s[0:1], 2
	s_add_u32 s6, s6, s60
	s_mul_i32 s2, s72, s2
	s_addc_u32 s7, s7, s61
	s_add_u32 s10, s2, s67
	s_addc_u32 s11, s3, 0
	s_add_u32 s0, s56, -1
	s_addc_u32 s1, s57, -1
	v_mov_b64_e32 v[2:3], s[0:1]
	v_cmp_ge_u64_e64 s[2:3], s[10:11], v[2:3]
	s_mov_b64 s[16:17], 0
	s_mov_b64 s[12:13], -1
	s_and_b64 vcc, exec, s[2:3]
	s_mul_i32 s33, s0, 0xffffe900
	s_barrier
	s_barrier
	s_cbranch_vccz .LBB23_102
; %bb.5:
	global_load_dword v1, v1, s[6:7]
	s_add_i32 s83, s33, s66
	v_cmp_gt_u32_e32 vcc, s83, v0
	s_waitcnt vmcnt(0)
	v_mov_b32_e32 v2, v1
	s_and_saveexec_b64 s[0:1], vcc
	s_cbranch_execz .LBB23_7
; %bb.6:
	v_lshlrev_b32_e32 v2, 2, v0
	global_load_dword v2, v2, s[6:7]
.LBB23_7:
	s_or_b64 exec, exec, s[0:1]
	v_or_b32_e32 v3, 0x100, v0
	v_cmp_gt_u32_e32 vcc, s83, v3
	v_mov_b32_e32 v3, v1
	s_and_saveexec_b64 s[0:1], vcc
	s_cbranch_execz .LBB23_9
; %bb.8:
	v_lshlrev_b32_e32 v3, 2, v0
	global_load_dword v3, v3, s[6:7] offset:1024
.LBB23_9:
	s_or_b64 exec, exec, s[0:1]
	v_or_b32_e32 v4, 0x200, v0
	v_cmp_gt_u32_e32 vcc, s83, v4
	v_mov_b32_e32 v4, v1
	s_and_saveexec_b64 s[0:1], vcc
	s_cbranch_execz .LBB23_11
; %bb.10:
	v_lshlrev_b32_e32 v4, 2, v0
	global_load_dword v4, v4, s[6:7] offset:2048
.LBB23_11:
	;; [unrolled: 10-line block ×3, first 2 shown]
	s_or_b64 exec, exec, s[0:1]
	v_or_b32_e32 v7, 0x400, v0
	v_cmp_gt_u32_e32 vcc, s83, v7
	v_mov_b32_e32 v6, v1
	s_and_saveexec_b64 s[0:1], vcc
	s_cbranch_execz .LBB23_15
; %bb.14:
	v_lshlrev_b32_e32 v6, 2, v7
	global_load_dword v6, v6, s[6:7]
.LBB23_15:
	s_or_b64 exec, exec, s[0:1]
	v_or_b32_e32 v8, 0x500, v0
	v_cmp_gt_u32_e32 vcc, s83, v8
	v_mov_b32_e32 v7, v1
	s_and_saveexec_b64 s[0:1], vcc
	s_cbranch_execz .LBB23_17
; %bb.16:
	v_lshlrev_b32_e32 v7, 2, v8
	global_load_dword v7, v7, s[6:7]
.LBB23_17:
	;; [unrolled: 10-line block ×18, first 2 shown]
	s_or_b64 exec, exec, s[0:1]
	v_or_b32_e32 v18, 0x1600, v0
	v_cmp_gt_u32_e32 vcc, s83, v18
	s_and_saveexec_b64 s[0:1], vcc
	s_cbranch_execz .LBB23_51
; %bb.50:
	v_lshlrev_b32_e32 v1, 2, v18
	global_load_dword v1, v1, s[6:7]
.LBB23_51:
	s_or_b64 exec, exec, s[0:1]
	v_lshlrev_b32_e32 v18, 2, v0
	s_movk_i32 s0, 0x58
	s_waitcnt vmcnt(0)
	ds_write2st64_b32 v18, v2, v3 offset1:4
	ds_write2st64_b32 v18, v4, v5 offset0:8 offset1:12
	ds_write2st64_b32 v18, v6, v7 offset0:16 offset1:20
	;; [unrolled: 1-line block ×10, first 2 shown]
	ds_write_b32 v18, v1 offset:22528
	v_mad_u32_u24 v1, v0, s0, v18
	s_waitcnt lgkmcnt(0)
	s_barrier
	ds_read2_b32 v[68:69], v1 offset1:1
	ds_read2_b32 v[66:67], v1 offset0:2 offset1:3
	ds_read2_b32 v[64:65], v1 offset0:4 offset1:5
	;; [unrolled: 1-line block ×10, first 2 shown]
	ds_read_b32 v72, v1 offset:88
	s_cmp_eq_u64 s[10:11], 0
	s_mov_b64 s[0:1], s[6:7]
	s_cbranch_scc1 .LBB23_55
; %bb.52:
	s_andn2_b64 vcc, exec, s[8:9]
	s_cbranch_vccnz .LBB23_225
; %bb.53:
	s_lshl_b64 s[0:1], s[10:11], 2
	s_add_u32 s0, s62, s0
	s_addc_u32 s1, s63, s1
	s_add_u32 s0, s0, -4
	s_addc_u32 s1, s1, -1
	s_cbranch_execnz .LBB23_55
.LBB23_54:
	s_add_u32 s0, s6, -4
	s_addc_u32 s1, s7, -1
.LBB23_55:
	v_mov_b32_e32 v2, 0
	global_load_dword v2, v2, s[0:1]
	s_movk_i32 s0, 0xffa8
	v_mad_i32_i24 v3, v0, s0, v1
	s_waitcnt lgkmcnt(0)
	ds_write_b32 v3, v72 offset:23552
	s_waitcnt lgkmcnt(0)
	s_barrier
	s_and_saveexec_b64 s[0:1], s[4:5]
	s_cbranch_execz .LBB23_57
; %bb.56:
	s_waitcnt vmcnt(0)
	v_mul_i32_i24_e32 v2, 0xffffffa8, v0
	v_add_u32_e32 v2, v1, v2
	ds_read_b32 v2, v2 offset:23548
.LBB23_57:
	s_or_b64 exec, exec, s[0:1]
	v_mul_u32_u24_e32 v73, 23, v0
	v_mov_b32_e32 v3, s82
	v_mov_b64_e32 v[10:11], 0
	s_waitcnt lgkmcnt(0)
	s_barrier
	ds_write2st64_b32 v18, v3, v3 offset1:4
	ds_write2st64_b32 v18, v3, v3 offset0:8 offset1:12
	ds_write2st64_b32 v18, v3, v3 offset0:16 offset1:20
	;; [unrolled: 1-line block ×10, first 2 shown]
	ds_write_b32 v18, v3 offset:22528
	v_cmp_gt_u32_e32 vcc, s83, v73
	s_mov_b64 s[12:13], 0
	v_mov_b64_e32 v[12:13], v[10:11]
	v_mov_b64_e32 v[14:15], v[10:11]
	;; [unrolled: 1-line block ×21, first 2 shown]
	s_waitcnt lgkmcnt(0)
	s_barrier
	s_waitcnt lgkmcnt(0)
                                        ; implicit-def: $sgpr0_sgpr1
                                        ; implicit-def: $vgpr3
	s_and_saveexec_b64 s[14:15], vcc
	s_cbranch_execz .LBB23_101
; %bb.58:
	ds_read_b32 v10, v1
	v_add_u32_e32 v3, 1, v73
	s_waitcnt vmcnt(0)
	v_cmp_ne_u32_e32 vcc, v2, v68
	v_mov_b64_e32 v[12:13], 0
	s_mov_b64 s[18:19], 0
	v_cndmask_b32_e64 v11, 0, 1, vcc
	v_cmp_gt_u32_e32 vcc, s83, v3
	s_mov_b64 s[0:1], 0
	v_mov_b64_e32 v[14:15], v[12:13]
	v_mov_b64_e32 v[16:17], v[12:13]
	;; [unrolled: 1-line block ×20, first 2 shown]
                                        ; implicit-def: $sgpr20_sgpr21
                                        ; implicit-def: $vgpr3
	s_and_saveexec_b64 s[16:17], vcc
	s_cbranch_execz .LBB23_100
; %bb.59:
	ds_read2_b32 v[70:71], v1 offset0:1 offset1:2
	v_add_u32_e32 v2, 2, v73
	v_cmp_ne_u32_e32 vcc, v68, v69
	v_mov_b64_e32 v[14:15], 0
	s_mov_b64 s[22:23], 0
	v_cndmask_b32_e64 v13, 0, 1, vcc
	v_cmp_gt_u32_e32 vcc, s83, v2
	s_waitcnt lgkmcnt(0)
	v_mov_b32_e32 v12, v70
	v_mov_b64_e32 v[16:17], v[14:15]
	v_mov_b64_e32 v[18:19], v[14:15]
	;; [unrolled: 1-line block ×19, first 2 shown]
                                        ; implicit-def: $sgpr20_sgpr21
                                        ; implicit-def: $vgpr3
	s_and_saveexec_b64 s[18:19], vcc
	s_cbranch_execz .LBB23_99
; %bb.60:
	v_add_u32_e32 v2, 3, v73
	v_cmp_ne_u32_e32 vcc, v69, v66
	v_mov_b64_e32 v[16:17], 0
	v_mov_b32_e32 v14, v71
	v_cndmask_b32_e64 v15, 0, 1, vcc
	v_cmp_gt_u32_e32 vcc, s83, v2
	v_mov_b64_e32 v[18:19], v[16:17]
	v_mov_b64_e32 v[20:21], v[16:17]
	;; [unrolled: 1-line block ×18, first 2 shown]
                                        ; implicit-def: $sgpr24_sgpr25
                                        ; implicit-def: $vgpr3
	s_and_saveexec_b64 s[20:21], vcc
	s_cbranch_execz .LBB23_98
; %bb.61:
	ds_read2_b32 v[68:69], v1 offset0:3 offset1:4
	v_add_u32_e32 v2, 4, v73
	v_cmp_ne_u32_e32 vcc, v66, v67
	v_mov_b64_e32 v[18:19], 0
	s_mov_b64 s[26:27], 0
	v_cndmask_b32_e64 v17, 0, 1, vcc
	v_cmp_gt_u32_e32 vcc, s83, v2
	s_waitcnt lgkmcnt(0)
	v_mov_b32_e32 v16, v68
	v_mov_b64_e32 v[20:21], v[18:19]
	v_mov_b64_e32 v[22:23], v[18:19]
	;; [unrolled: 1-line block ×17, first 2 shown]
                                        ; implicit-def: $sgpr24_sgpr25
                                        ; implicit-def: $vgpr3
	s_and_saveexec_b64 s[22:23], vcc
	s_cbranch_execz .LBB23_97
; %bb.62:
	v_add_u32_e32 v2, 5, v73
	v_cmp_ne_u32_e32 vcc, v67, v64
	v_mov_b64_e32 v[20:21], 0
	v_mov_b32_e32 v18, v69
	v_cndmask_b32_e64 v19, 0, 1, vcc
	v_cmp_gt_u32_e32 vcc, s83, v2
	v_mov_b64_e32 v[22:23], v[20:21]
	v_mov_b64_e32 v[24:25], v[20:21]
	;; [unrolled: 1-line block ×16, first 2 shown]
                                        ; implicit-def: $sgpr28_sgpr29
                                        ; implicit-def: $vgpr3
	s_and_saveexec_b64 s[24:25], vcc
	s_cbranch_execz .LBB23_96
; %bb.63:
	ds_read2_b32 v[66:67], v1 offset0:5 offset1:6
	v_add_u32_e32 v2, 6, v73
	v_cmp_ne_u32_e32 vcc, v64, v65
	v_mov_b64_e32 v[22:23], 0
	s_mov_b64 s[30:31], 0
	v_cndmask_b32_e64 v21, 0, 1, vcc
	v_cmp_gt_u32_e32 vcc, s83, v2
	s_waitcnt lgkmcnt(0)
	v_mov_b32_e32 v20, v66
	v_mov_b64_e32 v[24:25], v[22:23]
	v_mov_b64_e32 v[26:27], v[22:23]
	;; [unrolled: 1-line block ×15, first 2 shown]
                                        ; implicit-def: $sgpr28_sgpr29
                                        ; implicit-def: $vgpr3
	s_and_saveexec_b64 s[26:27], vcc
	s_cbranch_execz .LBB23_95
; %bb.64:
	v_add_u32_e32 v2, 7, v73
	v_cmp_ne_u32_e32 vcc, v65, v62
	v_mov_b64_e32 v[24:25], 0
	v_mov_b32_e32 v22, v67
	v_cndmask_b32_e64 v23, 0, 1, vcc
	v_cmp_gt_u32_e32 vcc, s83, v2
	v_mov_b64_e32 v[26:27], v[24:25]
	v_mov_b64_e32 v[28:29], v[24:25]
	;; [unrolled: 1-line block ×14, first 2 shown]
                                        ; implicit-def: $sgpr34_sgpr35
                                        ; implicit-def: $vgpr3
	s_and_saveexec_b64 s[28:29], vcc
	s_cbranch_execz .LBB23_94
; %bb.65:
	ds_read2_b32 v[64:65], v1 offset0:7 offset1:8
	v_add_u32_e32 v2, 8, v73
	v_cmp_ne_u32_e32 vcc, v62, v63
	v_mov_b64_e32 v[26:27], 0
	s_mov_b64 s[36:37], 0
	v_cndmask_b32_e64 v25, 0, 1, vcc
	v_cmp_gt_u32_e32 vcc, s83, v2
	s_waitcnt lgkmcnt(0)
	v_mov_b32_e32 v24, v64
	v_mov_b64_e32 v[28:29], v[26:27]
	v_mov_b64_e32 v[30:31], v[26:27]
	;; [unrolled: 1-line block ×13, first 2 shown]
                                        ; implicit-def: $sgpr34_sgpr35
                                        ; implicit-def: $vgpr3
	s_and_saveexec_b64 s[30:31], vcc
	s_cbranch_execz .LBB23_93
; %bb.66:
	v_add_u32_e32 v2, 9, v73
	v_cmp_ne_u32_e32 vcc, v63, v60
	v_mov_b64_e32 v[28:29], 0
	v_mov_b32_e32 v26, v65
	v_cndmask_b32_e64 v27, 0, 1, vcc
	v_cmp_gt_u32_e32 vcc, s83, v2
	v_mov_b64_e32 v[30:31], v[28:29]
	v_mov_b64_e32 v[32:33], v[28:29]
	;; [unrolled: 1-line block ×12, first 2 shown]
                                        ; implicit-def: $sgpr38_sgpr39
                                        ; implicit-def: $vgpr3
	s_and_saveexec_b64 s[34:35], vcc
	s_cbranch_execz .LBB23_92
; %bb.67:
	ds_read2_b32 v[62:63], v1 offset0:9 offset1:10
	v_add_u32_e32 v2, 10, v73
	v_cmp_ne_u32_e32 vcc, v60, v61
	v_mov_b64_e32 v[30:31], 0
	s_mov_b64 s[40:41], 0
	v_cndmask_b32_e64 v29, 0, 1, vcc
	v_cmp_gt_u32_e32 vcc, s83, v2
	s_waitcnt lgkmcnt(0)
	v_mov_b32_e32 v28, v62
	v_mov_b64_e32 v[32:33], v[30:31]
	v_mov_b64_e32 v[34:35], v[30:31]
	;; [unrolled: 1-line block ×11, first 2 shown]
                                        ; implicit-def: $sgpr38_sgpr39
                                        ; implicit-def: $vgpr3
	s_and_saveexec_b64 s[36:37], vcc
	s_cbranch_execz .LBB23_91
; %bb.68:
	v_add_u32_e32 v2, 11, v73
	v_cmp_ne_u32_e32 vcc, v61, v58
	v_mov_b64_e32 v[32:33], 0
	v_mov_b32_e32 v30, v63
	v_cndmask_b32_e64 v31, 0, 1, vcc
	v_cmp_gt_u32_e32 vcc, s83, v2
	v_mov_b64_e32 v[34:35], v[32:33]
	v_mov_b64_e32 v[36:37], v[32:33]
	v_mov_b64_e32 v[38:39], v[32:33]
	v_mov_b64_e32 v[40:41], v[32:33]
	v_mov_b64_e32 v[42:43], v[32:33]
	v_mov_b64_e32 v[44:45], v[32:33]
	v_mov_b64_e32 v[46:47], v[32:33]
	v_mov_b64_e32 v[48:49], v[32:33]
	v_mov_b64_e32 v[50:51], v[32:33]
	v_mov_b64_e32 v[52:53], v[32:33]
                                        ; implicit-def: $sgpr42_sgpr43
                                        ; implicit-def: $vgpr3
	s_and_saveexec_b64 s[38:39], vcc
	s_cbranch_execz .LBB23_90
; %bb.69:
	ds_read2_b32 v[60:61], v1 offset0:11 offset1:12
	v_add_u32_e32 v2, 12, v73
	v_cmp_ne_u32_e32 vcc, v58, v59
	v_mov_b64_e32 v[34:35], 0
	s_mov_b64 s[44:45], 0
	v_cndmask_b32_e64 v33, 0, 1, vcc
	v_cmp_gt_u32_e32 vcc, s83, v2
	s_waitcnt lgkmcnt(0)
	v_mov_b32_e32 v32, v60
	v_mov_b64_e32 v[36:37], v[34:35]
	v_mov_b64_e32 v[38:39], v[34:35]
	v_mov_b64_e32 v[40:41], v[34:35]
	v_mov_b64_e32 v[42:43], v[34:35]
	v_mov_b64_e32 v[44:45], v[34:35]
	v_mov_b64_e32 v[46:47], v[34:35]
	v_mov_b64_e32 v[48:49], v[34:35]
	v_mov_b64_e32 v[50:51], v[34:35]
	v_mov_b64_e32 v[52:53], v[34:35]
                                        ; implicit-def: $sgpr42_sgpr43
                                        ; implicit-def: $vgpr3
	s_and_saveexec_b64 s[40:41], vcc
	s_cbranch_execz .LBB23_89
; %bb.70:
	v_add_u32_e32 v2, 13, v73
	v_cmp_ne_u32_e32 vcc, v59, v56
	v_mov_b64_e32 v[36:37], 0
	v_mov_b32_e32 v34, v61
	v_cndmask_b32_e64 v35, 0, 1, vcc
	v_cmp_gt_u32_e32 vcc, s83, v2
	v_mov_b64_e32 v[38:39], v[36:37]
	v_mov_b64_e32 v[40:41], v[36:37]
	;; [unrolled: 1-line block ×8, first 2 shown]
                                        ; implicit-def: $sgpr46_sgpr47
                                        ; implicit-def: $vgpr3
	s_and_saveexec_b64 s[42:43], vcc
	s_cbranch_execz .LBB23_88
; %bb.71:
	ds_read2_b32 v[58:59], v1 offset0:13 offset1:14
	v_add_u32_e32 v2, 14, v73
	v_cmp_ne_u32_e32 vcc, v56, v57
	v_mov_b64_e32 v[38:39], 0
	s_mov_b64 s[48:49], 0
	v_cndmask_b32_e64 v37, 0, 1, vcc
	v_cmp_gt_u32_e32 vcc, s83, v2
	s_waitcnt lgkmcnt(0)
	v_mov_b32_e32 v36, v58
	v_mov_b64_e32 v[40:41], v[38:39]
	v_mov_b64_e32 v[42:43], v[38:39]
	v_mov_b64_e32 v[44:45], v[38:39]
	v_mov_b64_e32 v[46:47], v[38:39]
	v_mov_b64_e32 v[48:49], v[38:39]
	v_mov_b64_e32 v[50:51], v[38:39]
	v_mov_b64_e32 v[52:53], v[38:39]
                                        ; implicit-def: $sgpr46_sgpr47
                                        ; implicit-def: $vgpr3
	s_and_saveexec_b64 s[44:45], vcc
	s_cbranch_execz .LBB23_87
; %bb.72:
	v_add_u32_e32 v2, 15, v73
	v_cmp_ne_u32_e32 vcc, v57, v54
	v_mov_b64_e32 v[40:41], 0
	v_mov_b32_e32 v38, v59
	v_cndmask_b32_e64 v39, 0, 1, vcc
	v_cmp_gt_u32_e32 vcc, s83, v2
	v_mov_b64_e32 v[42:43], v[40:41]
	v_mov_b64_e32 v[44:45], v[40:41]
	;; [unrolled: 1-line block ×6, first 2 shown]
                                        ; implicit-def: $sgpr50_sgpr51
                                        ; implicit-def: $vgpr3
	s_and_saveexec_b64 s[46:47], vcc
	s_cbranch_execz .LBB23_86
; %bb.73:
	ds_read2_b32 v[56:57], v1 offset0:15 offset1:16
	v_add_u32_e32 v2, 16, v73
	v_cmp_ne_u32_e32 vcc, v54, v55
	v_mov_b64_e32 v[42:43], 0
	s_mov_b64 s[52:53], 0
	v_cndmask_b32_e64 v41, 0, 1, vcc
	v_cmp_gt_u32_e32 vcc, s83, v2
	s_waitcnt lgkmcnt(0)
	v_mov_b32_e32 v40, v56
	v_mov_b64_e32 v[44:45], v[42:43]
	v_mov_b64_e32 v[46:47], v[42:43]
	;; [unrolled: 1-line block ×5, first 2 shown]
                                        ; implicit-def: $sgpr50_sgpr51
                                        ; implicit-def: $vgpr3
	s_and_saveexec_b64 s[48:49], vcc
	s_cbranch_execz .LBB23_85
; %bb.74:
	v_add_u32_e32 v2, 17, v73
	v_cmp_ne_u32_e32 vcc, v55, v8
	v_mov_b64_e32 v[44:45], 0
	v_mov_b32_e32 v42, v57
	v_cndmask_b32_e64 v43, 0, 1, vcc
	v_cmp_gt_u32_e32 vcc, s83, v2
	v_mov_b64_e32 v[46:47], v[44:45]
	v_mov_b64_e32 v[48:49], v[44:45]
	;; [unrolled: 1-line block ×4, first 2 shown]
                                        ; implicit-def: $sgpr56_sgpr57
                                        ; implicit-def: $vgpr3
	s_and_saveexec_b64 s[50:51], vcc
	s_cbranch_execz .LBB23_84
; %bb.75:
	ds_read2_b32 v[54:55], v1 offset0:17 offset1:18
	v_add_u32_e32 v2, 18, v73
	v_cmp_ne_u32_e32 vcc, v8, v9
	v_mov_b64_e32 v[46:47], 0
	s_mov_b64 s[74:75], 0
	v_cndmask_b32_e64 v45, 0, 1, vcc
	v_cmp_gt_u32_e32 vcc, s83, v2
	s_waitcnt lgkmcnt(0)
	v_mov_b32_e32 v44, v54
	v_mov_b64_e32 v[48:49], v[46:47]
	v_mov_b64_e32 v[50:51], v[46:47]
	v_mov_b64_e32 v[52:53], v[46:47]
                                        ; implicit-def: $sgpr56_sgpr57
                                        ; implicit-def: $vgpr3
	s_and_saveexec_b64 s[52:53], vcc
	s_cbranch_execz .LBB23_83
; %bb.76:
	v_add_u32_e32 v2, 19, v73
	v_cmp_ne_u32_e32 vcc, v9, v6
	v_mov_b64_e32 v[48:49], 0
	v_mov_b32_e32 v46, v55
	v_cndmask_b32_e64 v47, 0, 1, vcc
	v_cmp_gt_u32_e32 vcc, s83, v2
	v_mov_b64_e32 v[50:51], v[48:49]
	v_mov_b64_e32 v[52:53], v[48:49]
                                        ; implicit-def: $sgpr76_sgpr77
                                        ; implicit-def: $vgpr3
	s_and_saveexec_b64 s[56:57], vcc
	s_cbranch_execz .LBB23_82
; %bb.77:
	ds_read2_b32 v[8:9], v1 offset0:19 offset1:20
	v_add_u32_e32 v2, 20, v73
	v_cmp_ne_u32_e32 vcc, v6, v7
	v_mov_b64_e32 v[50:51], 0
	s_mov_b64 s[76:77], 0
	v_cndmask_b32_e64 v49, 0, 1, vcc
	v_cmp_gt_u32_e32 vcc, s83, v2
	s_waitcnt lgkmcnt(0)
	v_mov_b32_e32 v48, v8
	v_mov_b64_e32 v[52:53], v[50:51]
                                        ; implicit-def: $sgpr78_sgpr79
                                        ; implicit-def: $vgpr3
	s_and_saveexec_b64 s[74:75], vcc
	s_cbranch_execz .LBB23_81
; %bb.78:
	v_add_u32_e32 v2, 21, v73
	v_cmp_ne_u32_e32 vcc, v7, v4
	v_mov_b32_e32 v50, v9
	v_mov_b64_e32 v[52:53], 0
	v_cndmask_b32_e64 v51, 0, 1, vcc
	v_cmp_gt_u32_e32 vcc, s83, v2
                                        ; implicit-def: $sgpr78_sgpr79
                                        ; implicit-def: $vgpr3
	s_and_saveexec_b64 s[0:1], vcc
	s_xor_b64 s[80:81], exec, s[0:1]
	s_cbranch_execz .LBB23_80
; %bb.79:
	ds_read2_b32 v[2:3], v1 offset0:21 offset1:22
	v_add_u32_e32 v1, 22, v73
	v_cmp_ne_u32_e64 s[0:1], v4, v5
	v_cmp_ne_u32_e32 vcc, v5, v72
	s_and_b64 s[78:79], vcc, exec
	v_cndmask_b32_e64 v53, 0, 1, s[0:1]
	v_cmp_gt_u32_e64 s[0:1], s83, v1
	s_waitcnt lgkmcnt(0)
	v_mov_b32_e32 v52, v2
	s_and_b64 s[76:77], s[0:1], exec
.LBB23_80:
	s_or_b64 exec, exec, s[80:81]
	s_and_b64 s[78:79], s[78:79], exec
	s_and_b64 s[0:1], s[76:77], exec
.LBB23_81:
	s_or_b64 exec, exec, s[74:75]
	s_and_b64 s[76:77], s[78:79], exec
	s_and_b64 s[74:75], s[0:1], exec
.LBB23_82:
	s_or_b64 exec, exec, s[56:57]
	s_and_b64 s[56:57], s[76:77], exec
	s_and_b64 s[0:1], s[74:75], exec
.LBB23_83:
	s_or_b64 exec, exec, s[52:53]
	s_and_b64 s[56:57], s[56:57], exec
	s_and_b64 s[52:53], s[0:1], exec
.LBB23_84:
	s_or_b64 exec, exec, s[50:51]
	s_and_b64 s[50:51], s[56:57], exec
	s_and_b64 s[0:1], s[52:53], exec
.LBB23_85:
	s_or_b64 exec, exec, s[48:49]
	s_and_b64 s[50:51], s[50:51], exec
	s_and_b64 s[48:49], s[0:1], exec
.LBB23_86:
	s_or_b64 exec, exec, s[46:47]
	s_and_b64 s[46:47], s[50:51], exec
	s_and_b64 s[0:1], s[48:49], exec
.LBB23_87:
	s_or_b64 exec, exec, s[44:45]
	s_and_b64 s[46:47], s[46:47], exec
	s_and_b64 s[44:45], s[0:1], exec
.LBB23_88:
	s_or_b64 exec, exec, s[42:43]
	s_and_b64 s[42:43], s[46:47], exec
	s_and_b64 s[0:1], s[44:45], exec
.LBB23_89:
	s_or_b64 exec, exec, s[40:41]
	s_and_b64 s[42:43], s[42:43], exec
	s_and_b64 s[40:41], s[0:1], exec
.LBB23_90:
	s_or_b64 exec, exec, s[38:39]
	s_and_b64 s[38:39], s[42:43], exec
	s_and_b64 s[0:1], s[40:41], exec
.LBB23_91:
	s_or_b64 exec, exec, s[36:37]
	s_and_b64 s[38:39], s[38:39], exec
	s_and_b64 s[36:37], s[0:1], exec
.LBB23_92:
	s_or_b64 exec, exec, s[34:35]
	s_and_b64 s[34:35], s[38:39], exec
	s_and_b64 s[0:1], s[36:37], exec
.LBB23_93:
	s_or_b64 exec, exec, s[30:31]
	s_and_b64 s[34:35], s[34:35], exec
	s_and_b64 s[30:31], s[0:1], exec
.LBB23_94:
	s_or_b64 exec, exec, s[28:29]
	s_and_b64 s[28:29], s[34:35], exec
	s_and_b64 s[0:1], s[30:31], exec
.LBB23_95:
	s_or_b64 exec, exec, s[26:27]
	s_and_b64 s[28:29], s[28:29], exec
	s_and_b64 s[26:27], s[0:1], exec
.LBB23_96:
	s_or_b64 exec, exec, s[24:25]
	s_and_b64 s[24:25], s[28:29], exec
	s_and_b64 s[0:1], s[26:27], exec
.LBB23_97:
	s_or_b64 exec, exec, s[22:23]
	s_and_b64 s[24:25], s[24:25], exec
	s_and_b64 s[22:23], s[0:1], exec
.LBB23_98:
	s_or_b64 exec, exec, s[20:21]
	s_and_b64 s[20:21], s[24:25], exec
	s_and_b64 s[0:1], s[22:23], exec
.LBB23_99:
	s_or_b64 exec, exec, s[18:19]
	s_and_b64 s[20:21], s[20:21], exec
	s_and_b64 s[18:19], s[0:1], exec
.LBB23_100:
	s_or_b64 exec, exec, s[16:17]
	s_and_b64 s[0:1], s[20:21], exec
	s_and_b64 s[16:17], s[18:19], exec
.LBB23_101:
	s_or_b64 exec, exec, s[14:15]
	s_mov_b64 s[14:15], 0
	s_and_b64 vcc, exec, s[12:13]
	v_lshlrev_b32_e32 v54, 2, v0
	s_cbranch_vccnz .LBB23_103
	s_branch .LBB23_111
.LBB23_102:
                                        ; implicit-def: $sgpr0_sgpr1
                                        ; implicit-def: $vgpr3
                                        ; implicit-def: $vgpr10_vgpr11
                                        ; implicit-def: $vgpr12_vgpr13
                                        ; implicit-def: $vgpr14_vgpr15
                                        ; implicit-def: $vgpr16_vgpr17
                                        ; implicit-def: $vgpr18_vgpr19
                                        ; implicit-def: $vgpr20_vgpr21
                                        ; implicit-def: $vgpr22_vgpr23
                                        ; implicit-def: $vgpr24_vgpr25
                                        ; implicit-def: $vgpr26_vgpr27
                                        ; implicit-def: $vgpr28_vgpr29
                                        ; implicit-def: $vgpr30_vgpr31
                                        ; implicit-def: $vgpr32_vgpr33
                                        ; implicit-def: $vgpr34_vgpr35
                                        ; implicit-def: $vgpr36_vgpr37
                                        ; implicit-def: $vgpr38_vgpr39
                                        ; implicit-def: $vgpr40_vgpr41
                                        ; implicit-def: $vgpr42_vgpr43
                                        ; implicit-def: $vgpr44_vgpr45
                                        ; implicit-def: $vgpr46_vgpr47
                                        ; implicit-def: $vgpr48_vgpr49
                                        ; implicit-def: $vgpr50_vgpr51
                                        ; implicit-def: $vgpr52_vgpr53
                                        ; implicit-def: $sgpr14_sgpr15
	s_and_b64 vcc, exec, s[12:13]
	v_lshlrev_b32_e32 v54, 2, v0
	s_cbranch_vccz .LBB23_111
.LBB23_103:
	v_mov_b32_e32 v55, 0
	s_waitcnt vmcnt(0)
	v_lshl_add_u64 v[2:3], s[6:7], 0, v[54:55]
	v_add_co_u32_e32 v4, vcc, 0x1000, v2
	global_load_dword v8, v54, s[6:7]
	global_load_dword v9, v54, s[6:7] offset:1024
	s_waitcnt lgkmcnt(0)
	global_load_dword v10, v54, s[6:7] offset:2048
	global_load_dword v11, v54, s[6:7] offset:3072
	v_addc_co_u32_e32 v5, vcc, 0, v3, vcc
	v_add_co_u32_e32 v6, vcc, 0x2000, v2
	s_movk_i32 s0, 0x58
	s_nop 0
	v_addc_co_u32_e32 v7, vcc, 0, v3, vcc
	global_load_dword v12, v[4:5], off
	global_load_dword v13, v[4:5], off offset:1024
	global_load_dword v14, v[4:5], off offset:2048
	;; [unrolled: 1-line block ×3, first 2 shown]
	global_load_dword v16, v[6:7], off
	global_load_dword v17, v[6:7], off offset:1024
	global_load_dword v18, v[6:7], off offset:2048
	;; [unrolled: 1-line block ×3, first 2 shown]
	v_add_co_u32_e32 v4, vcc, 0x3000, v2
	v_mad_u32_u24 v1, v0, s0, v54
	s_nop 0
	v_addc_co_u32_e32 v5, vcc, 0, v3, vcc
	v_add_co_u32_e32 v6, vcc, 0x4000, v2
	s_cmp_eq_u64 s[10:11], 0
	s_nop 0
	v_addc_co_u32_e32 v7, vcc, 0, v3, vcc
	v_add_co_u32_e32 v2, vcc, 0x5000, v2
	global_load_dword v20, v[4:5], off
	global_load_dword v21, v[4:5], off offset:1024
	global_load_dword v22, v[4:5], off offset:2048
	;; [unrolled: 1-line block ×3, first 2 shown]
	global_load_dword v24, v[6:7], off
	global_load_dword v25, v[6:7], off offset:1024
	global_load_dword v26, v[6:7], off offset:2048
	;; [unrolled: 1-line block ×3, first 2 shown]
	v_addc_co_u32_e32 v3, vcc, 0, v3, vcc
	global_load_dword v4, v[2:3], off
	global_load_dword v5, v[2:3], off offset:1024
	global_load_dword v6, v[2:3], off offset:2048
	s_waitcnt vmcnt(21)
	ds_write2st64_b32 v54, v8, v9 offset1:4
	s_waitcnt vmcnt(19)
	ds_write2st64_b32 v54, v10, v11 offset0:8 offset1:12
	s_waitcnt vmcnt(17)
	ds_write2st64_b32 v54, v12, v13 offset0:16 offset1:20
	;; [unrolled: 2-line block ×10, first 2 shown]
	s_waitcnt vmcnt(0)
	ds_write_b32 v54, v6 offset:22528
	s_waitcnt lgkmcnt(0)
	s_barrier
	ds_read2_b32 v[14:15], v1 offset1:1
	ds_read2_b32 v[18:19], v1 offset0:2 offset1:3
	ds_read2_b32 v[22:23], v1 offset0:4 offset1:5
	;; [unrolled: 1-line block ×10, first 2 shown]
	ds_read_b32 v2, v1 offset:88
	s_cbranch_scc1 .LBB23_108
; %bb.104:
	s_andn2_b64 vcc, exec, s[8:9]
	s_cbranch_vccnz .LBB23_226
; %bb.105:
	s_lshl_b64 s[0:1], s[10:11], 2
	s_add_u32 s0, s62, s0
	s_addc_u32 s1, s63, s1
	s_add_u32 s0, s0, -4
	s_addc_u32 s1, s1, -1
	s_cbranch_execnz .LBB23_107
.LBB23_106:
	s_add_u32 s0, s6, -4
	s_addc_u32 s1, s7, -1
.LBB23_107:
	s_mov_b64 s[6:7], s[0:1]
.LBB23_108:
	global_load_dword v10, v55, s[6:7]
	s_movk_i32 s0, 0xffa8
	v_mad_i32_i24 v3, v0, s0, v1
	s_waitcnt lgkmcnt(0)
	ds_write_b32 v3, v2 offset:23552
	s_waitcnt lgkmcnt(0)
	s_barrier
	s_and_saveexec_b64 s[0:1], s[4:5]
	s_cbranch_execz .LBB23_110
; %bb.109:
	v_mul_i32_i24_e32 v3, 0xffffffa8, v0
	v_add_u32_e32 v3, v1, v3
	s_waitcnt vmcnt(0)
	ds_read_b32 v10, v3 offset:23548
.LBB23_110:
	s_or_b64 exec, exec, s[0:1]
	s_waitcnt vmcnt(0) lgkmcnt(0)
	v_cmp_ne_u32_e32 vcc, v10, v14
	v_cmp_ne_u32_e64 s[0:1], v5, v2
	v_mov_b32_e32 v2, s82
	v_cndmask_b32_e64 v11, 0, 1, vcc
	v_cmp_ne_u32_e32 vcc, v14, v15
	s_barrier
	s_nop 0
	v_cndmask_b32_e64 v13, 0, 1, vcc
	v_cmp_ne_u32_e32 vcc, v15, v18
	ds_write2st64_b32 v54, v2, v2 offset1:4
	ds_write2st64_b32 v54, v2, v2 offset0:8 offset1:12
	ds_write2st64_b32 v54, v2, v2 offset0:16 offset1:20
	;; [unrolled: 1-line block ×10, first 2 shown]
	ds_write_b32 v54, v2 offset:22528
	s_waitcnt lgkmcnt(0)
	s_barrier
	ds_read2_b32 v[16:17], v1 offset1:1
	ds_read2_b32 v[20:21], v1 offset0:2 offset1:3
	ds_read2_b32 v[24:25], v1 offset0:4 offset1:5
	ds_read2_b32 v[28:29], v1 offset0:6 offset1:7
	ds_read2_b32 v[32:33], v1 offset0:8 offset1:9
	ds_read2_b32 v[36:37], v1 offset0:10 offset1:11
	ds_read2_b32 v[40:41], v1 offset0:12 offset1:13
	ds_read2_b32 v[44:45], v1 offset0:14 offset1:15
	ds_read2_b32 v[46:47], v1 offset0:16 offset1:17
	ds_read2_b32 v[50:51], v1 offset0:18 offset1:19
	ds_read2_b32 v[56:57], v1 offset0:20 offset1:21
	ds_read_b32 v3, v1 offset:88
	v_cndmask_b32_e64 v15, 0, 1, vcc
	v_cmp_ne_u32_e32 vcc, v18, v19
	s_waitcnt lgkmcnt(11)
	v_mov_b32_e32 v12, v17
	v_mov_b32_e32 v10, v16
	v_cndmask_b32_e64 v17, 0, 1, vcc
	v_cmp_ne_u32_e32 vcc, v19, v22
	s_waitcnt lgkmcnt(10)
	v_mov_b32_e32 v16, v21
	v_mov_b32_e32 v14, v20
	;; [unrolled: 5-line block ×5, first 2 shown]
	v_cndmask_b32_e64 v25, 0, 1, vcc
	v_cmp_ne_u32_e32 vcc, v27, v30
	s_waitcnt lgkmcnt(6)
	v_mov_b32_e32 v32, v37
	s_waitcnt lgkmcnt(2)
	v_mov_b32_e32 v48, v51
	v_cndmask_b32_e64 v27, 0, 1, vcc
	v_cmp_ne_u32_e32 vcc, v30, v31
	v_mov_b32_e32 v30, v36
	v_mov_b32_e32 v36, v41
	v_cndmask_b32_e64 v29, 0, 1, vcc
	v_cmp_ne_u32_e32 vcc, v31, v34
	s_waitcnt lgkmcnt(1)
	v_mov_b32_e32 v52, v57
	s_mov_b64 s[16:17], -1
	v_cndmask_b32_e64 v31, 0, 1, vcc
	v_cmp_ne_u32_e32 vcc, v34, v35
	v_mov_b32_e32 v34, v40
	v_mov_b32_e32 v40, v45
	v_cndmask_b32_e64 v33, 0, 1, vcc
	v_cmp_ne_u32_e32 vcc, v35, v38
                                        ; implicit-def: $sgpr14_sgpr15
	s_nop 1
	v_cndmask_b32_e64 v35, 0, 1, vcc
	v_cmp_ne_u32_e32 vcc, v38, v39
	v_mov_b32_e32 v38, v44
	v_mov_b32_e32 v44, v47
	v_cndmask_b32_e64 v37, 0, 1, vcc
	v_cmp_ne_u32_e32 vcc, v39, v42
	s_nop 1
	v_cndmask_b32_e64 v39, 0, 1, vcc
	v_cmp_ne_u32_e32 vcc, v42, v43
	v_mov_b32_e32 v42, v46
	v_mov_b32_e32 v46, v50
	v_cndmask_b32_e64 v41, 0, 1, vcc
	v_cmp_ne_u32_e32 vcc, v43, v8
	v_mov_b32_e32 v50, v56
	s_nop 0
	v_cndmask_b32_e64 v43, 0, 1, vcc
	v_cmp_ne_u32_e32 vcc, v8, v9
	s_nop 1
	v_cndmask_b32_e64 v45, 0, 1, vcc
	v_cmp_ne_u32_e32 vcc, v9, v6
	;; [unrolled: 3-line block ×5, first 2 shown]
	s_nop 1
	v_cndmask_b32_e64 v53, 0, 1, vcc
.LBB23_111:
	v_mov_b64_e32 v[56:57], s[14:15]
	s_and_saveexec_b64 s[6:7], s[16:17]
	s_cbranch_execz .LBB23_113
; %bb.112:
	v_cndmask_b32_e64 v57, 0, 1, s[0:1]
	s_waitcnt lgkmcnt(0)
	v_mov_b32_e32 v56, v3
.LBB23_113:
	s_or_b64 exec, exec, s[6:7]
	s_mov_b32 s0, 0
	s_cmp_lg_u32 s67, 0
	v_or_b32_e32 v55, v57, v53
	v_lshrrev_b32_e32 v1, 5, v0
	v_cmp_gt_u32_e32 vcc, 64, v0
	s_waitcnt lgkmcnt(0)
	s_barrier
	s_cbranch_scc0 .LBB23_152
; %bb.114:
	s_mov_b32 s1, 1
	v_cmp_gt_u64_e64 s[6:7], s[0:1], v[12:13]
	v_cmp_gt_u64_e64 s[8:9], s[0:1], v[14:15]
	;; [unrolled: 1-line block ×3, first 2 shown]
	s_waitcnt vmcnt(0)
	v_cndmask_b32_e64 v2, 0, v10, s[6:7]
	v_add_u32_e32 v2, v2, v12
	v_cndmask_b32_e64 v2, 0, v2, s[8:9]
	v_add_u32_e32 v2, v2, v14
	v_cndmask_b32_e64 v2, 0, v2, s[10:11]
	v_add_u32_e32 v2, v2, v16
	v_cmp_gt_u64_e64 s[12:13], s[0:1], v[18:19]
	v_cmp_gt_u64_e64 s[14:15], s[0:1], v[20:21]
	v_cmp_gt_u64_e64 s[16:17], s[0:1], v[22:23]
	v_cndmask_b32_e64 v2, 0, v2, s[12:13]
	v_add_u32_e32 v2, v2, v18
	v_cndmask_b32_e64 v2, 0, v2, s[14:15]
	v_add_u32_e32 v2, v2, v20
	v_cndmask_b32_e64 v2, 0, v2, s[16:17]
	v_add_u32_e32 v2, v2, v22
	v_cmp_gt_u64_e64 s[18:19], s[0:1], v[24:25]
	v_cmp_gt_u64_e64 s[20:21], s[0:1], v[26:27]
	v_cmp_gt_u64_e64 s[22:23], s[0:1], v[28:29]
	;; [unrolled: 9-line block ×6, first 2 shown]
	v_cndmask_b32_e64 v2, 0, v2, s[44:45]
	v_add_u32_e32 v2, v2, v48
	v_cndmask_b32_e64 v2, 0, v2, s[46:47]
	v_add_u32_e32 v2, v2, v50
	;; [unrolled: 2-line block ×3, first 2 shown]
	v_cmp_gt_u64_e64 s[50:51], s[0:1], v[56:57]
	s_nop 1
	v_cndmask_b32_e64 v2, 0, v2, s[50:51]
	v_add_u32_e32 v62, v2, v56
	v_or3_b32 v2, v55, v51, v49
	v_or3_b32 v2, v2, v47, v45
	;; [unrolled: 1-line block ×10, first 2 shown]
	v_and_b32_e32 v2, 1, v2
	v_cmp_eq_u32_e64 s[0:1], 1, v2
	v_add_lshl_u32 v2, v1, v0, 3
	s_nop 0
	v_cndmask_b32_e64 v63, v11, 1, s[0:1]
	ds_write_b32 v2, v62
	ds_write_b8 v2, v63 offset:4
	s_waitcnt lgkmcnt(0)
	s_barrier
	s_and_saveexec_b64 s[52:53], vcc
	s_cbranch_execz .LBB23_126
; %bb.115:
	v_lshrrev_b32_e32 v2, 3, v0
	v_add_lshl_u32 v4, v2, v54, 3
	ds_read2_b32 v[6:7], v4 offset0:2 offset1:4
	ds_read_b64 v[2:3], v4
	ds_read_u8 v8, v4 offset:12
	ds_read_u8 v9, v4 offset:20
	ds_read_b32 v58, v4 offset:24
	ds_read_u8 v59, v4 offset:28
	v_mov_b32_e32 v60, 0
	s_waitcnt lgkmcnt(3)
	v_cmp_eq_u16_sdwa s[0:1], v8, v60 src0_sel:BYTE_0 src1_sel:DWORD
	v_and_b32_e32 v5, 1, v3
	s_nop 0
	v_cndmask_b32_e64 v61, 0, v2, s[0:1]
	v_add_u32_e32 v6, v61, v6
	s_waitcnt lgkmcnt(2)
	v_cmp_eq_u16_sdwa s[0:1], v9, v60 src0_sel:BYTE_0 src1_sel:DWORD
	s_nop 1
	v_cndmask_b32_e64 v6, 0, v6, s[0:1]
	v_add_u32_e32 v6, v6, v7
	s_waitcnt lgkmcnt(0)
	v_cmp_eq_u16_e64 s[0:1], 0, v59
	s_nop 1
	v_cndmask_b32_e64 v6, 0, v6, s[0:1]
	v_add_u32_e32 v7, v6, v58
	v_or_b32_e32 v6, v59, v9
	v_or_b32_e32 v6, v6, v8
	v_and_b32_e32 v6, 1, v6
	v_cmp_eq_u32_e64 s[0:1], 1, v6
	v_mbcnt_lo_u32_b32 v8, -1, 0
	v_and_b32_e32 v6, 0xffffff00, v3
	v_cndmask_b32_e64 v9, v5, 1, s[0:1]
	v_mbcnt_hi_u32_b32 v8, -1, v8
	v_and_b32_e32 v59, 15, v8
	v_or_b32_sdwa v58, v6, v9 dst_sel:DWORD dst_unused:UNUSED_PAD src0_sel:DWORD src1_sel:WORD_0
	v_mov_b32_dpp v60, v7 row_shr:1 row_mask:0xf bank_mask:0xf
	v_cmp_ne_u32_e64 s[0:1], 0, v59
	v_mov_b32_dpp v61, v58 row_shr:1 row_mask:0xf bank_mask:0xf
	s_and_saveexec_b64 s[56:57], s[0:1]
; %bb.116:
	v_and_b32_e32 v58, 1, v9
	v_and_b32_e32 v61, 1, v61
	v_cmp_eq_u32_e64 s[0:1], 1, v58
	s_nop 1
	v_cndmask_b32_e64 v61, v61, 1, s[0:1]
	v_cmp_eq_u16_e64 s[0:1], 0, v9
	v_or_b32_sdwa v58, v6, v61 dst_sel:DWORD dst_unused:UNUSED_PAD src0_sel:DWORD src1_sel:WORD_0
	s_nop 0
	v_cndmask_b32_e64 v9, 0, v60, s[0:1]
	v_add_u32_e32 v7, v9, v7
	v_mov_b32_e32 v9, v61
; %bb.117:
	s_or_b64 exec, exec, s[56:57]
	v_mov_b32_dpp v60, v7 row_shr:2 row_mask:0xf bank_mask:0xf
	v_mov_b32_dpp v61, v58 row_shr:2 row_mask:0xf bank_mask:0xf
	v_cmp_lt_u32_e64 s[0:1], 1, v59
	s_and_saveexec_b64 s[56:57], s[0:1]
; %bb.118:
	v_and_b32_e32 v58, 1, v9
	v_and_b32_e32 v61, 1, v61
	v_cmp_eq_u32_e64 s[0:1], 1, v58
	s_nop 1
	v_cndmask_b32_e64 v61, v61, 1, s[0:1]
	v_cmp_eq_u16_e64 s[0:1], 0, v9
	v_or_b32_sdwa v58, v6, v61 dst_sel:DWORD dst_unused:UNUSED_PAD src0_sel:DWORD src1_sel:WORD_0
	s_nop 0
	v_cndmask_b32_e64 v9, 0, v60, s[0:1]
	v_add_u32_e32 v7, v9, v7
	v_mov_b32_e32 v9, v61
; %bb.119:
	s_or_b64 exec, exec, s[56:57]
	v_mov_b32_dpp v60, v7 row_shr:4 row_mask:0xf bank_mask:0xf
	v_mov_b32_dpp v61, v58 row_shr:4 row_mask:0xf bank_mask:0xf
	v_cmp_lt_u32_e64 s[0:1], 3, v59
	;; [unrolled: 18-line block ×3, first 2 shown]
	s_and_saveexec_b64 s[56:57], s[0:1]
; %bb.122:
	v_and_b32_e32 v58, 1, v9
	v_and_b32_e32 v59, 1, v61
	v_cmp_eq_u32_e64 s[0:1], 1, v58
	s_nop 1
	v_cndmask_b32_e64 v59, v59, 1, s[0:1]
	v_cmp_eq_u16_e64 s[0:1], 0, v9
	v_or_b32_sdwa v58, v6, v59 dst_sel:DWORD dst_unused:UNUSED_PAD src0_sel:DWORD src1_sel:WORD_0
	s_nop 0
	v_cndmask_b32_e64 v9, 0, v60, s[0:1]
	v_add_u32_e32 v7, v9, v7
	v_mov_b32_e32 v9, v59
; %bb.123:
	s_or_b64 exec, exec, s[56:57]
	v_and_b32_e32 v61, 16, v8
	v_mov_b32_dpp v59, v7 row_bcast:15 row_mask:0xf bank_mask:0xf
	v_mov_b32_dpp v60, v58 row_bcast:15 row_mask:0xf bank_mask:0xf
	v_cmp_ne_u32_e64 s[0:1], 0, v61
	s_and_saveexec_b64 s[56:57], s[0:1]
; %bb.124:
	v_and_b32_e32 v58, 1, v9
	v_and_b32_e32 v60, 1, v60
	v_cmp_eq_u32_e64 s[0:1], 1, v58
	s_nop 1
	v_cndmask_b32_e64 v60, v60, 1, s[0:1]
	v_cmp_eq_u16_e64 s[0:1], 0, v9
	v_or_b32_sdwa v58, v6, v60 dst_sel:DWORD dst_unused:UNUSED_PAD src0_sel:DWORD src1_sel:WORD_0
	s_nop 0
	v_cndmask_b32_e64 v9, 0, v59, s[0:1]
	v_add_u32_e32 v7, v9, v7
	v_mov_b32_e32 v9, v60
; %bb.125:
	s_or_b64 exec, exec, s[56:57]
	v_mov_b32_dpp v58, v58 row_bcast:31 row_mask:0xf bank_mask:0xf
	v_and_b32_e32 v60, 1, v9
	v_and_b32_e32 v58, 1, v58
	v_cmp_eq_u32_e64 s[0:1], 1, v60
	v_mov_b32_e32 v60, 0
	v_cmp_eq_u16_sdwa s[56:57], v9, v60 src0_sel:BYTE_0 src1_sel:DWORD
	v_cndmask_b32_e64 v58, v58, 1, s[0:1]
	v_cmp_lt_u32_e64 s[0:1], 31, v8
	v_mov_b32_dpp v59, v7 row_bcast:31 row_mask:0xf bank_mask:0xf
	s_movk_i32 s62, 0xff
	v_cndmask_b32_e64 v9, v9, v58, s[0:1]
	s_and_b64 s[0:1], s[0:1], s[56:57]
	v_cndmask_b32_e64 v58, 0, v59, s[0:1]
	v_add_u32_e32 v7, v58, v7
	v_add_u32_e32 v58, -1, v8
	v_and_b32_e32 v59, 64, v8
	v_cmp_lt_i32_e64 s[0:1], v58, v59
	v_and_or_b32 v6, v9, s62, v6
	s_nop 0
	v_cndmask_b32_e64 v8, v58, v8, s[0:1]
	v_lshlrev_b32_e32 v8, 2, v8
	ds_bpermute_b32 v7, v8, v7
	ds_bpermute_b32 v6, v8, v6
	v_cmp_eq_u16_sdwa s[0:1], v3, v60 src0_sel:BYTE_0 src1_sel:DWORD
	; wave barrier
	s_waitcnt lgkmcnt(1)
	s_nop 0
	v_cndmask_b32_e64 v3, 0, v7, s[0:1]
	v_add_u32_e32 v2, v3, v2
	s_waitcnt lgkmcnt(0)
	v_and_b32_e32 v3, 1, v6
	v_cmp_eq_u32_e64 s[0:1], 1, v5
	v_cndmask_b32_e64 v5, v2, v62, s[54:55]
	s_nop 0
	v_cndmask_b32_e64 v3, v3, 1, s[0:1]
	v_cndmask_b32_e64 v6, v3, v63, s[54:55]
	ds_write_b32 v4, v5
	ds_write_b8 v4, v6 offset:4
	; wave barrier
	ds_read_u8 v7, v4 offset:12
	ds_read2_b32 v[2:3], v4 offset0:2 offset1:4
	ds_read_u8 v8, v4 offset:20
	ds_read_b32 v9, v4 offset:24
	ds_read_u8 v58, v4 offset:28
	s_waitcnt lgkmcnt(4)
	v_cmp_eq_u16_e64 s[0:1], 0, v7
	s_nop 1
	v_cndmask_b32_e64 v5, 0, v5, s[0:1]
	s_waitcnt lgkmcnt(3)
	v_add_u32_e32 v2, v5, v2
	v_and_b32_e32 v5, 1, v7
	v_cmp_eq_u32_e64 s[0:1], 1, v5
	s_nop 1
	v_cndmask_b32_e64 v5, v6, 1, s[0:1]
	s_waitcnt lgkmcnt(2)
	v_cmp_eq_u16_e64 s[0:1], 0, v8
	ds_write_b8 v4, v5 offset:12
	s_nop 0
	v_cndmask_b32_e64 v6, 0, v2, s[0:1]
	v_add_u32_e32 v3, v6, v3
	v_and_b32_e32 v6, 1, v8
	v_cmp_eq_u32_e64 s[0:1], 1, v6
	s_nop 1
	v_cndmask_b32_e64 v5, v5, 1, s[0:1]
	s_waitcnt lgkmcnt(1)
	v_cmp_eq_u16_e64 s[0:1], 0, v58
	ds_write2_b32 v4, v2, v3 offset0:2 offset1:4
	ds_write_b8 v4, v5 offset:20
	v_cndmask_b32_e64 v2, 0, v3, s[0:1]
	v_and_b32_e32 v3, 1, v58
	v_add_u32_e32 v2, v2, v9
	v_cmp_eq_u32_e64 s[0:1], 1, v3
	s_nop 1
	v_cndmask_b32_e64 v3, v5, 1, s[0:1]
	ds_write_b32 v4, v2 offset:24
	ds_write_b8 v4, v3 offset:28
.LBB23_126:
	s_or_b64 exec, exec, s[52:53]
	s_waitcnt lgkmcnt(0)
	s_barrier
	s_and_saveexec_b64 s[0:1], s[4:5]
	s_cbranch_execz .LBB23_128
; %bb.127:
	v_add_u32_e32 v2, -1, v0
	v_lshrrev_b32_e32 v3, 5, v2
	v_add_lshl_u32 v2, v3, v2, 3
	ds_read_b32 v62, v2
	ds_read_u8 v63, v2 offset:4
.LBB23_128:
	s_or_b64 exec, exec, s[0:1]
	s_and_saveexec_b64 s[56:57], vcc
	s_cbranch_execz .LBB23_151
; %bb.129:
	v_mov_b32_e32 v5, 0
	ds_read_b64 v[2:3], v5 offset:2096
	v_mbcnt_lo_u32_b32 v4, -1, 0
	v_mbcnt_hi_u32_b32 v73, -1, v4
	s_mov_b32 s63, 0
	v_cmp_eq_u32_e64 s[52:53], 0, v73
	s_waitcnt lgkmcnt(0)
	v_readfirstlane_b32 s76, v3
	s_and_saveexec_b64 s[0:1], s[52:53]
	s_cbranch_execz .LBB23_131
; %bb.130:
	s_add_i32 s62, s67, 64
	s_lshl_b64 s[74:75], s[62:63], 4
	s_add_u32 s74, s64, s74
	s_addc_u32 s75, s65, s75
	s_and_b32 s79, s76, 0xff000000
	s_mov_b32 s78, s63
	s_and_b32 s81, s76, 0xff0000
	s_mov_b32 s80, s63
	s_or_b64 s[78:79], s[80:81], s[78:79]
	s_and_b32 s81, s76, 0xff00
	s_or_b64 s[78:79], s[78:79], s[80:81]
	s_and_b32 s81, s76, 0xff
	s_or_b64 s[62:63], s[78:79], s[80:81]
	v_mov_b32_e32 v3, s63
	v_mov_b32_e32 v4, 1
	v_mov_b64_e32 v[6:7], s[74:75]
	;;#ASMSTART
	global_store_dwordx4 v[6:7], v[2:5] off sc1	
s_waitcnt vmcnt(0)
	;;#ASMEND
.LBB23_131:
	s_or_b64 exec, exec, s[0:1]
	v_xad_u32 v58, v73, -1, s67
	v_add_u32_e32 v4, 64, v58
	v_lshl_add_u64 v[60:61], v[4:5], 4, s[64:65]
	;;#ASMSTART
	global_load_dwordx4 v[6:9], v[60:61] off sc1	
s_waitcnt vmcnt(0)
	;;#ASMEND
	s_nop 0
	v_and_b32_e32 v3, 0xff0000, v6
	v_and_b32_e32 v4, 0xff000000, v6
	;; [unrolled: 1-line block ×3, first 2 shown]
	v_or_b32_sdwa v3, v6, v3 dst_sel:DWORD dst_unused:UNUSED_PAD src0_sel:WORD_0 src1_sel:DWORD
	v_or3_b32 v7, 0, 0, v7
	v_or3_b32 v6, v3, v4, 0
	v_cmp_eq_u16_sdwa s[62:63], v8, v5 src0_sel:BYTE_0 src1_sel:DWORD
	s_and_saveexec_b64 s[0:1], s[62:63]
	s_cbranch_execz .LBB23_137
; %bb.132:
	s_mov_b32 s74, 1
	s_mov_b64 s[62:63], 0
	v_mov_b32_e32 v3, 0
.LBB23_133:                             ; =>This Loop Header: Depth=1
                                        ;     Child Loop BB23_134 Depth 2
	s_max_u32 s75, s74, 1
.LBB23_134:                             ;   Parent Loop BB23_133 Depth=1
                                        ; =>  This Inner Loop Header: Depth=2
	s_add_i32 s75, s75, -1
	s_cmp_eq_u32 s75, 0
	s_sleep 1
	s_cbranch_scc0 .LBB23_134
; %bb.135:                              ;   in Loop: Header=BB23_133 Depth=1
	s_cmp_lt_u32 s74, 32
	s_cselect_b64 s[78:79], -1, 0
	s_cmp_lg_u64 s[78:79], 0
	s_addc_u32 s74, s74, 0
	;;#ASMSTART
	global_load_dwordx4 v[6:9], v[60:61] off sc1	
s_waitcnt vmcnt(0)
	;;#ASMEND
	s_nop 0
	v_cmp_ne_u16_sdwa s[78:79], v8, v3 src0_sel:BYTE_0 src1_sel:DWORD
	s_or_b64 s[62:63], s[78:79], s[62:63]
	s_andn2_b64 exec, exec, s[62:63]
	s_cbranch_execnz .LBB23_133
; %bb.136:
	s_or_b64 exec, exec, s[62:63]
	v_and_b32_e32 v7, 0xff, v7
.LBB23_137:
	s_or_b64 exec, exec, s[0:1]
	v_mov_b32_e32 v3, 2
	v_cmp_eq_u16_sdwa s[0:1], v8, v3 src0_sel:BYTE_0 src1_sel:DWORD
	v_lshlrev_b64 v[4:5], v73, -1
	v_and_b32_e32 v64, 63, v73
	v_and_b32_e32 v9, s1, v5
	v_or_b32_e32 v9, 0x80000000, v9
	v_and_b32_e32 v59, s0, v4
	v_ffbl_b32_e32 v9, v9
	v_add_u32_e32 v9, 32, v9
	v_ffbl_b32_e32 v59, v59
	v_cmp_ne_u32_e32 vcc, 63, v64
	v_min_u32_e32 v9, v59, v9
	s_mov_b32 s62, 0
	v_addc_co_u32_e32 v59, vcc, 0, v73, vcc
	v_lshlrev_b32_e32 v65, 2, v59
	ds_bpermute_b32 v59, v65, v7
	ds_bpermute_b32 v60, v65, v6
	v_and_b32_e32 v61, 1, v7
	s_mov_b32 s63, 1
	v_cmp_eq_u32_e32 vcc, 1, v61
	s_waitcnt lgkmcnt(1)
	v_and_b32_e32 v59, 1, v59
	v_cmp_lt_u32_e64 s[0:1], v64, v9
	v_cndmask_b32_e64 v59, v59, 1, vcc
	v_cmp_gt_u64_e32 vcc, s[62:63], v[6:7]
	s_and_b64 vcc, s[0:1], vcc
	v_and_b32_e32 v61, 0xffff, v59
	v_cndmask_b32_e64 v68, v7, v59, s[0:1]
	s_waitcnt lgkmcnt(0)
	v_cndmask_b32_e32 v59, 0, v60, vcc
	v_cmp_gt_u32_e32 vcc, 62, v64
	v_cndmask_b32_e64 v7, v7, v61, s[0:1]
	v_add_u32_e32 v6, v59, v6
	v_cndmask_b32_e64 v60, 0, 1, vcc
	v_lshlrev_b32_e32 v60, 1, v60
	v_add_lshl_u32 v66, v60, v73, 2
	ds_bpermute_b32 v60, v66, v7
	ds_bpermute_b32 v61, v66, v6
	v_and_b32_e32 v59, 1, v68
	v_cmp_eq_u32_e32 vcc, 1, v59
	v_mov_b32_e32 v59, 0
	s_waitcnt lgkmcnt(1)
	v_and_b32_e32 v60, 1, v60
	v_add_u32_e32 v67, 2, v64
	v_cndmask_b32_e64 v60, v60, 1, vcc
	v_cmp_eq_u16_sdwa vcc, v68, v59 src0_sel:BYTE_0 src1_sel:DWORD
	v_and_b32_e32 v69, 0xffff, v60
	v_add_u32_e32 v77, 32, v64
	s_waitcnt lgkmcnt(0)
	v_cndmask_b32_e32 v61, 0, v61, vcc
	v_cmp_gt_u32_e32 vcc, v67, v9
	s_nop 1
	v_cndmask_b32_e32 v60, v60, v68, vcc
	v_cndmask_b32_e64 v61, v61, 0, vcc
	v_cndmask_b32_e32 v7, v69, v7, vcc
	v_cmp_gt_u32_e32 vcc, 60, v64
	v_add_u32_e32 v6, v61, v6
	v_and_b32_e32 v71, 1, v60
	v_cndmask_b32_e64 v68, 0, 1, vcc
	v_lshlrev_b32_e32 v68, 2, v68
	v_add_lshl_u32 v68, v68, v73, 2
	ds_bpermute_b32 v70, v68, v7
	ds_bpermute_b32 v61, v68, v6
	v_cmp_eq_u32_e32 vcc, 1, v71
	v_add_u32_e32 v69, 4, v64
	s_waitcnt lgkmcnt(1)
	v_and_b32_e32 v70, 1, v70
	v_cndmask_b32_e64 v70, v70, 1, vcc
	v_cmp_eq_u16_sdwa vcc, v60, v59 src0_sel:BYTE_0 src1_sel:DWORD
	v_and_b32_e32 v71, 0xffff, v70
	s_waitcnt lgkmcnt(0)
	v_cndmask_b32_e32 v61, 0, v61, vcc
	v_cmp_gt_u32_e32 vcc, v69, v9
	s_nop 1
	v_cndmask_b32_e32 v60, v70, v60, vcc
	v_cndmask_b32_e64 v61, v61, 0, vcc
	v_cndmask_b32_e32 v7, v71, v7, vcc
	v_cmp_gt_u32_e32 vcc, 56, v64
	v_add_u32_e32 v6, v61, v6
	v_and_b32_e32 v74, 1, v60
	v_cndmask_b32_e64 v70, 0, 1, vcc
	v_lshlrev_b32_e32 v70, 3, v70
	v_add_lshl_u32 v70, v70, v73, 2
	ds_bpermute_b32 v72, v70, v7
	ds_bpermute_b32 v61, v70, v6
	v_cmp_eq_u32_e32 vcc, 1, v74
	v_add_u32_e32 v71, 8, v64
	s_waitcnt lgkmcnt(1)
	v_and_b32_e32 v72, 1, v72
	v_cndmask_b32_e64 v72, v72, 1, vcc
	v_cmp_eq_u16_sdwa vcc, v60, v59 src0_sel:BYTE_0 src1_sel:DWORD
	v_and_b32_e32 v74, 0xffff, v72
	;; [unrolled: 22-line block ×3, first 2 shown]
	s_waitcnt lgkmcnt(0)
	v_cndmask_b32_e32 v61, 0, v61, vcc
	v_cmp_gt_u32_e32 vcc, v74, v9
	s_nop 1
	v_cndmask_b32_e32 v60, v75, v60, vcc
	v_cndmask_b32_e64 v61, v61, 0, vcc
	v_cndmask_b32_e32 v7, v76, v7, vcc
	v_cmp_gt_u32_e32 vcc, 32, v64
	v_add_u32_e32 v6, v61, v6
	s_nop 0
	v_cndmask_b32_e64 v75, 0, 1, vcc
	v_lshlrev_b32_e32 v75, 5, v75
	v_add_lshl_u32 v76, v75, v73, 2
	ds_bpermute_b32 v7, v76, v7
	ds_bpermute_b32 v61, v76, v6
	v_and_b32_e32 v73, 1, v60
	v_cmp_eq_u32_e32 vcc, 1, v73
	s_waitcnt lgkmcnt(1)
	v_and_b32_e32 v7, 1, v7
	v_cndmask_b32_e64 v7, v7, 1, vcc
	v_cmp_eq_u16_sdwa vcc, v60, v59 src0_sel:BYTE_0 src1_sel:DWORD
	s_waitcnt lgkmcnt(0)
	s_nop 0
	v_cndmask_b32_e32 v61, 0, v61, vcc
	v_cmp_gt_u32_e32 vcc, v77, v9
	s_nop 1
	v_cndmask_b32_e64 v9, v61, 0, vcc
	v_cndmask_b32_e32 v7, v7, v60, vcc
	v_add_u32_e32 v6, v9, v6
	s_branch .LBB23_139
.LBB23_138:                             ;   in Loop: Header=BB23_139 Depth=1
	s_or_b64 exec, exec, s[0:1]
	v_cmp_eq_u16_sdwa s[0:1], v8, v3 src0_sel:BYTE_0 src1_sel:DWORD
	ds_bpermute_b32 v61, v65, v7
	v_and_b32_e32 v78, 1, v7
	v_and_b32_e32 v9, s1, v5
	v_or_b32_e32 v9, 0x80000000, v9
	v_and_b32_e32 v60, s0, v4
	v_ffbl_b32_e32 v9, v9
	v_add_u32_e32 v9, 32, v9
	v_ffbl_b32_e32 v60, v60
	v_min_u32_e32 v9, v60, v9
	ds_bpermute_b32 v60, v65, v6
	s_waitcnt lgkmcnt(1)
	v_and_b32_e32 v61, 1, v61
	v_cmp_eq_u32_e32 vcc, 1, v78
	v_cmp_lt_u32_e64 s[0:1], v64, v9
	v_subrev_u32_e32 v58, 64, v58
	v_cndmask_b32_e64 v61, v61, 1, vcc
	v_cmp_gt_u64_e32 vcc, s[62:63], v[6:7]
	v_and_b32_e32 v78, 0xffff, v61
	v_cndmask_b32_e64 v61, v7, v61, s[0:1]
	v_cndmask_b32_e64 v7, v7, v78, s[0:1]
	s_and_b64 vcc, s[0:1], vcc
	ds_bpermute_b32 v78, v66, v7
	s_waitcnt lgkmcnt(1)
	v_cndmask_b32_e32 v60, 0, v60, vcc
	v_add_u32_e32 v6, v60, v6
	ds_bpermute_b32 v60, v66, v6
	v_and_b32_e32 v79, 1, v61
	s_waitcnt lgkmcnt(1)
	v_and_b32_e32 v78, 1, v78
	v_cmp_eq_u32_e32 vcc, 1, v79
	s_nop 1
	v_cndmask_b32_e64 v78, v78, 1, vcc
	v_cmp_eq_u16_sdwa vcc, v61, v59 src0_sel:BYTE_0 src1_sel:DWORD
	v_and_b32_e32 v79, 0xffff, v78
	s_waitcnt lgkmcnt(0)
	v_cndmask_b32_e32 v60, 0, v60, vcc
	v_cmp_gt_u32_e32 vcc, v67, v9
	s_nop 1
	v_cndmask_b32_e32 v7, v79, v7, vcc
	v_cndmask_b32_e32 v61, v78, v61, vcc
	ds_bpermute_b32 v78, v68, v7
	v_cndmask_b32_e64 v60, v60, 0, vcc
	v_add_u32_e32 v6, v60, v6
	ds_bpermute_b32 v60, v68, v6
	v_and_b32_e32 v79, 1, v61
	s_waitcnt lgkmcnt(1)
	v_and_b32_e32 v78, 1, v78
	v_cmp_eq_u32_e32 vcc, 1, v79
	s_nop 1
	v_cndmask_b32_e64 v78, v78, 1, vcc
	v_cmp_eq_u16_sdwa vcc, v61, v59 src0_sel:BYTE_0 src1_sel:DWORD
	v_and_b32_e32 v79, 0xffff, v78
	s_waitcnt lgkmcnt(0)
	v_cndmask_b32_e32 v60, 0, v60, vcc
	v_cmp_gt_u32_e32 vcc, v69, v9
	s_nop 1
	v_cndmask_b32_e32 v7, v79, v7, vcc
	v_cndmask_b32_e32 v61, v78, v61, vcc
	ds_bpermute_b32 v78, v70, v7
	v_cndmask_b32_e64 v60, v60, 0, vcc
	;; [unrolled: 18-line block ×3, first 2 shown]
	v_add_u32_e32 v6, v60, v6
	ds_bpermute_b32 v60, v72, v6
	v_and_b32_e32 v79, 1, v61
	s_waitcnt lgkmcnt(1)
	v_and_b32_e32 v78, 1, v78
	v_cmp_eq_u32_e32 vcc, 1, v79
	s_nop 1
	v_cndmask_b32_e64 v78, v78, 1, vcc
	v_cmp_eq_u16_sdwa vcc, v61, v59 src0_sel:BYTE_0 src1_sel:DWORD
	v_and_b32_e32 v79, 0xffff, v78
	s_waitcnt lgkmcnt(0)
	v_cndmask_b32_e32 v60, 0, v60, vcc
	v_cmp_gt_u32_e32 vcc, v74, v9
	s_nop 1
	v_cndmask_b32_e64 v60, v60, 0, vcc
	v_cndmask_b32_e32 v7, v79, v7, vcc
	ds_bpermute_b32 v7, v76, v7
	v_add_u32_e32 v6, v60, v6
	ds_bpermute_b32 v60, v76, v6
	v_cndmask_b32_e32 v61, v78, v61, vcc
	v_and_b32_e32 v78, 1, v61
	v_cmp_eq_u32_e32 vcc, 1, v78
	s_waitcnt lgkmcnt(1)
	s_nop 0
	v_cndmask_b32_e64 v7, v7, 1, vcc
	v_cmp_eq_u16_sdwa vcc, v61, v59 src0_sel:BYTE_0 src1_sel:DWORD
	s_waitcnt lgkmcnt(0)
	s_nop 0
	v_cndmask_b32_e32 v60, 0, v60, vcc
	v_cmp_gt_u32_e32 vcc, v77, v9
	s_nop 1
	v_cndmask_b32_e64 v9, v60, 0, vcc
	v_cndmask_b32_e32 v7, v7, v61, vcc
	v_add_u32_e32 v6, v9, v6
	v_cmp_eq_u16_sdwa vcc, v73, v59 src0_sel:BYTE_0 src1_sel:DWORD
	v_and_b32_e32 v9, 1, v73
	v_and_b32_e32 v7, 1, v7
	v_cndmask_b32_e32 v6, 0, v6, vcc
	v_cmp_eq_u32_e32 vcc, 1, v9
	v_add_u32_e32 v6, v6, v75
	s_nop 0
	v_cndmask_b32_e64 v7, v7, 1, vcc
.LBB23_139:                             ; =>This Loop Header: Depth=1
                                        ;     Child Loop BB23_142 Depth 2
                                        ;       Child Loop BB23_143 Depth 3
	v_cmp_ne_u16_sdwa s[0:1], v8, v3 src0_sel:BYTE_0 src1_sel:DWORD
	v_mov_b32_e32 v73, v7
	v_mov_b32_e32 v75, v6
	v_cndmask_b32_e64 v7, 0, 1, s[0:1]
	;;#ASMSTART
	;;#ASMEND
	s_nop 0
	v_cmp_ne_u32_e32 vcc, 0, v7
	s_cmp_lg_u64 vcc, exec
	s_cbranch_scc1 .LBB23_146
; %bb.140:                              ;   in Loop: Header=BB23_139 Depth=1
	v_lshl_add_u64 v[60:61], v[58:59], 4, s[64:65]
	;;#ASMSTART
	global_load_dwordx4 v[6:9], v[60:61] off sc1	
s_waitcnt vmcnt(0)
	;;#ASMEND
	s_nop 0
	v_and_b32_e32 v9, 0xff0000, v6
	v_and_b32_e32 v78, 0xff000000, v6
	;; [unrolled: 1-line block ×3, first 2 shown]
	v_or_b32_sdwa v6, v6, v9 dst_sel:DWORD dst_unused:UNUSED_PAD src0_sel:WORD_0 src1_sel:DWORD
	v_or3_b32 v7, 0, 0, v7
	v_or3_b32 v6, v6, v78, 0
	v_cmp_eq_u16_sdwa s[74:75], v8, v59 src0_sel:BYTE_0 src1_sel:DWORD
	s_and_saveexec_b64 s[0:1], s[74:75]
	s_cbranch_execz .LBB23_138
; %bb.141:                              ;   in Loop: Header=BB23_139 Depth=1
	s_mov_b32 s77, 1
	s_mov_b64 s[74:75], 0
.LBB23_142:                             ;   Parent Loop BB23_139 Depth=1
                                        ; =>  This Loop Header: Depth=2
                                        ;       Child Loop BB23_143 Depth 3
	s_max_u32 s78, s77, 1
.LBB23_143:                             ;   Parent Loop BB23_139 Depth=1
                                        ;     Parent Loop BB23_142 Depth=2
                                        ; =>    This Inner Loop Header: Depth=3
	s_add_i32 s78, s78, -1
	s_cmp_eq_u32 s78, 0
	s_sleep 1
	s_cbranch_scc0 .LBB23_143
; %bb.144:                              ;   in Loop: Header=BB23_142 Depth=2
	s_cmp_lt_u32 s77, 32
	s_cselect_b64 s[78:79], -1, 0
	s_cmp_lg_u64 s[78:79], 0
	s_addc_u32 s77, s77, 0
	;;#ASMSTART
	global_load_dwordx4 v[6:9], v[60:61] off sc1	
s_waitcnt vmcnt(0)
	;;#ASMEND
	s_nop 0
	v_cmp_ne_u16_sdwa s[78:79], v8, v59 src0_sel:BYTE_0 src1_sel:DWORD
	s_or_b64 s[74:75], s[78:79], s[74:75]
	s_andn2_b64 exec, exec, s[74:75]
	s_cbranch_execnz .LBB23_142
; %bb.145:                              ;   in Loop: Header=BB23_139 Depth=1
	s_or_b64 exec, exec, s[74:75]
	v_and_b32_e32 v7, 0xff, v7
	s_branch .LBB23_138
.LBB23_146:                             ;   in Loop: Header=BB23_139 Depth=1
                                        ; implicit-def: $vgpr7
                                        ; implicit-def: $vgpr6
                                        ; implicit-def: $vgpr8
	s_cbranch_execz .LBB23_139
; %bb.147:
	s_and_saveexec_b64 s[0:1], s[52:53]
	s_cbranch_execz .LBB23_149
; %bb.148:
	s_and_b32 s52, s76, 0xff
	s_cmp_eq_u32 s52, 0
	s_cselect_b64 vcc, -1, 0
	s_bitcmp1_b32 s76, 0
	s_mov_b32 s53, 0
	s_cselect_b64 s[62:63], -1, 0
	s_add_i32 s52, s67, 64
	s_lshl_b64 s[52:53], s[52:53], 4
	v_cndmask_b32_e32 v3, 0, v75, vcc
	s_add_u32 s52, s64, s52
	v_add_u32_e32 v2, v3, v2
	v_and_b32_e32 v3, 1, v73
	s_addc_u32 s53, s65, s53
	v_mov_b32_e32 v5, 0
	v_cndmask_b32_e64 v3, v3, 1, s[62:63]
	v_mov_b32_e32 v4, 2
	v_mov_b64_e32 v[6:7], s[52:53]
	;;#ASMSTART
	global_store_dwordx4 v[6:7], v[2:5] off sc1	
s_waitcnt vmcnt(0)
	;;#ASMEND
.LBB23_149:
	s_or_b64 exec, exec, s[0:1]
	s_and_b64 exec, exec, s[54:55]
	s_cbranch_execz .LBB23_151
; %bb.150:
	v_mov_b32_e32 v2, 0
	ds_write_b32 v2, v75
	ds_write_b8 v2, v73 offset:4
.LBB23_151:
	s_or_b64 exec, exec, s[56:57]
	s_mov_b32 s0, 0
	v_mov_b32_e32 v2, 0
	s_mov_b32 s1, 1
	s_waitcnt lgkmcnt(0)
	s_barrier
	ds_read_b32 v3, v2
	v_cmp_gt_u64_e32 vcc, s[0:1], v[10:11]
	v_and_b32_e32 v5, 1, v11
	v_and_b32_e32 v6, 1, v63
	v_cndmask_b32_e32 v4, 0, v62, vcc
	v_cmp_eq_u32_e32 vcc, 1, v5
	v_cndmask_b32_e64 v4, v4, 0, s[54:55]
	s_nop 0
	v_cndmask_b32_e64 v5, v6, 1, vcc
	v_cndmask_b32_e64 v5, v5, v11, s[54:55]
	v_cmp_eq_u16_sdwa vcc, v5, v2 src0_sel:BYTE_0 src1_sel:DWORD
	s_waitcnt lgkmcnt(0)
	s_nop 0
	v_cndmask_b32_e32 v2, 0, v3, vcc
	v_add3_u32 v80, v4, v10, v2
	v_cndmask_b32_e64 v2, 0, v80, s[6:7]
	v_add_u32_e32 v58, v2, v12
	v_cndmask_b32_e64 v2, 0, v58, s[8:9]
	v_add_u32_e32 v59, v2, v14
	;; [unrolled: 2-line block ×22, first 2 shown]
	s_branch .LBB23_172
.LBB23_152:
                                        ; implicit-def: $vgpr78
                                        ; implicit-def: $vgpr77
                                        ; implicit-def: $vgpr76
                                        ; implicit-def: $vgpr75
                                        ; implicit-def: $vgpr74
                                        ; implicit-def: $vgpr73
                                        ; implicit-def: $vgpr72
                                        ; implicit-def: $vgpr71
                                        ; implicit-def: $vgpr70
                                        ; implicit-def: $vgpr69
                                        ; implicit-def: $vgpr68
                                        ; implicit-def: $vgpr67
                                        ; implicit-def: $vgpr66
                                        ; implicit-def: $vgpr65
                                        ; implicit-def: $vgpr64
                                        ; implicit-def: $vgpr63
                                        ; implicit-def: $vgpr62
                                        ; implicit-def: $vgpr61
                                        ; implicit-def: $vgpr60
                                        ; implicit-def: $vgpr59
                                        ; implicit-def: $vgpr58
                                        ; implicit-def: $vgpr80
                                        ; implicit-def: $vgpr79
	s_cbranch_execz .LBB23_172
; %bb.153:
	s_cmp_lg_u64 s[72:73], 0
	s_cselect_b32 s9, s59, 0
	s_cselect_b32 s8, s58, 0
	s_cmp_lg_u64 s[8:9], 0
	s_cselect_b64 s[6:7], -1, 0
	s_mov_b32 s0, 0
	s_and_b64 s[10:11], s[54:55], s[6:7]
	s_and_saveexec_b64 s[6:7], s[10:11]
	s_cbranch_execz .LBB23_155
; %bb.154:
	s_waitcnt vmcnt(0)
	v_mov_b32_e32 v2, 0
	global_load_dword v4, v2, s[8:9]
	global_load_ubyte v5, v2, s[8:9] offset:4
	s_mov_b32 s1, 1
	v_and_b32_e32 v3, 1, v11
	v_cmp_gt_u64_e32 vcc, s[0:1], v[10:11]
	s_waitcnt vmcnt(0)
	v_and_b32_e32 v5, 1, v5
	v_cndmask_b32_e32 v4, 0, v4, vcc
	v_cmp_eq_u64_e32 vcc, 0, v[2:3]
	v_add_u32_e32 v10, v4, v10
	s_nop 0
	v_cndmask_b32_e32 v11, 1, v5, vcc
.LBB23_155:
	s_or_b64 exec, exec, s[6:7]
	s_mov_b32 s1, 1
	v_cmp_gt_u64_e32 vcc, s[0:1], v[12:13]
	v_cmp_gt_u64_e64 s[6:7], s[0:1], v[14:15]
	v_cmp_gt_u64_e64 s[8:9], s[0:1], v[16:17]
	s_waitcnt vmcnt(0)
	v_cndmask_b32_e32 v2, 0, v10, vcc
	v_add_u32_e32 v58, v2, v12
	v_cndmask_b32_e64 v2, 0, v58, s[6:7]
	v_add_u32_e32 v59, v2, v14
	v_cndmask_b32_e64 v2, 0, v59, s[8:9]
	v_add_u32_e32 v60, v2, v16
	v_cmp_gt_u64_e64 s[10:11], s[0:1], v[18:19]
	v_cmp_gt_u64_e64 s[12:13], s[0:1], v[20:21]
	v_cmp_gt_u64_e64 s[14:15], s[0:1], v[22:23]
	v_cndmask_b32_e64 v2, 0, v60, s[10:11]
	v_add_u32_e32 v61, v2, v18
	v_cndmask_b32_e64 v2, 0, v61, s[12:13]
	v_add_u32_e32 v62, v2, v20
	v_cndmask_b32_e64 v2, 0, v62, s[14:15]
	v_add_u32_e32 v63, v2, v22
	v_cmp_gt_u64_e64 s[16:17], s[0:1], v[24:25]
	v_cmp_gt_u64_e64 s[18:19], s[0:1], v[26:27]
	v_cmp_gt_u64_e64 s[20:21], s[0:1], v[28:29]
	v_cndmask_b32_e64 v2, 0, v63, s[16:17]
	;; [unrolled: 9-line block ×6, first 2 shown]
	v_add_u32_e32 v76, v2, v48
	v_cndmask_b32_e64 v2, 0, v76, s[44:45]
	v_add_u32_e32 v77, v2, v50
	v_cndmask_b32_e64 v2, 0, v77, s[46:47]
	v_add_u32_e32 v78, v2, v52
	v_cmp_gt_u64_e64 s[48:49], s[0:1], v[56:57]
	v_add_lshl_u32 v1, v1, v0, 3
	s_nop 0
	v_cndmask_b32_e64 v2, 0, v78, s[48:49]
	v_add_u32_e32 v79, v2, v56
	v_or3_b32 v2, v55, v51, v49
	v_or3_b32 v2, v2, v47, v45
	;; [unrolled: 1-line block ×10, first 2 shown]
	v_and_b32_e32 v2, 1, v2
	v_cmp_eq_u32_e64 s[0:1], 1, v2
	s_nop 1
	v_cndmask_b32_e64 v4, v11, 1, s[0:1]
	v_cmp_gt_u32_e64 s[0:1], 64, v0
	ds_write_b32 v1, v79
	ds_write_b8 v1, v4 offset:4
	s_waitcnt lgkmcnt(0)
	s_barrier
	s_and_saveexec_b64 s[50:51], s[0:1]
	s_cbranch_execz .LBB23_167
; %bb.156:
	v_lshrrev_b32_e32 v1, 3, v0
	v_add_lshl_u32 v1, v1, v54, 3
	ds_read2_b32 v[6:7], v1 offset0:2 offset1:4
	ds_read_b64 v[2:3], v1
	ds_read_u8 v8, v1 offset:12
	ds_read_u8 v9, v1 offset:20
	ds_read_b32 v13, v1 offset:24
	ds_read_u8 v15, v1 offset:28
	v_mov_b32_e32 v17, 0
	s_waitcnt lgkmcnt(3)
	v_cmp_eq_u16_sdwa s[0:1], v8, v17 src0_sel:BYTE_0 src1_sel:DWORD
	v_and_b32_e32 v5, 1, v3
	s_nop 0
	v_cndmask_b32_e64 v19, 0, v2, s[0:1]
	v_add_u32_e32 v6, v19, v6
	s_waitcnt lgkmcnt(2)
	v_cmp_eq_u16_sdwa s[0:1], v9, v17 src0_sel:BYTE_0 src1_sel:DWORD
	s_nop 1
	v_cndmask_b32_e64 v6, 0, v6, s[0:1]
	v_add_u32_e32 v6, v6, v7
	s_waitcnt lgkmcnt(0)
	v_cmp_eq_u16_e64 s[0:1], 0, v15
	s_nop 1
	v_cndmask_b32_e64 v6, 0, v6, s[0:1]
	v_add_u32_e32 v7, v6, v13
	v_or_b32_e32 v6, v15, v9
	v_or_b32_e32 v6, v6, v8
	v_and_b32_e32 v6, 1, v6
	v_cmp_eq_u32_e64 s[0:1], 1, v6
	v_mbcnt_lo_u32_b32 v8, -1, 0
	v_and_b32_e32 v6, 0xffffff00, v3
	v_cndmask_b32_e64 v9, v5, 1, s[0:1]
	v_mbcnt_hi_u32_b32 v8, -1, v8
	v_and_b32_e32 v15, 15, v8
	v_or_b32_sdwa v13, v6, v9 dst_sel:DWORD dst_unused:UNUSED_PAD src0_sel:DWORD src1_sel:WORD_0
	v_mov_b32_dpp v17, v7 row_shr:1 row_mask:0xf bank_mask:0xf
	v_cmp_ne_u32_e64 s[0:1], 0, v15
	v_mov_b32_dpp v19, v13 row_shr:1 row_mask:0xf bank_mask:0xf
	s_and_saveexec_b64 s[52:53], s[0:1]
; %bb.157:
	v_and_b32_e32 v13, 1, v9
	v_and_b32_e32 v19, 1, v19
	v_cmp_eq_u32_e64 s[0:1], 1, v13
	s_nop 1
	v_cndmask_b32_e64 v19, v19, 1, s[0:1]
	v_cmp_eq_u16_e64 s[0:1], 0, v9
	v_or_b32_sdwa v13, v6, v19 dst_sel:DWORD dst_unused:UNUSED_PAD src0_sel:DWORD src1_sel:WORD_0
	s_nop 0
	v_cndmask_b32_e64 v9, 0, v17, s[0:1]
	v_add_u32_e32 v7, v9, v7
	v_mov_b32_e32 v9, v19
; %bb.158:
	s_or_b64 exec, exec, s[52:53]
	v_mov_b32_dpp v17, v7 row_shr:2 row_mask:0xf bank_mask:0xf
	v_mov_b32_dpp v19, v13 row_shr:2 row_mask:0xf bank_mask:0xf
	v_cmp_lt_u32_e64 s[0:1], 1, v15
	s_and_saveexec_b64 s[52:53], s[0:1]
; %bb.159:
	v_and_b32_e32 v13, 1, v9
	v_and_b32_e32 v19, 1, v19
	v_cmp_eq_u32_e64 s[0:1], 1, v13
	s_nop 1
	v_cndmask_b32_e64 v19, v19, 1, s[0:1]
	v_cmp_eq_u16_e64 s[0:1], 0, v9
	v_or_b32_sdwa v13, v6, v19 dst_sel:DWORD dst_unused:UNUSED_PAD src0_sel:DWORD src1_sel:WORD_0
	s_nop 0
	v_cndmask_b32_e64 v9, 0, v17, s[0:1]
	v_add_u32_e32 v7, v9, v7
	v_mov_b32_e32 v9, v19
; %bb.160:
	s_or_b64 exec, exec, s[52:53]
	v_mov_b32_dpp v17, v7 row_shr:4 row_mask:0xf bank_mask:0xf
	v_mov_b32_dpp v19, v13 row_shr:4 row_mask:0xf bank_mask:0xf
	v_cmp_lt_u32_e64 s[0:1], 3, v15
	;; [unrolled: 18-line block ×3, first 2 shown]
	s_and_saveexec_b64 s[52:53], s[0:1]
; %bb.163:
	v_and_b32_e32 v13, 1, v9
	v_and_b32_e32 v15, 1, v19
	v_cmp_eq_u32_e64 s[0:1], 1, v13
	s_nop 1
	v_cndmask_b32_e64 v15, v15, 1, s[0:1]
	v_cmp_eq_u16_e64 s[0:1], 0, v9
	v_or_b32_sdwa v13, v6, v15 dst_sel:DWORD dst_unused:UNUSED_PAD src0_sel:DWORD src1_sel:WORD_0
	s_nop 0
	v_cndmask_b32_e64 v9, 0, v17, s[0:1]
	v_add_u32_e32 v7, v9, v7
	v_mov_b32_e32 v9, v15
; %bb.164:
	s_or_b64 exec, exec, s[52:53]
	v_and_b32_e32 v19, 16, v8
	v_mov_b32_dpp v15, v7 row_bcast:15 row_mask:0xf bank_mask:0xf
	v_mov_b32_dpp v17, v13 row_bcast:15 row_mask:0xf bank_mask:0xf
	v_cmp_ne_u32_e64 s[0:1], 0, v19
	s_and_saveexec_b64 s[52:53], s[0:1]
; %bb.165:
	v_and_b32_e32 v13, 1, v9
	v_and_b32_e32 v17, 1, v17
	v_cmp_eq_u32_e64 s[0:1], 1, v13
	s_nop 1
	v_cndmask_b32_e64 v17, v17, 1, s[0:1]
	v_cmp_eq_u16_e64 s[0:1], 0, v9
	v_or_b32_sdwa v13, v6, v17 dst_sel:DWORD dst_unused:UNUSED_PAD src0_sel:DWORD src1_sel:WORD_0
	s_nop 0
	v_cndmask_b32_e64 v9, 0, v15, s[0:1]
	v_add_u32_e32 v7, v9, v7
	v_mov_b32_e32 v9, v17
; %bb.166:
	s_or_b64 exec, exec, s[52:53]
	v_mov_b32_dpp v13, v13 row_bcast:31 row_mask:0xf bank_mask:0xf
	v_and_b32_e32 v17, 1, v9
	v_and_b32_e32 v13, 1, v13
	v_cmp_eq_u32_e64 s[0:1], 1, v17
	v_mov_b32_e32 v17, 0
	v_cmp_eq_u16_sdwa s[52:53], v9, v17 src0_sel:BYTE_0 src1_sel:DWORD
	v_cndmask_b32_e64 v13, v13, 1, s[0:1]
	v_cmp_lt_u32_e64 s[0:1], 31, v8
	v_mov_b32_dpp v15, v7 row_bcast:31 row_mask:0xf bank_mask:0xf
	s_movk_i32 s56, 0xff
	v_cndmask_b32_e64 v9, v9, v13, s[0:1]
	s_and_b64 s[0:1], s[0:1], s[52:53]
	v_cndmask_b32_e64 v13, 0, v15, s[0:1]
	v_add_u32_e32 v7, v13, v7
	v_add_u32_e32 v13, -1, v8
	v_and_b32_e32 v15, 64, v8
	v_cmp_lt_i32_e64 s[0:1], v13, v15
	v_and_or_b32 v6, v9, s56, v6
	s_nop 0
	v_cndmask_b32_e64 v8, v13, v8, s[0:1]
	v_lshlrev_b32_e32 v8, 2, v8
	ds_bpermute_b32 v7, v8, v7
	ds_bpermute_b32 v6, v8, v6
	v_cmp_eq_u16_sdwa s[0:1], v3, v17 src0_sel:BYTE_0 src1_sel:DWORD
	; wave barrier
	s_waitcnt lgkmcnt(1)
	s_nop 0
	v_cndmask_b32_e64 v3, 0, v7, s[0:1]
	v_add_u32_e32 v2, v3, v2
	s_waitcnt lgkmcnt(0)
	v_and_b32_e32 v3, 1, v6
	v_cmp_eq_u32_e64 s[0:1], 1, v5
	v_cndmask_b32_e64 v5, v2, v79, s[54:55]
	s_nop 0
	v_cndmask_b32_e64 v3, v3, 1, s[0:1]
	v_cndmask_b32_e64 v4, v3, v4, s[54:55]
	ds_write_b32 v1, v5
	ds_write_b8 v1, v4 offset:4
	; wave barrier
	ds_read_u8 v6, v1 offset:12
	ds_read2_b32 v[2:3], v1 offset0:2 offset1:4
	ds_read_u8 v7, v1 offset:20
	ds_read_b32 v8, v1 offset:24
	ds_read_u8 v9, v1 offset:28
	s_waitcnt lgkmcnt(4)
	v_cmp_eq_u16_e64 s[0:1], 0, v6
	s_nop 1
	v_cndmask_b32_e64 v5, 0, v5, s[0:1]
	s_waitcnt lgkmcnt(3)
	v_add_u32_e32 v2, v5, v2
	v_and_b32_e32 v5, 1, v6
	v_cmp_eq_u32_e64 s[0:1], 1, v5
	s_nop 1
	v_cndmask_b32_e64 v4, v4, 1, s[0:1]
	s_waitcnt lgkmcnt(2)
	v_cmp_eq_u16_e64 s[0:1], 0, v7
	ds_write_b8 v1, v4 offset:12
	s_nop 0
	v_cndmask_b32_e64 v5, 0, v2, s[0:1]
	v_add_u32_e32 v3, v5, v3
	v_and_b32_e32 v5, 1, v7
	v_cmp_eq_u32_e64 s[0:1], 1, v5
	s_nop 1
	v_cndmask_b32_e64 v4, v4, 1, s[0:1]
	s_waitcnt lgkmcnt(1)
	v_cmp_eq_u16_e64 s[0:1], 0, v9
	ds_write2_b32 v1, v2, v3 offset0:2 offset1:4
	ds_write_b8 v1, v4 offset:20
	v_cndmask_b32_e64 v2, 0, v3, s[0:1]
	v_and_b32_e32 v3, 1, v9
	v_add_u32_e32 v2, v2, v8
	v_cmp_eq_u32_e64 s[0:1], 1, v3
	s_nop 1
	v_cndmask_b32_e64 v3, v4, 1, s[0:1]
	ds_write_b32 v1, v2 offset:24
	ds_write_b8 v1, v3 offset:28
.LBB23_167:
	s_or_b64 exec, exec, s[50:51]
	v_mov_b32_e32 v1, v79
	s_waitcnt lgkmcnt(0)
	s_barrier
	s_and_saveexec_b64 s[0:1], s[4:5]
	s_cbranch_execnz .LBB23_223
; %bb.168:
	s_or_b64 exec, exec, s[0:1]
	s_and_saveexec_b64 s[50:51], s[4:5]
	s_cbranch_execnz .LBB23_224
.LBB23_169:
	s_or_b64 exec, exec, s[50:51]
	s_and_saveexec_b64 s[0:1], s[54:55]
	s_cbranch_execz .LBB23_171
.LBB23_170:
	v_mov_b32_e32 v5, 0
	ds_read_b32 v2, v5 offset:2096
	ds_read_u8 v3, v5 offset:2100
	s_add_u32 s4, s64, 0x400
	s_addc_u32 s5, s65, 0
	v_mov_b32_e32 v4, 2
	v_mov_b64_e32 v[6:7], s[4:5]
	s_waitcnt lgkmcnt(0)
	;;#ASMSTART
	global_store_dwordx4 v[6:7], v[2:5] off sc1	
s_waitcnt vmcnt(0)
	;;#ASMEND
.LBB23_171:
	s_or_b64 exec, exec, s[0:1]
	v_mov_b32_e32 v80, v10
.LBB23_172:
	s_add_u32 s0, s68, s70
	s_addc_u32 s1, s69, s71
	s_add_u32 s0, s0, s60
	s_addc_u32 s1, s1, s61
	s_and_b64 vcc, exec, s[2:3]
	s_cbranch_vccz .LBB23_218
; %bb.173:
	s_movk_i32 s2, 0x5c
	v_mul_i32_i24_e32 v26, 0xffffffa8, v0
	s_waitcnt lgkmcnt(0)
	v_mul_u32_u24_e32 v1, 0x5c, v0
	s_waitcnt vmcnt(0)
	v_mad_u32_u24 v2, v0, s2, v26
	s_barrier
	ds_write2_b32 v1, v80, v58 offset1:1
	ds_write2_b32 v1, v59, v60 offset0:2 offset1:3
	ds_write2_b32 v1, v61, v62 offset0:4 offset1:5
	ds_write2_b32 v1, v63, v64 offset0:6 offset1:7
	ds_write2_b32 v1, v65, v66 offset0:8 offset1:9
	ds_write2_b32 v1, v67, v68 offset0:10 offset1:11
	ds_write2_b32 v1, v69, v70 offset0:12 offset1:13
	ds_write2_b32 v1, v71, v72 offset0:14 offset1:15
	ds_write2_b32 v1, v73, v74 offset0:16 offset1:17
	ds_write2_b32 v1, v75, v76 offset0:18 offset1:19
	ds_write2_b32 v1, v77, v78 offset0:20 offset1:21
	ds_write_b32 v1, v79 offset:88
	s_waitcnt lgkmcnt(0)
	s_barrier
	ds_read2st64_b32 v[24:25], v2 offset0:4 offset1:8
	ds_read2st64_b32 v[22:23], v2 offset0:12 offset1:16
	;; [unrolled: 1-line block ×11, first 2 shown]
	s_add_i32 s33, s33, s66
	v_mov_b32_e32 v55, 0
	v_lshl_add_u64 v[4:5], s[0:1], 0, v[54:55]
	v_cmp_gt_u32_e32 vcc, s33, v0
	s_and_saveexec_b64 s[2:3], vcc
	s_cbranch_execz .LBB23_175
; %bb.174:
	v_add_u32_e32 v1, v1, v26
	ds_read_b32 v1, v1
	s_waitcnt lgkmcnt(0)
	global_store_dword v[4:5], v1, off
.LBB23_175:
	s_or_b64 exec, exec, s[2:3]
	v_or_b32_e32 v1, 0x100, v0
	v_cmp_gt_u32_e32 vcc, s33, v1
	s_and_saveexec_b64 s[2:3], vcc
	s_cbranch_execz .LBB23_177
; %bb.176:
	s_waitcnt lgkmcnt(10)
	global_store_dword v[4:5], v24, off offset:1024
.LBB23_177:
	s_or_b64 exec, exec, s[2:3]
	v_or_b32_e32 v1, 0x200, v0
	v_cmp_gt_u32_e32 vcc, s33, v1
	s_and_saveexec_b64 s[2:3], vcc
	s_cbranch_execz .LBB23_179
; %bb.178:
	s_waitcnt lgkmcnt(10)
	global_store_dword v[4:5], v25, off offset:2048
.LBB23_179:
	;; [unrolled: 9-line block ×3, first 2 shown]
	s_or_b64 exec, exec, s[2:3]
	v_or_b32_e32 v1, 0x400, v0
	v_cmp_gt_u32_e32 vcc, s33, v1
	s_and_saveexec_b64 s[2:3], vcc
	s_cbranch_execz .LBB23_183
; %bb.182:
	s_waitcnt lgkmcnt(10)
	v_add_co_u32_e32 v24, vcc, 0x1000, v4
	s_nop 1
	v_addc_co_u32_e32 v25, vcc, 0, v5, vcc
	s_waitcnt lgkmcnt(9)
	global_store_dword v[24:25], v23, off
.LBB23_183:
	s_or_b64 exec, exec, s[2:3]
	v_or_b32_e32 v1, 0x500, v0
	v_cmp_gt_u32_e32 vcc, s33, v1
	s_and_saveexec_b64 s[2:3], vcc
	s_cbranch_execz .LBB23_185
; %bb.184:
	s_waitcnt lgkmcnt(9)
	v_add_co_u32_e32 v22, vcc, 0x1000, v4
	s_nop 1
	v_addc_co_u32_e32 v23, vcc, 0, v5, vcc
	s_waitcnt lgkmcnt(8)
	global_store_dword v[22:23], v20, off offset:1024
.LBB23_185:
	s_or_b64 exec, exec, s[2:3]
	v_or_b32_e32 v1, 0x600, v0
	v_cmp_gt_u32_e32 vcc, s33, v1
	s_and_saveexec_b64 s[2:3], vcc
	s_cbranch_execz .LBB23_187
; %bb.186:
	s_waitcnt lgkmcnt(9)
	v_add_co_u32_e32 v22, vcc, 0x1000, v4
	s_nop 1
	v_addc_co_u32_e32 v23, vcc, 0, v5, vcc
	s_waitcnt lgkmcnt(8)
	global_store_dword v[22:23], v21, off offset:2048
.LBB23_187:
	s_or_b64 exec, exec, s[2:3]
	v_or_b32_e32 v1, 0x700, v0
	v_cmp_gt_u32_e32 vcc, s33, v1
	s_and_saveexec_b64 s[2:3], vcc
	s_cbranch_execz .LBB23_189
; %bb.188:
	s_waitcnt lgkmcnt(8)
	v_add_co_u32_e32 v20, vcc, 0x1000, v4
	s_nop 1
	v_addc_co_u32_e32 v21, vcc, 0, v5, vcc
	s_waitcnt lgkmcnt(7)
	global_store_dword v[20:21], v18, off offset:3072
.LBB23_189:
	s_or_b64 exec, exec, s[2:3]
	v_or_b32_e32 v1, 0x800, v0
	v_cmp_gt_u32_e32 vcc, s33, v1
	s_and_saveexec_b64 s[2:3], vcc
	s_cbranch_execz .LBB23_191
; %bb.190:
	s_waitcnt lgkmcnt(8)
	v_add_co_u32_e32 v20, vcc, 0x2000, v4
	s_nop 1
	v_addc_co_u32_e32 v21, vcc, 0, v5, vcc
	s_waitcnt lgkmcnt(7)
	global_store_dword v[20:21], v19, off
.LBB23_191:
	s_or_b64 exec, exec, s[2:3]
	v_or_b32_e32 v1, 0x900, v0
	v_cmp_gt_u32_e32 vcc, s33, v1
	s_and_saveexec_b64 s[2:3], vcc
	s_cbranch_execz .LBB23_193
; %bb.192:
	s_waitcnt lgkmcnt(7)
	v_add_co_u32_e32 v18, vcc, 0x2000, v4
	s_nop 1
	v_addc_co_u32_e32 v19, vcc, 0, v5, vcc
	s_waitcnt lgkmcnt(6)
	global_store_dword v[18:19], v16, off offset:1024
.LBB23_193:
	s_or_b64 exec, exec, s[2:3]
	v_or_b32_e32 v1, 0xa00, v0
	v_cmp_gt_u32_e32 vcc, s33, v1
	s_and_saveexec_b64 s[2:3], vcc
	s_cbranch_execz .LBB23_195
; %bb.194:
	s_waitcnt lgkmcnt(7)
	v_add_co_u32_e32 v18, vcc, 0x2000, v4
	s_nop 1
	v_addc_co_u32_e32 v19, vcc, 0, v5, vcc
	s_waitcnt lgkmcnt(6)
	global_store_dword v[18:19], v17, off offset:2048
.LBB23_195:
	s_or_b64 exec, exec, s[2:3]
	v_or_b32_e32 v1, 0xb00, v0
	v_cmp_gt_u32_e32 vcc, s33, v1
	s_and_saveexec_b64 s[2:3], vcc
	s_cbranch_execz .LBB23_197
; %bb.196:
	s_waitcnt lgkmcnt(6)
	v_add_co_u32_e32 v16, vcc, 0x2000, v4
	s_nop 1
	v_addc_co_u32_e32 v17, vcc, 0, v5, vcc
	s_waitcnt lgkmcnt(5)
	global_store_dword v[16:17], v14, off offset:3072
.LBB23_197:
	;; [unrolled: 52-line block ×4, first 2 shown]
	s_or_b64 exec, exec, s[2:3]
	v_or_b32_e32 v1, 0x1400, v0
	v_cmp_gt_u32_e32 vcc, s33, v1
	s_and_saveexec_b64 s[2:3], vcc
	s_cbranch_execz .LBB23_215
; %bb.214:
	s_waitcnt lgkmcnt(2)
	v_add_co_u32_e32 v8, vcc, 0x5000, v4
	s_nop 1
	v_addc_co_u32_e32 v9, vcc, 0, v5, vcc
	s_waitcnt lgkmcnt(1)
	global_store_dword v[8:9], v7, off
.LBB23_215:
	s_or_b64 exec, exec, s[2:3]
	v_or_b32_e32 v1, 0x1500, v0
	v_cmp_gt_u32_e32 vcc, s33, v1
	s_and_saveexec_b64 s[2:3], vcc
	s_cbranch_execz .LBB23_217
; %bb.216:
	v_add_co_u32_e32 v4, vcc, 0x5000, v4
	s_nop 1
	v_addc_co_u32_e32 v5, vcc, 0, v5, vcc
	s_waitcnt lgkmcnt(0)
	global_store_dword v[4:5], v2, off offset:1024
.LBB23_217:
	s_or_b64 exec, exec, s[2:3]
	s_waitcnt lgkmcnt(0)
	v_or_b32_e32 v2, 0x1600, v0
	v_mov_b32_e32 v1, v55
	v_cmp_gt_u32_e64 s[2:3], s33, v2
	s_branch .LBB23_220
.LBB23_218:
	s_mov_b64 s[2:3], 0
                                        ; implicit-def: $vgpr3
	s_cbranch_execz .LBB23_220
; %bb.219:
	s_waitcnt lgkmcnt(0)
	v_mul_u32_u24_e32 v1, 0x5c, v0
	s_barrier
	s_movk_i32 s4, 0x5c
	ds_write2_b32 v1, v80, v58 offset1:1
	ds_write2_b32 v1, v59, v60 offset0:2 offset1:3
	ds_write2_b32 v1, v61, v62 offset0:4 offset1:5
	;; [unrolled: 1-line block ×10, first 2 shown]
	ds_write_b32 v1, v79 offset:88
	v_mov_b32_e32 v1, 0
	s_waitcnt vmcnt(0)
	v_mul_i32_i24_e32 v2, 0xffffffa8, v0
	v_mad_u32_u24 v2, v0, s4, v2
	v_mov_b32_e32 v55, v1
	s_waitcnt lgkmcnt(0)
	s_barrier
	ds_read2st64_b32 v[4:5], v2 offset1:4
	ds_read2st64_b32 v[6:7], v2 offset0:8 offset1:12
	ds_read2st64_b32 v[8:9], v2 offset0:16 offset1:20
	;; [unrolled: 1-line block ×10, first 2 shown]
	ds_read_b32 v3, v2 offset:22528
	v_lshl_add_u64 v[26:27], s[0:1], 0, v[54:55]
	s_movk_i32 s4, 0x1000
	s_waitcnt lgkmcnt(11)
	global_store_dword v54, v4, s[0:1]
	global_store_dword v54, v5, s[0:1] offset:1024
	s_waitcnt lgkmcnt(10)
	global_store_dword v54, v6, s[0:1] offset:2048
	global_store_dword v54, v7, s[0:1] offset:3072
	v_add_co_u32_e32 v4, vcc, s4, v26
	s_movk_i32 s4, 0x2000
	s_nop 0
	v_addc_co_u32_e32 v5, vcc, 0, v27, vcc
	v_add_co_u32_e32 v6, vcc, s4, v26
	s_movk_i32 s4, 0x3000
	s_nop 0
	v_addc_co_u32_e32 v7, vcc, 0, v27, vcc
	s_waitcnt lgkmcnt(9)
	global_store_dword v[6:7], v8, off offset:-4096
	global_store_dword v[4:5], v9, off offset:1024
	s_waitcnt lgkmcnt(8)
	global_store_dword v[4:5], v10, off offset:2048
	global_store_dword v[4:5], v11, off offset:3072
	s_waitcnt lgkmcnt(7)
	global_store_dword v[6:7], v12, off
	global_store_dword v[6:7], v13, off offset:1024
	s_waitcnt lgkmcnt(6)
	global_store_dword v[6:7], v14, off offset:2048
	global_store_dword v[6:7], v15, off offset:3072
	v_add_co_u32_e32 v4, vcc, s4, v26
	s_or_b64 s[2:3], s[2:3], exec
	s_nop 0
	v_addc_co_u32_e32 v5, vcc, 0, v27, vcc
	s_waitcnt lgkmcnt(5)
	global_store_dword v[4:5], v16, off
	global_store_dword v[4:5], v17, off offset:1024
	s_waitcnt lgkmcnt(4)
	global_store_dword v[4:5], v18, off offset:2048
	global_store_dword v[4:5], v19, off offset:3072
	v_add_co_u32_e32 v4, vcc, 0x4000, v26
	s_nop 1
	v_addc_co_u32_e32 v5, vcc, 0, v27, vcc
	s_waitcnt lgkmcnt(3)
	global_store_dword v[4:5], v20, off
	global_store_dword v[4:5], v21, off offset:1024
	s_waitcnt lgkmcnt(2)
	global_store_dword v[4:5], v22, off offset:2048
	global_store_dword v[4:5], v23, off offset:3072
	v_add_co_u32_e32 v4, vcc, 0x5000, v26
	s_nop 1
	v_addc_co_u32_e32 v5, vcc, 0, v27, vcc
	s_waitcnt lgkmcnt(1)
	global_store_dword v[4:5], v24, off
	global_store_dword v[4:5], v25, off offset:1024
.LBB23_220:
	s_and_saveexec_b64 s[4:5], s[2:3]
	s_cbranch_execnz .LBB23_222
; %bb.221:
	s_endpgm
.LBB23_222:
	s_waitcnt lgkmcnt(0)
	v_lshl_add_u64 v[0:1], v[0:1], 2, s[0:1]
	v_add_co_u32_e32 v0, vcc, 0x5000, v0
	s_nop 1
	v_addc_co_u32_e32 v1, vcc, 0, v1, vcc
	global_store_dword v[0:1], v3, off offset:2048
	s_endpgm
.LBB23_223:
	v_add_u32_e32 v1, -1, v0
	v_lshrrev_b32_e32 v2, 5, v1
	v_add_lshl_u32 v1, v2, v1, 3
	ds_read_b32 v1, v1
	s_or_b64 exec, exec, s[0:1]
	s_and_saveexec_b64 s[50:51], s[4:5]
	s_cbranch_execz .LBB23_169
.LBB23_224:
	v_and_b32_e32 v3, 0xff, v11
	v_mov_b32_e32 v2, 0
	v_cmp_eq_u64_e64 s[0:1], 0, v[2:3]
	;;#ASMSTART
	;;#ASMEND
	s_waitcnt lgkmcnt(0)
	s_nop 0
	v_cndmask_b32_e64 v1, 0, v1, s[0:1]
	v_add_u32_e32 v10, v1, v10
	v_cndmask_b32_e32 v1, 0, v10, vcc
	v_add_u32_e32 v58, v1, v12
	v_cndmask_b32_e64 v1, 0, v58, s[6:7]
	v_add_u32_e32 v59, v1, v14
	v_cndmask_b32_e64 v1, 0, v59, s[8:9]
	;; [unrolled: 2-line block ×21, first 2 shown]
	v_add_u32_e32 v79, v1, v56
	s_or_b64 exec, exec, s[50:51]
	s_and_saveexec_b64 s[0:1], s[54:55]
	s_cbranch_execnz .LBB23_170
	s_branch .LBB23_171
.LBB23_225:
                                        ; implicit-def: $sgpr0_sgpr1
	s_andn2_b64 vcc, exec, s[12:13]
	s_cbranch_vccz .LBB23_54
	s_branch .LBB23_55
.LBB23_226:
                                        ; implicit-def: $sgpr0_sgpr1
	s_branch .LBB23_106
	.section	.rodata,"a",@progbits
	.p2align	6, 0x0
	.amdhsa_kernel _ZN7rocprim17ROCPRIM_400000_NS6detail17trampoline_kernelINS0_14default_configENS1_27scan_by_key_config_selectorIiiEEZZNS1_16scan_by_key_implILNS1_25lookback_scan_determinismE0ELb0ES3_PKiN6hipcub16HIPCUB_304000_NS21ConstantInputIteratorIilEEPiiNSB_3SumENSB_8EqualityEiEE10hipError_tPvRmT2_T3_T4_T5_mT6_T7_P12ihipStream_tbENKUlT_T0_E_clISt17integral_constantIbLb1EESX_EEDaSS_ST_EUlSS_E_NS1_11comp_targetILNS1_3genE5ELNS1_11target_archE942ELNS1_3gpuE9ELNS1_3repE0EEENS1_30default_config_static_selectorELNS0_4arch9wavefront6targetE1EEEvT1_
		.amdhsa_group_segment_fixed_size 25600
		.amdhsa_private_segment_fixed_size 0
		.amdhsa_kernarg_size 120
		.amdhsa_user_sgpr_count 2
		.amdhsa_user_sgpr_dispatch_ptr 0
		.amdhsa_user_sgpr_queue_ptr 0
		.amdhsa_user_sgpr_kernarg_segment_ptr 1
		.amdhsa_user_sgpr_dispatch_id 0
		.amdhsa_user_sgpr_kernarg_preload_length 0
		.amdhsa_user_sgpr_kernarg_preload_offset 0
		.amdhsa_user_sgpr_private_segment_size 0
		.amdhsa_uses_dynamic_stack 0
		.amdhsa_enable_private_segment 0
		.amdhsa_system_sgpr_workgroup_id_x 1
		.amdhsa_system_sgpr_workgroup_id_y 0
		.amdhsa_system_sgpr_workgroup_id_z 0
		.amdhsa_system_sgpr_workgroup_info 0
		.amdhsa_system_vgpr_workitem_id 0
		.amdhsa_next_free_vgpr 81
		.amdhsa_next_free_sgpr 84
		.amdhsa_accum_offset 84
		.amdhsa_reserve_vcc 1
		.amdhsa_float_round_mode_32 0
		.amdhsa_float_round_mode_16_64 0
		.amdhsa_float_denorm_mode_32 3
		.amdhsa_float_denorm_mode_16_64 3
		.amdhsa_dx10_clamp 1
		.amdhsa_ieee_mode 1
		.amdhsa_fp16_overflow 0
		.amdhsa_tg_split 0
		.amdhsa_exception_fp_ieee_invalid_op 0
		.amdhsa_exception_fp_denorm_src 0
		.amdhsa_exception_fp_ieee_div_zero 0
		.amdhsa_exception_fp_ieee_overflow 0
		.amdhsa_exception_fp_ieee_underflow 0
		.amdhsa_exception_fp_ieee_inexact 0
		.amdhsa_exception_int_div_zero 0
	.end_amdhsa_kernel
	.section	.text._ZN7rocprim17ROCPRIM_400000_NS6detail17trampoline_kernelINS0_14default_configENS1_27scan_by_key_config_selectorIiiEEZZNS1_16scan_by_key_implILNS1_25lookback_scan_determinismE0ELb0ES3_PKiN6hipcub16HIPCUB_304000_NS21ConstantInputIteratorIilEEPiiNSB_3SumENSB_8EqualityEiEE10hipError_tPvRmT2_T3_T4_T5_mT6_T7_P12ihipStream_tbENKUlT_T0_E_clISt17integral_constantIbLb1EESX_EEDaSS_ST_EUlSS_E_NS1_11comp_targetILNS1_3genE5ELNS1_11target_archE942ELNS1_3gpuE9ELNS1_3repE0EEENS1_30default_config_static_selectorELNS0_4arch9wavefront6targetE1EEEvT1_,"axG",@progbits,_ZN7rocprim17ROCPRIM_400000_NS6detail17trampoline_kernelINS0_14default_configENS1_27scan_by_key_config_selectorIiiEEZZNS1_16scan_by_key_implILNS1_25lookback_scan_determinismE0ELb0ES3_PKiN6hipcub16HIPCUB_304000_NS21ConstantInputIteratorIilEEPiiNSB_3SumENSB_8EqualityEiEE10hipError_tPvRmT2_T3_T4_T5_mT6_T7_P12ihipStream_tbENKUlT_T0_E_clISt17integral_constantIbLb1EESX_EEDaSS_ST_EUlSS_E_NS1_11comp_targetILNS1_3genE5ELNS1_11target_archE942ELNS1_3gpuE9ELNS1_3repE0EEENS1_30default_config_static_selectorELNS0_4arch9wavefront6targetE1EEEvT1_,comdat
.Lfunc_end23:
	.size	_ZN7rocprim17ROCPRIM_400000_NS6detail17trampoline_kernelINS0_14default_configENS1_27scan_by_key_config_selectorIiiEEZZNS1_16scan_by_key_implILNS1_25lookback_scan_determinismE0ELb0ES3_PKiN6hipcub16HIPCUB_304000_NS21ConstantInputIteratorIilEEPiiNSB_3SumENSB_8EqualityEiEE10hipError_tPvRmT2_T3_T4_T5_mT6_T7_P12ihipStream_tbENKUlT_T0_E_clISt17integral_constantIbLb1EESX_EEDaSS_ST_EUlSS_E_NS1_11comp_targetILNS1_3genE5ELNS1_11target_archE942ELNS1_3gpuE9ELNS1_3repE0EEENS1_30default_config_static_selectorELNS0_4arch9wavefront6targetE1EEEvT1_, .Lfunc_end23-_ZN7rocprim17ROCPRIM_400000_NS6detail17trampoline_kernelINS0_14default_configENS1_27scan_by_key_config_selectorIiiEEZZNS1_16scan_by_key_implILNS1_25lookback_scan_determinismE0ELb0ES3_PKiN6hipcub16HIPCUB_304000_NS21ConstantInputIteratorIilEEPiiNSB_3SumENSB_8EqualityEiEE10hipError_tPvRmT2_T3_T4_T5_mT6_T7_P12ihipStream_tbENKUlT_T0_E_clISt17integral_constantIbLb1EESX_EEDaSS_ST_EUlSS_E_NS1_11comp_targetILNS1_3genE5ELNS1_11target_archE942ELNS1_3gpuE9ELNS1_3repE0EEENS1_30default_config_static_selectorELNS0_4arch9wavefront6targetE1EEEvT1_
                                        ; -- End function
	.section	.AMDGPU.csdata,"",@progbits
; Kernel info:
; codeLenInByte = 14108
; NumSgprs: 90
; NumVgprs: 81
; NumAgprs: 0
; TotalNumVgprs: 81
; ScratchSize: 0
; MemoryBound: 0
; FloatMode: 240
; IeeeMode: 1
; LDSByteSize: 25600 bytes/workgroup (compile time only)
; SGPRBlocks: 11
; VGPRBlocks: 10
; NumSGPRsForWavesPerEU: 90
; NumVGPRsForWavesPerEU: 81
; AccumOffset: 84
; Occupancy: 2
; WaveLimiterHint : 1
; COMPUTE_PGM_RSRC2:SCRATCH_EN: 0
; COMPUTE_PGM_RSRC2:USER_SGPR: 2
; COMPUTE_PGM_RSRC2:TRAP_HANDLER: 0
; COMPUTE_PGM_RSRC2:TGID_X_EN: 1
; COMPUTE_PGM_RSRC2:TGID_Y_EN: 0
; COMPUTE_PGM_RSRC2:TGID_Z_EN: 0
; COMPUTE_PGM_RSRC2:TIDIG_COMP_CNT: 0
; COMPUTE_PGM_RSRC3_GFX90A:ACCUM_OFFSET: 20
; COMPUTE_PGM_RSRC3_GFX90A:TG_SPLIT: 0
	.section	.text._ZN7rocprim17ROCPRIM_400000_NS6detail17trampoline_kernelINS0_14default_configENS1_27scan_by_key_config_selectorIiiEEZZNS1_16scan_by_key_implILNS1_25lookback_scan_determinismE0ELb0ES3_PKiN6hipcub16HIPCUB_304000_NS21ConstantInputIteratorIilEEPiiNSB_3SumENSB_8EqualityEiEE10hipError_tPvRmT2_T3_T4_T5_mT6_T7_P12ihipStream_tbENKUlT_T0_E_clISt17integral_constantIbLb1EESX_EEDaSS_ST_EUlSS_E_NS1_11comp_targetILNS1_3genE4ELNS1_11target_archE910ELNS1_3gpuE8ELNS1_3repE0EEENS1_30default_config_static_selectorELNS0_4arch9wavefront6targetE1EEEvT1_,"axG",@progbits,_ZN7rocprim17ROCPRIM_400000_NS6detail17trampoline_kernelINS0_14default_configENS1_27scan_by_key_config_selectorIiiEEZZNS1_16scan_by_key_implILNS1_25lookback_scan_determinismE0ELb0ES3_PKiN6hipcub16HIPCUB_304000_NS21ConstantInputIteratorIilEEPiiNSB_3SumENSB_8EqualityEiEE10hipError_tPvRmT2_T3_T4_T5_mT6_T7_P12ihipStream_tbENKUlT_T0_E_clISt17integral_constantIbLb1EESX_EEDaSS_ST_EUlSS_E_NS1_11comp_targetILNS1_3genE4ELNS1_11target_archE910ELNS1_3gpuE8ELNS1_3repE0EEENS1_30default_config_static_selectorELNS0_4arch9wavefront6targetE1EEEvT1_,comdat
	.protected	_ZN7rocprim17ROCPRIM_400000_NS6detail17trampoline_kernelINS0_14default_configENS1_27scan_by_key_config_selectorIiiEEZZNS1_16scan_by_key_implILNS1_25lookback_scan_determinismE0ELb0ES3_PKiN6hipcub16HIPCUB_304000_NS21ConstantInputIteratorIilEEPiiNSB_3SumENSB_8EqualityEiEE10hipError_tPvRmT2_T3_T4_T5_mT6_T7_P12ihipStream_tbENKUlT_T0_E_clISt17integral_constantIbLb1EESX_EEDaSS_ST_EUlSS_E_NS1_11comp_targetILNS1_3genE4ELNS1_11target_archE910ELNS1_3gpuE8ELNS1_3repE0EEENS1_30default_config_static_selectorELNS0_4arch9wavefront6targetE1EEEvT1_ ; -- Begin function _ZN7rocprim17ROCPRIM_400000_NS6detail17trampoline_kernelINS0_14default_configENS1_27scan_by_key_config_selectorIiiEEZZNS1_16scan_by_key_implILNS1_25lookback_scan_determinismE0ELb0ES3_PKiN6hipcub16HIPCUB_304000_NS21ConstantInputIteratorIilEEPiiNSB_3SumENSB_8EqualityEiEE10hipError_tPvRmT2_T3_T4_T5_mT6_T7_P12ihipStream_tbENKUlT_T0_E_clISt17integral_constantIbLb1EESX_EEDaSS_ST_EUlSS_E_NS1_11comp_targetILNS1_3genE4ELNS1_11target_archE910ELNS1_3gpuE8ELNS1_3repE0EEENS1_30default_config_static_selectorELNS0_4arch9wavefront6targetE1EEEvT1_
	.globl	_ZN7rocprim17ROCPRIM_400000_NS6detail17trampoline_kernelINS0_14default_configENS1_27scan_by_key_config_selectorIiiEEZZNS1_16scan_by_key_implILNS1_25lookback_scan_determinismE0ELb0ES3_PKiN6hipcub16HIPCUB_304000_NS21ConstantInputIteratorIilEEPiiNSB_3SumENSB_8EqualityEiEE10hipError_tPvRmT2_T3_T4_T5_mT6_T7_P12ihipStream_tbENKUlT_T0_E_clISt17integral_constantIbLb1EESX_EEDaSS_ST_EUlSS_E_NS1_11comp_targetILNS1_3genE4ELNS1_11target_archE910ELNS1_3gpuE8ELNS1_3repE0EEENS1_30default_config_static_selectorELNS0_4arch9wavefront6targetE1EEEvT1_
	.p2align	8
	.type	_ZN7rocprim17ROCPRIM_400000_NS6detail17trampoline_kernelINS0_14default_configENS1_27scan_by_key_config_selectorIiiEEZZNS1_16scan_by_key_implILNS1_25lookback_scan_determinismE0ELb0ES3_PKiN6hipcub16HIPCUB_304000_NS21ConstantInputIteratorIilEEPiiNSB_3SumENSB_8EqualityEiEE10hipError_tPvRmT2_T3_T4_T5_mT6_T7_P12ihipStream_tbENKUlT_T0_E_clISt17integral_constantIbLb1EESX_EEDaSS_ST_EUlSS_E_NS1_11comp_targetILNS1_3genE4ELNS1_11target_archE910ELNS1_3gpuE8ELNS1_3repE0EEENS1_30default_config_static_selectorELNS0_4arch9wavefront6targetE1EEEvT1_,@function
_ZN7rocprim17ROCPRIM_400000_NS6detail17trampoline_kernelINS0_14default_configENS1_27scan_by_key_config_selectorIiiEEZZNS1_16scan_by_key_implILNS1_25lookback_scan_determinismE0ELb0ES3_PKiN6hipcub16HIPCUB_304000_NS21ConstantInputIteratorIilEEPiiNSB_3SumENSB_8EqualityEiEE10hipError_tPvRmT2_T3_T4_T5_mT6_T7_P12ihipStream_tbENKUlT_T0_E_clISt17integral_constantIbLb1EESX_EEDaSS_ST_EUlSS_E_NS1_11comp_targetILNS1_3genE4ELNS1_11target_archE910ELNS1_3gpuE8ELNS1_3repE0EEENS1_30default_config_static_selectorELNS0_4arch9wavefront6targetE1EEEvT1_: ; @_ZN7rocprim17ROCPRIM_400000_NS6detail17trampoline_kernelINS0_14default_configENS1_27scan_by_key_config_selectorIiiEEZZNS1_16scan_by_key_implILNS1_25lookback_scan_determinismE0ELb0ES3_PKiN6hipcub16HIPCUB_304000_NS21ConstantInputIteratorIilEEPiiNSB_3SumENSB_8EqualityEiEE10hipError_tPvRmT2_T3_T4_T5_mT6_T7_P12ihipStream_tbENKUlT_T0_E_clISt17integral_constantIbLb1EESX_EEDaSS_ST_EUlSS_E_NS1_11comp_targetILNS1_3genE4ELNS1_11target_archE910ELNS1_3gpuE8ELNS1_3repE0EEENS1_30default_config_static_selectorELNS0_4arch9wavefront6targetE1EEEvT1_
; %bb.0:
	.section	.rodata,"a",@progbits
	.p2align	6, 0x0
	.amdhsa_kernel _ZN7rocprim17ROCPRIM_400000_NS6detail17trampoline_kernelINS0_14default_configENS1_27scan_by_key_config_selectorIiiEEZZNS1_16scan_by_key_implILNS1_25lookback_scan_determinismE0ELb0ES3_PKiN6hipcub16HIPCUB_304000_NS21ConstantInputIteratorIilEEPiiNSB_3SumENSB_8EqualityEiEE10hipError_tPvRmT2_T3_T4_T5_mT6_T7_P12ihipStream_tbENKUlT_T0_E_clISt17integral_constantIbLb1EESX_EEDaSS_ST_EUlSS_E_NS1_11comp_targetILNS1_3genE4ELNS1_11target_archE910ELNS1_3gpuE8ELNS1_3repE0EEENS1_30default_config_static_selectorELNS0_4arch9wavefront6targetE1EEEvT1_
		.amdhsa_group_segment_fixed_size 0
		.amdhsa_private_segment_fixed_size 0
		.amdhsa_kernarg_size 120
		.amdhsa_user_sgpr_count 2
		.amdhsa_user_sgpr_dispatch_ptr 0
		.amdhsa_user_sgpr_queue_ptr 0
		.amdhsa_user_sgpr_kernarg_segment_ptr 1
		.amdhsa_user_sgpr_dispatch_id 0
		.amdhsa_user_sgpr_kernarg_preload_length 0
		.amdhsa_user_sgpr_kernarg_preload_offset 0
		.amdhsa_user_sgpr_private_segment_size 0
		.amdhsa_uses_dynamic_stack 0
		.amdhsa_enable_private_segment 0
		.amdhsa_system_sgpr_workgroup_id_x 1
		.amdhsa_system_sgpr_workgroup_id_y 0
		.amdhsa_system_sgpr_workgroup_id_z 0
		.amdhsa_system_sgpr_workgroup_info 0
		.amdhsa_system_vgpr_workitem_id 0
		.amdhsa_next_free_vgpr 1
		.amdhsa_next_free_sgpr 0
		.amdhsa_accum_offset 4
		.amdhsa_reserve_vcc 0
		.amdhsa_float_round_mode_32 0
		.amdhsa_float_round_mode_16_64 0
		.amdhsa_float_denorm_mode_32 3
		.amdhsa_float_denorm_mode_16_64 3
		.amdhsa_dx10_clamp 1
		.amdhsa_ieee_mode 1
		.amdhsa_fp16_overflow 0
		.amdhsa_tg_split 0
		.amdhsa_exception_fp_ieee_invalid_op 0
		.amdhsa_exception_fp_denorm_src 0
		.amdhsa_exception_fp_ieee_div_zero 0
		.amdhsa_exception_fp_ieee_overflow 0
		.amdhsa_exception_fp_ieee_underflow 0
		.amdhsa_exception_fp_ieee_inexact 0
		.amdhsa_exception_int_div_zero 0
	.end_amdhsa_kernel
	.section	.text._ZN7rocprim17ROCPRIM_400000_NS6detail17trampoline_kernelINS0_14default_configENS1_27scan_by_key_config_selectorIiiEEZZNS1_16scan_by_key_implILNS1_25lookback_scan_determinismE0ELb0ES3_PKiN6hipcub16HIPCUB_304000_NS21ConstantInputIteratorIilEEPiiNSB_3SumENSB_8EqualityEiEE10hipError_tPvRmT2_T3_T4_T5_mT6_T7_P12ihipStream_tbENKUlT_T0_E_clISt17integral_constantIbLb1EESX_EEDaSS_ST_EUlSS_E_NS1_11comp_targetILNS1_3genE4ELNS1_11target_archE910ELNS1_3gpuE8ELNS1_3repE0EEENS1_30default_config_static_selectorELNS0_4arch9wavefront6targetE1EEEvT1_,"axG",@progbits,_ZN7rocprim17ROCPRIM_400000_NS6detail17trampoline_kernelINS0_14default_configENS1_27scan_by_key_config_selectorIiiEEZZNS1_16scan_by_key_implILNS1_25lookback_scan_determinismE0ELb0ES3_PKiN6hipcub16HIPCUB_304000_NS21ConstantInputIteratorIilEEPiiNSB_3SumENSB_8EqualityEiEE10hipError_tPvRmT2_T3_T4_T5_mT6_T7_P12ihipStream_tbENKUlT_T0_E_clISt17integral_constantIbLb1EESX_EEDaSS_ST_EUlSS_E_NS1_11comp_targetILNS1_3genE4ELNS1_11target_archE910ELNS1_3gpuE8ELNS1_3repE0EEENS1_30default_config_static_selectorELNS0_4arch9wavefront6targetE1EEEvT1_,comdat
.Lfunc_end24:
	.size	_ZN7rocprim17ROCPRIM_400000_NS6detail17trampoline_kernelINS0_14default_configENS1_27scan_by_key_config_selectorIiiEEZZNS1_16scan_by_key_implILNS1_25lookback_scan_determinismE0ELb0ES3_PKiN6hipcub16HIPCUB_304000_NS21ConstantInputIteratorIilEEPiiNSB_3SumENSB_8EqualityEiEE10hipError_tPvRmT2_T3_T4_T5_mT6_T7_P12ihipStream_tbENKUlT_T0_E_clISt17integral_constantIbLb1EESX_EEDaSS_ST_EUlSS_E_NS1_11comp_targetILNS1_3genE4ELNS1_11target_archE910ELNS1_3gpuE8ELNS1_3repE0EEENS1_30default_config_static_selectorELNS0_4arch9wavefront6targetE1EEEvT1_, .Lfunc_end24-_ZN7rocprim17ROCPRIM_400000_NS6detail17trampoline_kernelINS0_14default_configENS1_27scan_by_key_config_selectorIiiEEZZNS1_16scan_by_key_implILNS1_25lookback_scan_determinismE0ELb0ES3_PKiN6hipcub16HIPCUB_304000_NS21ConstantInputIteratorIilEEPiiNSB_3SumENSB_8EqualityEiEE10hipError_tPvRmT2_T3_T4_T5_mT6_T7_P12ihipStream_tbENKUlT_T0_E_clISt17integral_constantIbLb1EESX_EEDaSS_ST_EUlSS_E_NS1_11comp_targetILNS1_3genE4ELNS1_11target_archE910ELNS1_3gpuE8ELNS1_3repE0EEENS1_30default_config_static_selectorELNS0_4arch9wavefront6targetE1EEEvT1_
                                        ; -- End function
	.section	.AMDGPU.csdata,"",@progbits
; Kernel info:
; codeLenInByte = 0
; NumSgprs: 6
; NumVgprs: 0
; NumAgprs: 0
; TotalNumVgprs: 0
; ScratchSize: 0
; MemoryBound: 0
; FloatMode: 240
; IeeeMode: 1
; LDSByteSize: 0 bytes/workgroup (compile time only)
; SGPRBlocks: 0
; VGPRBlocks: 0
; NumSGPRsForWavesPerEU: 6
; NumVGPRsForWavesPerEU: 1
; AccumOffset: 4
; Occupancy: 8
; WaveLimiterHint : 0
; COMPUTE_PGM_RSRC2:SCRATCH_EN: 0
; COMPUTE_PGM_RSRC2:USER_SGPR: 2
; COMPUTE_PGM_RSRC2:TRAP_HANDLER: 0
; COMPUTE_PGM_RSRC2:TGID_X_EN: 1
; COMPUTE_PGM_RSRC2:TGID_Y_EN: 0
; COMPUTE_PGM_RSRC2:TGID_Z_EN: 0
; COMPUTE_PGM_RSRC2:TIDIG_COMP_CNT: 0
; COMPUTE_PGM_RSRC3_GFX90A:ACCUM_OFFSET: 0
; COMPUTE_PGM_RSRC3_GFX90A:TG_SPLIT: 0
	.section	.text._ZN7rocprim17ROCPRIM_400000_NS6detail17trampoline_kernelINS0_14default_configENS1_27scan_by_key_config_selectorIiiEEZZNS1_16scan_by_key_implILNS1_25lookback_scan_determinismE0ELb0ES3_PKiN6hipcub16HIPCUB_304000_NS21ConstantInputIteratorIilEEPiiNSB_3SumENSB_8EqualityEiEE10hipError_tPvRmT2_T3_T4_T5_mT6_T7_P12ihipStream_tbENKUlT_T0_E_clISt17integral_constantIbLb1EESX_EEDaSS_ST_EUlSS_E_NS1_11comp_targetILNS1_3genE3ELNS1_11target_archE908ELNS1_3gpuE7ELNS1_3repE0EEENS1_30default_config_static_selectorELNS0_4arch9wavefront6targetE1EEEvT1_,"axG",@progbits,_ZN7rocprim17ROCPRIM_400000_NS6detail17trampoline_kernelINS0_14default_configENS1_27scan_by_key_config_selectorIiiEEZZNS1_16scan_by_key_implILNS1_25lookback_scan_determinismE0ELb0ES3_PKiN6hipcub16HIPCUB_304000_NS21ConstantInputIteratorIilEEPiiNSB_3SumENSB_8EqualityEiEE10hipError_tPvRmT2_T3_T4_T5_mT6_T7_P12ihipStream_tbENKUlT_T0_E_clISt17integral_constantIbLb1EESX_EEDaSS_ST_EUlSS_E_NS1_11comp_targetILNS1_3genE3ELNS1_11target_archE908ELNS1_3gpuE7ELNS1_3repE0EEENS1_30default_config_static_selectorELNS0_4arch9wavefront6targetE1EEEvT1_,comdat
	.protected	_ZN7rocprim17ROCPRIM_400000_NS6detail17trampoline_kernelINS0_14default_configENS1_27scan_by_key_config_selectorIiiEEZZNS1_16scan_by_key_implILNS1_25lookback_scan_determinismE0ELb0ES3_PKiN6hipcub16HIPCUB_304000_NS21ConstantInputIteratorIilEEPiiNSB_3SumENSB_8EqualityEiEE10hipError_tPvRmT2_T3_T4_T5_mT6_T7_P12ihipStream_tbENKUlT_T0_E_clISt17integral_constantIbLb1EESX_EEDaSS_ST_EUlSS_E_NS1_11comp_targetILNS1_3genE3ELNS1_11target_archE908ELNS1_3gpuE7ELNS1_3repE0EEENS1_30default_config_static_selectorELNS0_4arch9wavefront6targetE1EEEvT1_ ; -- Begin function _ZN7rocprim17ROCPRIM_400000_NS6detail17trampoline_kernelINS0_14default_configENS1_27scan_by_key_config_selectorIiiEEZZNS1_16scan_by_key_implILNS1_25lookback_scan_determinismE0ELb0ES3_PKiN6hipcub16HIPCUB_304000_NS21ConstantInputIteratorIilEEPiiNSB_3SumENSB_8EqualityEiEE10hipError_tPvRmT2_T3_T4_T5_mT6_T7_P12ihipStream_tbENKUlT_T0_E_clISt17integral_constantIbLb1EESX_EEDaSS_ST_EUlSS_E_NS1_11comp_targetILNS1_3genE3ELNS1_11target_archE908ELNS1_3gpuE7ELNS1_3repE0EEENS1_30default_config_static_selectorELNS0_4arch9wavefront6targetE1EEEvT1_
	.globl	_ZN7rocprim17ROCPRIM_400000_NS6detail17trampoline_kernelINS0_14default_configENS1_27scan_by_key_config_selectorIiiEEZZNS1_16scan_by_key_implILNS1_25lookback_scan_determinismE0ELb0ES3_PKiN6hipcub16HIPCUB_304000_NS21ConstantInputIteratorIilEEPiiNSB_3SumENSB_8EqualityEiEE10hipError_tPvRmT2_T3_T4_T5_mT6_T7_P12ihipStream_tbENKUlT_T0_E_clISt17integral_constantIbLb1EESX_EEDaSS_ST_EUlSS_E_NS1_11comp_targetILNS1_3genE3ELNS1_11target_archE908ELNS1_3gpuE7ELNS1_3repE0EEENS1_30default_config_static_selectorELNS0_4arch9wavefront6targetE1EEEvT1_
	.p2align	8
	.type	_ZN7rocprim17ROCPRIM_400000_NS6detail17trampoline_kernelINS0_14default_configENS1_27scan_by_key_config_selectorIiiEEZZNS1_16scan_by_key_implILNS1_25lookback_scan_determinismE0ELb0ES3_PKiN6hipcub16HIPCUB_304000_NS21ConstantInputIteratorIilEEPiiNSB_3SumENSB_8EqualityEiEE10hipError_tPvRmT2_T3_T4_T5_mT6_T7_P12ihipStream_tbENKUlT_T0_E_clISt17integral_constantIbLb1EESX_EEDaSS_ST_EUlSS_E_NS1_11comp_targetILNS1_3genE3ELNS1_11target_archE908ELNS1_3gpuE7ELNS1_3repE0EEENS1_30default_config_static_selectorELNS0_4arch9wavefront6targetE1EEEvT1_,@function
_ZN7rocprim17ROCPRIM_400000_NS6detail17trampoline_kernelINS0_14default_configENS1_27scan_by_key_config_selectorIiiEEZZNS1_16scan_by_key_implILNS1_25lookback_scan_determinismE0ELb0ES3_PKiN6hipcub16HIPCUB_304000_NS21ConstantInputIteratorIilEEPiiNSB_3SumENSB_8EqualityEiEE10hipError_tPvRmT2_T3_T4_T5_mT6_T7_P12ihipStream_tbENKUlT_T0_E_clISt17integral_constantIbLb1EESX_EEDaSS_ST_EUlSS_E_NS1_11comp_targetILNS1_3genE3ELNS1_11target_archE908ELNS1_3gpuE7ELNS1_3repE0EEENS1_30default_config_static_selectorELNS0_4arch9wavefront6targetE1EEEvT1_: ; @_ZN7rocprim17ROCPRIM_400000_NS6detail17trampoline_kernelINS0_14default_configENS1_27scan_by_key_config_selectorIiiEEZZNS1_16scan_by_key_implILNS1_25lookback_scan_determinismE0ELb0ES3_PKiN6hipcub16HIPCUB_304000_NS21ConstantInputIteratorIilEEPiiNSB_3SumENSB_8EqualityEiEE10hipError_tPvRmT2_T3_T4_T5_mT6_T7_P12ihipStream_tbENKUlT_T0_E_clISt17integral_constantIbLb1EESX_EEDaSS_ST_EUlSS_E_NS1_11comp_targetILNS1_3genE3ELNS1_11target_archE908ELNS1_3gpuE7ELNS1_3repE0EEENS1_30default_config_static_selectorELNS0_4arch9wavefront6targetE1EEEvT1_
; %bb.0:
	.section	.rodata,"a",@progbits
	.p2align	6, 0x0
	.amdhsa_kernel _ZN7rocprim17ROCPRIM_400000_NS6detail17trampoline_kernelINS0_14default_configENS1_27scan_by_key_config_selectorIiiEEZZNS1_16scan_by_key_implILNS1_25lookback_scan_determinismE0ELb0ES3_PKiN6hipcub16HIPCUB_304000_NS21ConstantInputIteratorIilEEPiiNSB_3SumENSB_8EqualityEiEE10hipError_tPvRmT2_T3_T4_T5_mT6_T7_P12ihipStream_tbENKUlT_T0_E_clISt17integral_constantIbLb1EESX_EEDaSS_ST_EUlSS_E_NS1_11comp_targetILNS1_3genE3ELNS1_11target_archE908ELNS1_3gpuE7ELNS1_3repE0EEENS1_30default_config_static_selectorELNS0_4arch9wavefront6targetE1EEEvT1_
		.amdhsa_group_segment_fixed_size 0
		.amdhsa_private_segment_fixed_size 0
		.amdhsa_kernarg_size 120
		.amdhsa_user_sgpr_count 2
		.amdhsa_user_sgpr_dispatch_ptr 0
		.amdhsa_user_sgpr_queue_ptr 0
		.amdhsa_user_sgpr_kernarg_segment_ptr 1
		.amdhsa_user_sgpr_dispatch_id 0
		.amdhsa_user_sgpr_kernarg_preload_length 0
		.amdhsa_user_sgpr_kernarg_preload_offset 0
		.amdhsa_user_sgpr_private_segment_size 0
		.amdhsa_uses_dynamic_stack 0
		.amdhsa_enable_private_segment 0
		.amdhsa_system_sgpr_workgroup_id_x 1
		.amdhsa_system_sgpr_workgroup_id_y 0
		.amdhsa_system_sgpr_workgroup_id_z 0
		.amdhsa_system_sgpr_workgroup_info 0
		.amdhsa_system_vgpr_workitem_id 0
		.amdhsa_next_free_vgpr 1
		.amdhsa_next_free_sgpr 0
		.amdhsa_accum_offset 4
		.amdhsa_reserve_vcc 0
		.amdhsa_float_round_mode_32 0
		.amdhsa_float_round_mode_16_64 0
		.amdhsa_float_denorm_mode_32 3
		.amdhsa_float_denorm_mode_16_64 3
		.amdhsa_dx10_clamp 1
		.amdhsa_ieee_mode 1
		.amdhsa_fp16_overflow 0
		.amdhsa_tg_split 0
		.amdhsa_exception_fp_ieee_invalid_op 0
		.amdhsa_exception_fp_denorm_src 0
		.amdhsa_exception_fp_ieee_div_zero 0
		.amdhsa_exception_fp_ieee_overflow 0
		.amdhsa_exception_fp_ieee_underflow 0
		.amdhsa_exception_fp_ieee_inexact 0
		.amdhsa_exception_int_div_zero 0
	.end_amdhsa_kernel
	.section	.text._ZN7rocprim17ROCPRIM_400000_NS6detail17trampoline_kernelINS0_14default_configENS1_27scan_by_key_config_selectorIiiEEZZNS1_16scan_by_key_implILNS1_25lookback_scan_determinismE0ELb0ES3_PKiN6hipcub16HIPCUB_304000_NS21ConstantInputIteratorIilEEPiiNSB_3SumENSB_8EqualityEiEE10hipError_tPvRmT2_T3_T4_T5_mT6_T7_P12ihipStream_tbENKUlT_T0_E_clISt17integral_constantIbLb1EESX_EEDaSS_ST_EUlSS_E_NS1_11comp_targetILNS1_3genE3ELNS1_11target_archE908ELNS1_3gpuE7ELNS1_3repE0EEENS1_30default_config_static_selectorELNS0_4arch9wavefront6targetE1EEEvT1_,"axG",@progbits,_ZN7rocprim17ROCPRIM_400000_NS6detail17trampoline_kernelINS0_14default_configENS1_27scan_by_key_config_selectorIiiEEZZNS1_16scan_by_key_implILNS1_25lookback_scan_determinismE0ELb0ES3_PKiN6hipcub16HIPCUB_304000_NS21ConstantInputIteratorIilEEPiiNSB_3SumENSB_8EqualityEiEE10hipError_tPvRmT2_T3_T4_T5_mT6_T7_P12ihipStream_tbENKUlT_T0_E_clISt17integral_constantIbLb1EESX_EEDaSS_ST_EUlSS_E_NS1_11comp_targetILNS1_3genE3ELNS1_11target_archE908ELNS1_3gpuE7ELNS1_3repE0EEENS1_30default_config_static_selectorELNS0_4arch9wavefront6targetE1EEEvT1_,comdat
.Lfunc_end25:
	.size	_ZN7rocprim17ROCPRIM_400000_NS6detail17trampoline_kernelINS0_14default_configENS1_27scan_by_key_config_selectorIiiEEZZNS1_16scan_by_key_implILNS1_25lookback_scan_determinismE0ELb0ES3_PKiN6hipcub16HIPCUB_304000_NS21ConstantInputIteratorIilEEPiiNSB_3SumENSB_8EqualityEiEE10hipError_tPvRmT2_T3_T4_T5_mT6_T7_P12ihipStream_tbENKUlT_T0_E_clISt17integral_constantIbLb1EESX_EEDaSS_ST_EUlSS_E_NS1_11comp_targetILNS1_3genE3ELNS1_11target_archE908ELNS1_3gpuE7ELNS1_3repE0EEENS1_30default_config_static_selectorELNS0_4arch9wavefront6targetE1EEEvT1_, .Lfunc_end25-_ZN7rocprim17ROCPRIM_400000_NS6detail17trampoline_kernelINS0_14default_configENS1_27scan_by_key_config_selectorIiiEEZZNS1_16scan_by_key_implILNS1_25lookback_scan_determinismE0ELb0ES3_PKiN6hipcub16HIPCUB_304000_NS21ConstantInputIteratorIilEEPiiNSB_3SumENSB_8EqualityEiEE10hipError_tPvRmT2_T3_T4_T5_mT6_T7_P12ihipStream_tbENKUlT_T0_E_clISt17integral_constantIbLb1EESX_EEDaSS_ST_EUlSS_E_NS1_11comp_targetILNS1_3genE3ELNS1_11target_archE908ELNS1_3gpuE7ELNS1_3repE0EEENS1_30default_config_static_selectorELNS0_4arch9wavefront6targetE1EEEvT1_
                                        ; -- End function
	.section	.AMDGPU.csdata,"",@progbits
; Kernel info:
; codeLenInByte = 0
; NumSgprs: 6
; NumVgprs: 0
; NumAgprs: 0
; TotalNumVgprs: 0
; ScratchSize: 0
; MemoryBound: 0
; FloatMode: 240
; IeeeMode: 1
; LDSByteSize: 0 bytes/workgroup (compile time only)
; SGPRBlocks: 0
; VGPRBlocks: 0
; NumSGPRsForWavesPerEU: 6
; NumVGPRsForWavesPerEU: 1
; AccumOffset: 4
; Occupancy: 8
; WaveLimiterHint : 0
; COMPUTE_PGM_RSRC2:SCRATCH_EN: 0
; COMPUTE_PGM_RSRC2:USER_SGPR: 2
; COMPUTE_PGM_RSRC2:TRAP_HANDLER: 0
; COMPUTE_PGM_RSRC2:TGID_X_EN: 1
; COMPUTE_PGM_RSRC2:TGID_Y_EN: 0
; COMPUTE_PGM_RSRC2:TGID_Z_EN: 0
; COMPUTE_PGM_RSRC2:TIDIG_COMP_CNT: 0
; COMPUTE_PGM_RSRC3_GFX90A:ACCUM_OFFSET: 0
; COMPUTE_PGM_RSRC3_GFX90A:TG_SPLIT: 0
	.section	.text._ZN7rocprim17ROCPRIM_400000_NS6detail17trampoline_kernelINS0_14default_configENS1_27scan_by_key_config_selectorIiiEEZZNS1_16scan_by_key_implILNS1_25lookback_scan_determinismE0ELb0ES3_PKiN6hipcub16HIPCUB_304000_NS21ConstantInputIteratorIilEEPiiNSB_3SumENSB_8EqualityEiEE10hipError_tPvRmT2_T3_T4_T5_mT6_T7_P12ihipStream_tbENKUlT_T0_E_clISt17integral_constantIbLb1EESX_EEDaSS_ST_EUlSS_E_NS1_11comp_targetILNS1_3genE2ELNS1_11target_archE906ELNS1_3gpuE6ELNS1_3repE0EEENS1_30default_config_static_selectorELNS0_4arch9wavefront6targetE1EEEvT1_,"axG",@progbits,_ZN7rocprim17ROCPRIM_400000_NS6detail17trampoline_kernelINS0_14default_configENS1_27scan_by_key_config_selectorIiiEEZZNS1_16scan_by_key_implILNS1_25lookback_scan_determinismE0ELb0ES3_PKiN6hipcub16HIPCUB_304000_NS21ConstantInputIteratorIilEEPiiNSB_3SumENSB_8EqualityEiEE10hipError_tPvRmT2_T3_T4_T5_mT6_T7_P12ihipStream_tbENKUlT_T0_E_clISt17integral_constantIbLb1EESX_EEDaSS_ST_EUlSS_E_NS1_11comp_targetILNS1_3genE2ELNS1_11target_archE906ELNS1_3gpuE6ELNS1_3repE0EEENS1_30default_config_static_selectorELNS0_4arch9wavefront6targetE1EEEvT1_,comdat
	.protected	_ZN7rocprim17ROCPRIM_400000_NS6detail17trampoline_kernelINS0_14default_configENS1_27scan_by_key_config_selectorIiiEEZZNS1_16scan_by_key_implILNS1_25lookback_scan_determinismE0ELb0ES3_PKiN6hipcub16HIPCUB_304000_NS21ConstantInputIteratorIilEEPiiNSB_3SumENSB_8EqualityEiEE10hipError_tPvRmT2_T3_T4_T5_mT6_T7_P12ihipStream_tbENKUlT_T0_E_clISt17integral_constantIbLb1EESX_EEDaSS_ST_EUlSS_E_NS1_11comp_targetILNS1_3genE2ELNS1_11target_archE906ELNS1_3gpuE6ELNS1_3repE0EEENS1_30default_config_static_selectorELNS0_4arch9wavefront6targetE1EEEvT1_ ; -- Begin function _ZN7rocprim17ROCPRIM_400000_NS6detail17trampoline_kernelINS0_14default_configENS1_27scan_by_key_config_selectorIiiEEZZNS1_16scan_by_key_implILNS1_25lookback_scan_determinismE0ELb0ES3_PKiN6hipcub16HIPCUB_304000_NS21ConstantInputIteratorIilEEPiiNSB_3SumENSB_8EqualityEiEE10hipError_tPvRmT2_T3_T4_T5_mT6_T7_P12ihipStream_tbENKUlT_T0_E_clISt17integral_constantIbLb1EESX_EEDaSS_ST_EUlSS_E_NS1_11comp_targetILNS1_3genE2ELNS1_11target_archE906ELNS1_3gpuE6ELNS1_3repE0EEENS1_30default_config_static_selectorELNS0_4arch9wavefront6targetE1EEEvT1_
	.globl	_ZN7rocprim17ROCPRIM_400000_NS6detail17trampoline_kernelINS0_14default_configENS1_27scan_by_key_config_selectorIiiEEZZNS1_16scan_by_key_implILNS1_25lookback_scan_determinismE0ELb0ES3_PKiN6hipcub16HIPCUB_304000_NS21ConstantInputIteratorIilEEPiiNSB_3SumENSB_8EqualityEiEE10hipError_tPvRmT2_T3_T4_T5_mT6_T7_P12ihipStream_tbENKUlT_T0_E_clISt17integral_constantIbLb1EESX_EEDaSS_ST_EUlSS_E_NS1_11comp_targetILNS1_3genE2ELNS1_11target_archE906ELNS1_3gpuE6ELNS1_3repE0EEENS1_30default_config_static_selectorELNS0_4arch9wavefront6targetE1EEEvT1_
	.p2align	8
	.type	_ZN7rocprim17ROCPRIM_400000_NS6detail17trampoline_kernelINS0_14default_configENS1_27scan_by_key_config_selectorIiiEEZZNS1_16scan_by_key_implILNS1_25lookback_scan_determinismE0ELb0ES3_PKiN6hipcub16HIPCUB_304000_NS21ConstantInputIteratorIilEEPiiNSB_3SumENSB_8EqualityEiEE10hipError_tPvRmT2_T3_T4_T5_mT6_T7_P12ihipStream_tbENKUlT_T0_E_clISt17integral_constantIbLb1EESX_EEDaSS_ST_EUlSS_E_NS1_11comp_targetILNS1_3genE2ELNS1_11target_archE906ELNS1_3gpuE6ELNS1_3repE0EEENS1_30default_config_static_selectorELNS0_4arch9wavefront6targetE1EEEvT1_,@function
_ZN7rocprim17ROCPRIM_400000_NS6detail17trampoline_kernelINS0_14default_configENS1_27scan_by_key_config_selectorIiiEEZZNS1_16scan_by_key_implILNS1_25lookback_scan_determinismE0ELb0ES3_PKiN6hipcub16HIPCUB_304000_NS21ConstantInputIteratorIilEEPiiNSB_3SumENSB_8EqualityEiEE10hipError_tPvRmT2_T3_T4_T5_mT6_T7_P12ihipStream_tbENKUlT_T0_E_clISt17integral_constantIbLb1EESX_EEDaSS_ST_EUlSS_E_NS1_11comp_targetILNS1_3genE2ELNS1_11target_archE906ELNS1_3gpuE6ELNS1_3repE0EEENS1_30default_config_static_selectorELNS0_4arch9wavefront6targetE1EEEvT1_: ; @_ZN7rocprim17ROCPRIM_400000_NS6detail17trampoline_kernelINS0_14default_configENS1_27scan_by_key_config_selectorIiiEEZZNS1_16scan_by_key_implILNS1_25lookback_scan_determinismE0ELb0ES3_PKiN6hipcub16HIPCUB_304000_NS21ConstantInputIteratorIilEEPiiNSB_3SumENSB_8EqualityEiEE10hipError_tPvRmT2_T3_T4_T5_mT6_T7_P12ihipStream_tbENKUlT_T0_E_clISt17integral_constantIbLb1EESX_EEDaSS_ST_EUlSS_E_NS1_11comp_targetILNS1_3genE2ELNS1_11target_archE906ELNS1_3gpuE6ELNS1_3repE0EEENS1_30default_config_static_selectorELNS0_4arch9wavefront6targetE1EEEvT1_
; %bb.0:
	.section	.rodata,"a",@progbits
	.p2align	6, 0x0
	.amdhsa_kernel _ZN7rocprim17ROCPRIM_400000_NS6detail17trampoline_kernelINS0_14default_configENS1_27scan_by_key_config_selectorIiiEEZZNS1_16scan_by_key_implILNS1_25lookback_scan_determinismE0ELb0ES3_PKiN6hipcub16HIPCUB_304000_NS21ConstantInputIteratorIilEEPiiNSB_3SumENSB_8EqualityEiEE10hipError_tPvRmT2_T3_T4_T5_mT6_T7_P12ihipStream_tbENKUlT_T0_E_clISt17integral_constantIbLb1EESX_EEDaSS_ST_EUlSS_E_NS1_11comp_targetILNS1_3genE2ELNS1_11target_archE906ELNS1_3gpuE6ELNS1_3repE0EEENS1_30default_config_static_selectorELNS0_4arch9wavefront6targetE1EEEvT1_
		.amdhsa_group_segment_fixed_size 0
		.amdhsa_private_segment_fixed_size 0
		.amdhsa_kernarg_size 120
		.amdhsa_user_sgpr_count 2
		.amdhsa_user_sgpr_dispatch_ptr 0
		.amdhsa_user_sgpr_queue_ptr 0
		.amdhsa_user_sgpr_kernarg_segment_ptr 1
		.amdhsa_user_sgpr_dispatch_id 0
		.amdhsa_user_sgpr_kernarg_preload_length 0
		.amdhsa_user_sgpr_kernarg_preload_offset 0
		.amdhsa_user_sgpr_private_segment_size 0
		.amdhsa_uses_dynamic_stack 0
		.amdhsa_enable_private_segment 0
		.amdhsa_system_sgpr_workgroup_id_x 1
		.amdhsa_system_sgpr_workgroup_id_y 0
		.amdhsa_system_sgpr_workgroup_id_z 0
		.amdhsa_system_sgpr_workgroup_info 0
		.amdhsa_system_vgpr_workitem_id 0
		.amdhsa_next_free_vgpr 1
		.amdhsa_next_free_sgpr 0
		.amdhsa_accum_offset 4
		.amdhsa_reserve_vcc 0
		.amdhsa_float_round_mode_32 0
		.amdhsa_float_round_mode_16_64 0
		.amdhsa_float_denorm_mode_32 3
		.amdhsa_float_denorm_mode_16_64 3
		.amdhsa_dx10_clamp 1
		.amdhsa_ieee_mode 1
		.amdhsa_fp16_overflow 0
		.amdhsa_tg_split 0
		.amdhsa_exception_fp_ieee_invalid_op 0
		.amdhsa_exception_fp_denorm_src 0
		.amdhsa_exception_fp_ieee_div_zero 0
		.amdhsa_exception_fp_ieee_overflow 0
		.amdhsa_exception_fp_ieee_underflow 0
		.amdhsa_exception_fp_ieee_inexact 0
		.amdhsa_exception_int_div_zero 0
	.end_amdhsa_kernel
	.section	.text._ZN7rocprim17ROCPRIM_400000_NS6detail17trampoline_kernelINS0_14default_configENS1_27scan_by_key_config_selectorIiiEEZZNS1_16scan_by_key_implILNS1_25lookback_scan_determinismE0ELb0ES3_PKiN6hipcub16HIPCUB_304000_NS21ConstantInputIteratorIilEEPiiNSB_3SumENSB_8EqualityEiEE10hipError_tPvRmT2_T3_T4_T5_mT6_T7_P12ihipStream_tbENKUlT_T0_E_clISt17integral_constantIbLb1EESX_EEDaSS_ST_EUlSS_E_NS1_11comp_targetILNS1_3genE2ELNS1_11target_archE906ELNS1_3gpuE6ELNS1_3repE0EEENS1_30default_config_static_selectorELNS0_4arch9wavefront6targetE1EEEvT1_,"axG",@progbits,_ZN7rocprim17ROCPRIM_400000_NS6detail17trampoline_kernelINS0_14default_configENS1_27scan_by_key_config_selectorIiiEEZZNS1_16scan_by_key_implILNS1_25lookback_scan_determinismE0ELb0ES3_PKiN6hipcub16HIPCUB_304000_NS21ConstantInputIteratorIilEEPiiNSB_3SumENSB_8EqualityEiEE10hipError_tPvRmT2_T3_T4_T5_mT6_T7_P12ihipStream_tbENKUlT_T0_E_clISt17integral_constantIbLb1EESX_EEDaSS_ST_EUlSS_E_NS1_11comp_targetILNS1_3genE2ELNS1_11target_archE906ELNS1_3gpuE6ELNS1_3repE0EEENS1_30default_config_static_selectorELNS0_4arch9wavefront6targetE1EEEvT1_,comdat
.Lfunc_end26:
	.size	_ZN7rocprim17ROCPRIM_400000_NS6detail17trampoline_kernelINS0_14default_configENS1_27scan_by_key_config_selectorIiiEEZZNS1_16scan_by_key_implILNS1_25lookback_scan_determinismE0ELb0ES3_PKiN6hipcub16HIPCUB_304000_NS21ConstantInputIteratorIilEEPiiNSB_3SumENSB_8EqualityEiEE10hipError_tPvRmT2_T3_T4_T5_mT6_T7_P12ihipStream_tbENKUlT_T0_E_clISt17integral_constantIbLb1EESX_EEDaSS_ST_EUlSS_E_NS1_11comp_targetILNS1_3genE2ELNS1_11target_archE906ELNS1_3gpuE6ELNS1_3repE0EEENS1_30default_config_static_selectorELNS0_4arch9wavefront6targetE1EEEvT1_, .Lfunc_end26-_ZN7rocprim17ROCPRIM_400000_NS6detail17trampoline_kernelINS0_14default_configENS1_27scan_by_key_config_selectorIiiEEZZNS1_16scan_by_key_implILNS1_25lookback_scan_determinismE0ELb0ES3_PKiN6hipcub16HIPCUB_304000_NS21ConstantInputIteratorIilEEPiiNSB_3SumENSB_8EqualityEiEE10hipError_tPvRmT2_T3_T4_T5_mT6_T7_P12ihipStream_tbENKUlT_T0_E_clISt17integral_constantIbLb1EESX_EEDaSS_ST_EUlSS_E_NS1_11comp_targetILNS1_3genE2ELNS1_11target_archE906ELNS1_3gpuE6ELNS1_3repE0EEENS1_30default_config_static_selectorELNS0_4arch9wavefront6targetE1EEEvT1_
                                        ; -- End function
	.section	.AMDGPU.csdata,"",@progbits
; Kernel info:
; codeLenInByte = 0
; NumSgprs: 6
; NumVgprs: 0
; NumAgprs: 0
; TotalNumVgprs: 0
; ScratchSize: 0
; MemoryBound: 0
; FloatMode: 240
; IeeeMode: 1
; LDSByteSize: 0 bytes/workgroup (compile time only)
; SGPRBlocks: 0
; VGPRBlocks: 0
; NumSGPRsForWavesPerEU: 6
; NumVGPRsForWavesPerEU: 1
; AccumOffset: 4
; Occupancy: 8
; WaveLimiterHint : 0
; COMPUTE_PGM_RSRC2:SCRATCH_EN: 0
; COMPUTE_PGM_RSRC2:USER_SGPR: 2
; COMPUTE_PGM_RSRC2:TRAP_HANDLER: 0
; COMPUTE_PGM_RSRC2:TGID_X_EN: 1
; COMPUTE_PGM_RSRC2:TGID_Y_EN: 0
; COMPUTE_PGM_RSRC2:TGID_Z_EN: 0
; COMPUTE_PGM_RSRC2:TIDIG_COMP_CNT: 0
; COMPUTE_PGM_RSRC3_GFX90A:ACCUM_OFFSET: 0
; COMPUTE_PGM_RSRC3_GFX90A:TG_SPLIT: 0
	.section	.text._ZN7rocprim17ROCPRIM_400000_NS6detail17trampoline_kernelINS0_14default_configENS1_27scan_by_key_config_selectorIiiEEZZNS1_16scan_by_key_implILNS1_25lookback_scan_determinismE0ELb0ES3_PKiN6hipcub16HIPCUB_304000_NS21ConstantInputIteratorIilEEPiiNSB_3SumENSB_8EqualityEiEE10hipError_tPvRmT2_T3_T4_T5_mT6_T7_P12ihipStream_tbENKUlT_T0_E_clISt17integral_constantIbLb1EESX_EEDaSS_ST_EUlSS_E_NS1_11comp_targetILNS1_3genE10ELNS1_11target_archE1200ELNS1_3gpuE4ELNS1_3repE0EEENS1_30default_config_static_selectorELNS0_4arch9wavefront6targetE1EEEvT1_,"axG",@progbits,_ZN7rocprim17ROCPRIM_400000_NS6detail17trampoline_kernelINS0_14default_configENS1_27scan_by_key_config_selectorIiiEEZZNS1_16scan_by_key_implILNS1_25lookback_scan_determinismE0ELb0ES3_PKiN6hipcub16HIPCUB_304000_NS21ConstantInputIteratorIilEEPiiNSB_3SumENSB_8EqualityEiEE10hipError_tPvRmT2_T3_T4_T5_mT6_T7_P12ihipStream_tbENKUlT_T0_E_clISt17integral_constantIbLb1EESX_EEDaSS_ST_EUlSS_E_NS1_11comp_targetILNS1_3genE10ELNS1_11target_archE1200ELNS1_3gpuE4ELNS1_3repE0EEENS1_30default_config_static_selectorELNS0_4arch9wavefront6targetE1EEEvT1_,comdat
	.protected	_ZN7rocprim17ROCPRIM_400000_NS6detail17trampoline_kernelINS0_14default_configENS1_27scan_by_key_config_selectorIiiEEZZNS1_16scan_by_key_implILNS1_25lookback_scan_determinismE0ELb0ES3_PKiN6hipcub16HIPCUB_304000_NS21ConstantInputIteratorIilEEPiiNSB_3SumENSB_8EqualityEiEE10hipError_tPvRmT2_T3_T4_T5_mT6_T7_P12ihipStream_tbENKUlT_T0_E_clISt17integral_constantIbLb1EESX_EEDaSS_ST_EUlSS_E_NS1_11comp_targetILNS1_3genE10ELNS1_11target_archE1200ELNS1_3gpuE4ELNS1_3repE0EEENS1_30default_config_static_selectorELNS0_4arch9wavefront6targetE1EEEvT1_ ; -- Begin function _ZN7rocprim17ROCPRIM_400000_NS6detail17trampoline_kernelINS0_14default_configENS1_27scan_by_key_config_selectorIiiEEZZNS1_16scan_by_key_implILNS1_25lookback_scan_determinismE0ELb0ES3_PKiN6hipcub16HIPCUB_304000_NS21ConstantInputIteratorIilEEPiiNSB_3SumENSB_8EqualityEiEE10hipError_tPvRmT2_T3_T4_T5_mT6_T7_P12ihipStream_tbENKUlT_T0_E_clISt17integral_constantIbLb1EESX_EEDaSS_ST_EUlSS_E_NS1_11comp_targetILNS1_3genE10ELNS1_11target_archE1200ELNS1_3gpuE4ELNS1_3repE0EEENS1_30default_config_static_selectorELNS0_4arch9wavefront6targetE1EEEvT1_
	.globl	_ZN7rocprim17ROCPRIM_400000_NS6detail17trampoline_kernelINS0_14default_configENS1_27scan_by_key_config_selectorIiiEEZZNS1_16scan_by_key_implILNS1_25lookback_scan_determinismE0ELb0ES3_PKiN6hipcub16HIPCUB_304000_NS21ConstantInputIteratorIilEEPiiNSB_3SumENSB_8EqualityEiEE10hipError_tPvRmT2_T3_T4_T5_mT6_T7_P12ihipStream_tbENKUlT_T0_E_clISt17integral_constantIbLb1EESX_EEDaSS_ST_EUlSS_E_NS1_11comp_targetILNS1_3genE10ELNS1_11target_archE1200ELNS1_3gpuE4ELNS1_3repE0EEENS1_30default_config_static_selectorELNS0_4arch9wavefront6targetE1EEEvT1_
	.p2align	8
	.type	_ZN7rocprim17ROCPRIM_400000_NS6detail17trampoline_kernelINS0_14default_configENS1_27scan_by_key_config_selectorIiiEEZZNS1_16scan_by_key_implILNS1_25lookback_scan_determinismE0ELb0ES3_PKiN6hipcub16HIPCUB_304000_NS21ConstantInputIteratorIilEEPiiNSB_3SumENSB_8EqualityEiEE10hipError_tPvRmT2_T3_T4_T5_mT6_T7_P12ihipStream_tbENKUlT_T0_E_clISt17integral_constantIbLb1EESX_EEDaSS_ST_EUlSS_E_NS1_11comp_targetILNS1_3genE10ELNS1_11target_archE1200ELNS1_3gpuE4ELNS1_3repE0EEENS1_30default_config_static_selectorELNS0_4arch9wavefront6targetE1EEEvT1_,@function
_ZN7rocprim17ROCPRIM_400000_NS6detail17trampoline_kernelINS0_14default_configENS1_27scan_by_key_config_selectorIiiEEZZNS1_16scan_by_key_implILNS1_25lookback_scan_determinismE0ELb0ES3_PKiN6hipcub16HIPCUB_304000_NS21ConstantInputIteratorIilEEPiiNSB_3SumENSB_8EqualityEiEE10hipError_tPvRmT2_T3_T4_T5_mT6_T7_P12ihipStream_tbENKUlT_T0_E_clISt17integral_constantIbLb1EESX_EEDaSS_ST_EUlSS_E_NS1_11comp_targetILNS1_3genE10ELNS1_11target_archE1200ELNS1_3gpuE4ELNS1_3repE0EEENS1_30default_config_static_selectorELNS0_4arch9wavefront6targetE1EEEvT1_: ; @_ZN7rocprim17ROCPRIM_400000_NS6detail17trampoline_kernelINS0_14default_configENS1_27scan_by_key_config_selectorIiiEEZZNS1_16scan_by_key_implILNS1_25lookback_scan_determinismE0ELb0ES3_PKiN6hipcub16HIPCUB_304000_NS21ConstantInputIteratorIilEEPiiNSB_3SumENSB_8EqualityEiEE10hipError_tPvRmT2_T3_T4_T5_mT6_T7_P12ihipStream_tbENKUlT_T0_E_clISt17integral_constantIbLb1EESX_EEDaSS_ST_EUlSS_E_NS1_11comp_targetILNS1_3genE10ELNS1_11target_archE1200ELNS1_3gpuE4ELNS1_3repE0EEENS1_30default_config_static_selectorELNS0_4arch9wavefront6targetE1EEEvT1_
; %bb.0:
	.section	.rodata,"a",@progbits
	.p2align	6, 0x0
	.amdhsa_kernel _ZN7rocprim17ROCPRIM_400000_NS6detail17trampoline_kernelINS0_14default_configENS1_27scan_by_key_config_selectorIiiEEZZNS1_16scan_by_key_implILNS1_25lookback_scan_determinismE0ELb0ES3_PKiN6hipcub16HIPCUB_304000_NS21ConstantInputIteratorIilEEPiiNSB_3SumENSB_8EqualityEiEE10hipError_tPvRmT2_T3_T4_T5_mT6_T7_P12ihipStream_tbENKUlT_T0_E_clISt17integral_constantIbLb1EESX_EEDaSS_ST_EUlSS_E_NS1_11comp_targetILNS1_3genE10ELNS1_11target_archE1200ELNS1_3gpuE4ELNS1_3repE0EEENS1_30default_config_static_selectorELNS0_4arch9wavefront6targetE1EEEvT1_
		.amdhsa_group_segment_fixed_size 0
		.amdhsa_private_segment_fixed_size 0
		.amdhsa_kernarg_size 120
		.amdhsa_user_sgpr_count 2
		.amdhsa_user_sgpr_dispatch_ptr 0
		.amdhsa_user_sgpr_queue_ptr 0
		.amdhsa_user_sgpr_kernarg_segment_ptr 1
		.amdhsa_user_sgpr_dispatch_id 0
		.amdhsa_user_sgpr_kernarg_preload_length 0
		.amdhsa_user_sgpr_kernarg_preload_offset 0
		.amdhsa_user_sgpr_private_segment_size 0
		.amdhsa_uses_dynamic_stack 0
		.amdhsa_enable_private_segment 0
		.amdhsa_system_sgpr_workgroup_id_x 1
		.amdhsa_system_sgpr_workgroup_id_y 0
		.amdhsa_system_sgpr_workgroup_id_z 0
		.amdhsa_system_sgpr_workgroup_info 0
		.amdhsa_system_vgpr_workitem_id 0
		.amdhsa_next_free_vgpr 1
		.amdhsa_next_free_sgpr 0
		.amdhsa_accum_offset 4
		.amdhsa_reserve_vcc 0
		.amdhsa_float_round_mode_32 0
		.amdhsa_float_round_mode_16_64 0
		.amdhsa_float_denorm_mode_32 3
		.amdhsa_float_denorm_mode_16_64 3
		.amdhsa_dx10_clamp 1
		.amdhsa_ieee_mode 1
		.amdhsa_fp16_overflow 0
		.amdhsa_tg_split 0
		.amdhsa_exception_fp_ieee_invalid_op 0
		.amdhsa_exception_fp_denorm_src 0
		.amdhsa_exception_fp_ieee_div_zero 0
		.amdhsa_exception_fp_ieee_overflow 0
		.amdhsa_exception_fp_ieee_underflow 0
		.amdhsa_exception_fp_ieee_inexact 0
		.amdhsa_exception_int_div_zero 0
	.end_amdhsa_kernel
	.section	.text._ZN7rocprim17ROCPRIM_400000_NS6detail17trampoline_kernelINS0_14default_configENS1_27scan_by_key_config_selectorIiiEEZZNS1_16scan_by_key_implILNS1_25lookback_scan_determinismE0ELb0ES3_PKiN6hipcub16HIPCUB_304000_NS21ConstantInputIteratorIilEEPiiNSB_3SumENSB_8EqualityEiEE10hipError_tPvRmT2_T3_T4_T5_mT6_T7_P12ihipStream_tbENKUlT_T0_E_clISt17integral_constantIbLb1EESX_EEDaSS_ST_EUlSS_E_NS1_11comp_targetILNS1_3genE10ELNS1_11target_archE1200ELNS1_3gpuE4ELNS1_3repE0EEENS1_30default_config_static_selectorELNS0_4arch9wavefront6targetE1EEEvT1_,"axG",@progbits,_ZN7rocprim17ROCPRIM_400000_NS6detail17trampoline_kernelINS0_14default_configENS1_27scan_by_key_config_selectorIiiEEZZNS1_16scan_by_key_implILNS1_25lookback_scan_determinismE0ELb0ES3_PKiN6hipcub16HIPCUB_304000_NS21ConstantInputIteratorIilEEPiiNSB_3SumENSB_8EqualityEiEE10hipError_tPvRmT2_T3_T4_T5_mT6_T7_P12ihipStream_tbENKUlT_T0_E_clISt17integral_constantIbLb1EESX_EEDaSS_ST_EUlSS_E_NS1_11comp_targetILNS1_3genE10ELNS1_11target_archE1200ELNS1_3gpuE4ELNS1_3repE0EEENS1_30default_config_static_selectorELNS0_4arch9wavefront6targetE1EEEvT1_,comdat
.Lfunc_end27:
	.size	_ZN7rocprim17ROCPRIM_400000_NS6detail17trampoline_kernelINS0_14default_configENS1_27scan_by_key_config_selectorIiiEEZZNS1_16scan_by_key_implILNS1_25lookback_scan_determinismE0ELb0ES3_PKiN6hipcub16HIPCUB_304000_NS21ConstantInputIteratorIilEEPiiNSB_3SumENSB_8EqualityEiEE10hipError_tPvRmT2_T3_T4_T5_mT6_T7_P12ihipStream_tbENKUlT_T0_E_clISt17integral_constantIbLb1EESX_EEDaSS_ST_EUlSS_E_NS1_11comp_targetILNS1_3genE10ELNS1_11target_archE1200ELNS1_3gpuE4ELNS1_3repE0EEENS1_30default_config_static_selectorELNS0_4arch9wavefront6targetE1EEEvT1_, .Lfunc_end27-_ZN7rocprim17ROCPRIM_400000_NS6detail17trampoline_kernelINS0_14default_configENS1_27scan_by_key_config_selectorIiiEEZZNS1_16scan_by_key_implILNS1_25lookback_scan_determinismE0ELb0ES3_PKiN6hipcub16HIPCUB_304000_NS21ConstantInputIteratorIilEEPiiNSB_3SumENSB_8EqualityEiEE10hipError_tPvRmT2_T3_T4_T5_mT6_T7_P12ihipStream_tbENKUlT_T0_E_clISt17integral_constantIbLb1EESX_EEDaSS_ST_EUlSS_E_NS1_11comp_targetILNS1_3genE10ELNS1_11target_archE1200ELNS1_3gpuE4ELNS1_3repE0EEENS1_30default_config_static_selectorELNS0_4arch9wavefront6targetE1EEEvT1_
                                        ; -- End function
	.section	.AMDGPU.csdata,"",@progbits
; Kernel info:
; codeLenInByte = 0
; NumSgprs: 6
; NumVgprs: 0
; NumAgprs: 0
; TotalNumVgprs: 0
; ScratchSize: 0
; MemoryBound: 0
; FloatMode: 240
; IeeeMode: 1
; LDSByteSize: 0 bytes/workgroup (compile time only)
; SGPRBlocks: 0
; VGPRBlocks: 0
; NumSGPRsForWavesPerEU: 6
; NumVGPRsForWavesPerEU: 1
; AccumOffset: 4
; Occupancy: 8
; WaveLimiterHint : 0
; COMPUTE_PGM_RSRC2:SCRATCH_EN: 0
; COMPUTE_PGM_RSRC2:USER_SGPR: 2
; COMPUTE_PGM_RSRC2:TRAP_HANDLER: 0
; COMPUTE_PGM_RSRC2:TGID_X_EN: 1
; COMPUTE_PGM_RSRC2:TGID_Y_EN: 0
; COMPUTE_PGM_RSRC2:TGID_Z_EN: 0
; COMPUTE_PGM_RSRC2:TIDIG_COMP_CNT: 0
; COMPUTE_PGM_RSRC3_GFX90A:ACCUM_OFFSET: 0
; COMPUTE_PGM_RSRC3_GFX90A:TG_SPLIT: 0
	.section	.text._ZN7rocprim17ROCPRIM_400000_NS6detail17trampoline_kernelINS0_14default_configENS1_27scan_by_key_config_selectorIiiEEZZNS1_16scan_by_key_implILNS1_25lookback_scan_determinismE0ELb0ES3_PKiN6hipcub16HIPCUB_304000_NS21ConstantInputIteratorIilEEPiiNSB_3SumENSB_8EqualityEiEE10hipError_tPvRmT2_T3_T4_T5_mT6_T7_P12ihipStream_tbENKUlT_T0_E_clISt17integral_constantIbLb1EESX_EEDaSS_ST_EUlSS_E_NS1_11comp_targetILNS1_3genE9ELNS1_11target_archE1100ELNS1_3gpuE3ELNS1_3repE0EEENS1_30default_config_static_selectorELNS0_4arch9wavefront6targetE1EEEvT1_,"axG",@progbits,_ZN7rocprim17ROCPRIM_400000_NS6detail17trampoline_kernelINS0_14default_configENS1_27scan_by_key_config_selectorIiiEEZZNS1_16scan_by_key_implILNS1_25lookback_scan_determinismE0ELb0ES3_PKiN6hipcub16HIPCUB_304000_NS21ConstantInputIteratorIilEEPiiNSB_3SumENSB_8EqualityEiEE10hipError_tPvRmT2_T3_T4_T5_mT6_T7_P12ihipStream_tbENKUlT_T0_E_clISt17integral_constantIbLb1EESX_EEDaSS_ST_EUlSS_E_NS1_11comp_targetILNS1_3genE9ELNS1_11target_archE1100ELNS1_3gpuE3ELNS1_3repE0EEENS1_30default_config_static_selectorELNS0_4arch9wavefront6targetE1EEEvT1_,comdat
	.protected	_ZN7rocprim17ROCPRIM_400000_NS6detail17trampoline_kernelINS0_14default_configENS1_27scan_by_key_config_selectorIiiEEZZNS1_16scan_by_key_implILNS1_25lookback_scan_determinismE0ELb0ES3_PKiN6hipcub16HIPCUB_304000_NS21ConstantInputIteratorIilEEPiiNSB_3SumENSB_8EqualityEiEE10hipError_tPvRmT2_T3_T4_T5_mT6_T7_P12ihipStream_tbENKUlT_T0_E_clISt17integral_constantIbLb1EESX_EEDaSS_ST_EUlSS_E_NS1_11comp_targetILNS1_3genE9ELNS1_11target_archE1100ELNS1_3gpuE3ELNS1_3repE0EEENS1_30default_config_static_selectorELNS0_4arch9wavefront6targetE1EEEvT1_ ; -- Begin function _ZN7rocprim17ROCPRIM_400000_NS6detail17trampoline_kernelINS0_14default_configENS1_27scan_by_key_config_selectorIiiEEZZNS1_16scan_by_key_implILNS1_25lookback_scan_determinismE0ELb0ES3_PKiN6hipcub16HIPCUB_304000_NS21ConstantInputIteratorIilEEPiiNSB_3SumENSB_8EqualityEiEE10hipError_tPvRmT2_T3_T4_T5_mT6_T7_P12ihipStream_tbENKUlT_T0_E_clISt17integral_constantIbLb1EESX_EEDaSS_ST_EUlSS_E_NS1_11comp_targetILNS1_3genE9ELNS1_11target_archE1100ELNS1_3gpuE3ELNS1_3repE0EEENS1_30default_config_static_selectorELNS0_4arch9wavefront6targetE1EEEvT1_
	.globl	_ZN7rocprim17ROCPRIM_400000_NS6detail17trampoline_kernelINS0_14default_configENS1_27scan_by_key_config_selectorIiiEEZZNS1_16scan_by_key_implILNS1_25lookback_scan_determinismE0ELb0ES3_PKiN6hipcub16HIPCUB_304000_NS21ConstantInputIteratorIilEEPiiNSB_3SumENSB_8EqualityEiEE10hipError_tPvRmT2_T3_T4_T5_mT6_T7_P12ihipStream_tbENKUlT_T0_E_clISt17integral_constantIbLb1EESX_EEDaSS_ST_EUlSS_E_NS1_11comp_targetILNS1_3genE9ELNS1_11target_archE1100ELNS1_3gpuE3ELNS1_3repE0EEENS1_30default_config_static_selectorELNS0_4arch9wavefront6targetE1EEEvT1_
	.p2align	8
	.type	_ZN7rocprim17ROCPRIM_400000_NS6detail17trampoline_kernelINS0_14default_configENS1_27scan_by_key_config_selectorIiiEEZZNS1_16scan_by_key_implILNS1_25lookback_scan_determinismE0ELb0ES3_PKiN6hipcub16HIPCUB_304000_NS21ConstantInputIteratorIilEEPiiNSB_3SumENSB_8EqualityEiEE10hipError_tPvRmT2_T3_T4_T5_mT6_T7_P12ihipStream_tbENKUlT_T0_E_clISt17integral_constantIbLb1EESX_EEDaSS_ST_EUlSS_E_NS1_11comp_targetILNS1_3genE9ELNS1_11target_archE1100ELNS1_3gpuE3ELNS1_3repE0EEENS1_30default_config_static_selectorELNS0_4arch9wavefront6targetE1EEEvT1_,@function
_ZN7rocprim17ROCPRIM_400000_NS6detail17trampoline_kernelINS0_14default_configENS1_27scan_by_key_config_selectorIiiEEZZNS1_16scan_by_key_implILNS1_25lookback_scan_determinismE0ELb0ES3_PKiN6hipcub16HIPCUB_304000_NS21ConstantInputIteratorIilEEPiiNSB_3SumENSB_8EqualityEiEE10hipError_tPvRmT2_T3_T4_T5_mT6_T7_P12ihipStream_tbENKUlT_T0_E_clISt17integral_constantIbLb1EESX_EEDaSS_ST_EUlSS_E_NS1_11comp_targetILNS1_3genE9ELNS1_11target_archE1100ELNS1_3gpuE3ELNS1_3repE0EEENS1_30default_config_static_selectorELNS0_4arch9wavefront6targetE1EEEvT1_: ; @_ZN7rocprim17ROCPRIM_400000_NS6detail17trampoline_kernelINS0_14default_configENS1_27scan_by_key_config_selectorIiiEEZZNS1_16scan_by_key_implILNS1_25lookback_scan_determinismE0ELb0ES3_PKiN6hipcub16HIPCUB_304000_NS21ConstantInputIteratorIilEEPiiNSB_3SumENSB_8EqualityEiEE10hipError_tPvRmT2_T3_T4_T5_mT6_T7_P12ihipStream_tbENKUlT_T0_E_clISt17integral_constantIbLb1EESX_EEDaSS_ST_EUlSS_E_NS1_11comp_targetILNS1_3genE9ELNS1_11target_archE1100ELNS1_3gpuE3ELNS1_3repE0EEENS1_30default_config_static_selectorELNS0_4arch9wavefront6targetE1EEEvT1_
; %bb.0:
	.section	.rodata,"a",@progbits
	.p2align	6, 0x0
	.amdhsa_kernel _ZN7rocprim17ROCPRIM_400000_NS6detail17trampoline_kernelINS0_14default_configENS1_27scan_by_key_config_selectorIiiEEZZNS1_16scan_by_key_implILNS1_25lookback_scan_determinismE0ELb0ES3_PKiN6hipcub16HIPCUB_304000_NS21ConstantInputIteratorIilEEPiiNSB_3SumENSB_8EqualityEiEE10hipError_tPvRmT2_T3_T4_T5_mT6_T7_P12ihipStream_tbENKUlT_T0_E_clISt17integral_constantIbLb1EESX_EEDaSS_ST_EUlSS_E_NS1_11comp_targetILNS1_3genE9ELNS1_11target_archE1100ELNS1_3gpuE3ELNS1_3repE0EEENS1_30default_config_static_selectorELNS0_4arch9wavefront6targetE1EEEvT1_
		.amdhsa_group_segment_fixed_size 0
		.amdhsa_private_segment_fixed_size 0
		.amdhsa_kernarg_size 120
		.amdhsa_user_sgpr_count 2
		.amdhsa_user_sgpr_dispatch_ptr 0
		.amdhsa_user_sgpr_queue_ptr 0
		.amdhsa_user_sgpr_kernarg_segment_ptr 1
		.amdhsa_user_sgpr_dispatch_id 0
		.amdhsa_user_sgpr_kernarg_preload_length 0
		.amdhsa_user_sgpr_kernarg_preload_offset 0
		.amdhsa_user_sgpr_private_segment_size 0
		.amdhsa_uses_dynamic_stack 0
		.amdhsa_enable_private_segment 0
		.amdhsa_system_sgpr_workgroup_id_x 1
		.amdhsa_system_sgpr_workgroup_id_y 0
		.amdhsa_system_sgpr_workgroup_id_z 0
		.amdhsa_system_sgpr_workgroup_info 0
		.amdhsa_system_vgpr_workitem_id 0
		.amdhsa_next_free_vgpr 1
		.amdhsa_next_free_sgpr 0
		.amdhsa_accum_offset 4
		.amdhsa_reserve_vcc 0
		.amdhsa_float_round_mode_32 0
		.amdhsa_float_round_mode_16_64 0
		.amdhsa_float_denorm_mode_32 3
		.amdhsa_float_denorm_mode_16_64 3
		.amdhsa_dx10_clamp 1
		.amdhsa_ieee_mode 1
		.amdhsa_fp16_overflow 0
		.amdhsa_tg_split 0
		.amdhsa_exception_fp_ieee_invalid_op 0
		.amdhsa_exception_fp_denorm_src 0
		.amdhsa_exception_fp_ieee_div_zero 0
		.amdhsa_exception_fp_ieee_overflow 0
		.amdhsa_exception_fp_ieee_underflow 0
		.amdhsa_exception_fp_ieee_inexact 0
		.amdhsa_exception_int_div_zero 0
	.end_amdhsa_kernel
	.section	.text._ZN7rocprim17ROCPRIM_400000_NS6detail17trampoline_kernelINS0_14default_configENS1_27scan_by_key_config_selectorIiiEEZZNS1_16scan_by_key_implILNS1_25lookback_scan_determinismE0ELb0ES3_PKiN6hipcub16HIPCUB_304000_NS21ConstantInputIteratorIilEEPiiNSB_3SumENSB_8EqualityEiEE10hipError_tPvRmT2_T3_T4_T5_mT6_T7_P12ihipStream_tbENKUlT_T0_E_clISt17integral_constantIbLb1EESX_EEDaSS_ST_EUlSS_E_NS1_11comp_targetILNS1_3genE9ELNS1_11target_archE1100ELNS1_3gpuE3ELNS1_3repE0EEENS1_30default_config_static_selectorELNS0_4arch9wavefront6targetE1EEEvT1_,"axG",@progbits,_ZN7rocprim17ROCPRIM_400000_NS6detail17trampoline_kernelINS0_14default_configENS1_27scan_by_key_config_selectorIiiEEZZNS1_16scan_by_key_implILNS1_25lookback_scan_determinismE0ELb0ES3_PKiN6hipcub16HIPCUB_304000_NS21ConstantInputIteratorIilEEPiiNSB_3SumENSB_8EqualityEiEE10hipError_tPvRmT2_T3_T4_T5_mT6_T7_P12ihipStream_tbENKUlT_T0_E_clISt17integral_constantIbLb1EESX_EEDaSS_ST_EUlSS_E_NS1_11comp_targetILNS1_3genE9ELNS1_11target_archE1100ELNS1_3gpuE3ELNS1_3repE0EEENS1_30default_config_static_selectorELNS0_4arch9wavefront6targetE1EEEvT1_,comdat
.Lfunc_end28:
	.size	_ZN7rocprim17ROCPRIM_400000_NS6detail17trampoline_kernelINS0_14default_configENS1_27scan_by_key_config_selectorIiiEEZZNS1_16scan_by_key_implILNS1_25lookback_scan_determinismE0ELb0ES3_PKiN6hipcub16HIPCUB_304000_NS21ConstantInputIteratorIilEEPiiNSB_3SumENSB_8EqualityEiEE10hipError_tPvRmT2_T3_T4_T5_mT6_T7_P12ihipStream_tbENKUlT_T0_E_clISt17integral_constantIbLb1EESX_EEDaSS_ST_EUlSS_E_NS1_11comp_targetILNS1_3genE9ELNS1_11target_archE1100ELNS1_3gpuE3ELNS1_3repE0EEENS1_30default_config_static_selectorELNS0_4arch9wavefront6targetE1EEEvT1_, .Lfunc_end28-_ZN7rocprim17ROCPRIM_400000_NS6detail17trampoline_kernelINS0_14default_configENS1_27scan_by_key_config_selectorIiiEEZZNS1_16scan_by_key_implILNS1_25lookback_scan_determinismE0ELb0ES3_PKiN6hipcub16HIPCUB_304000_NS21ConstantInputIteratorIilEEPiiNSB_3SumENSB_8EqualityEiEE10hipError_tPvRmT2_T3_T4_T5_mT6_T7_P12ihipStream_tbENKUlT_T0_E_clISt17integral_constantIbLb1EESX_EEDaSS_ST_EUlSS_E_NS1_11comp_targetILNS1_3genE9ELNS1_11target_archE1100ELNS1_3gpuE3ELNS1_3repE0EEENS1_30default_config_static_selectorELNS0_4arch9wavefront6targetE1EEEvT1_
                                        ; -- End function
	.section	.AMDGPU.csdata,"",@progbits
; Kernel info:
; codeLenInByte = 0
; NumSgprs: 6
; NumVgprs: 0
; NumAgprs: 0
; TotalNumVgprs: 0
; ScratchSize: 0
; MemoryBound: 0
; FloatMode: 240
; IeeeMode: 1
; LDSByteSize: 0 bytes/workgroup (compile time only)
; SGPRBlocks: 0
; VGPRBlocks: 0
; NumSGPRsForWavesPerEU: 6
; NumVGPRsForWavesPerEU: 1
; AccumOffset: 4
; Occupancy: 8
; WaveLimiterHint : 0
; COMPUTE_PGM_RSRC2:SCRATCH_EN: 0
; COMPUTE_PGM_RSRC2:USER_SGPR: 2
; COMPUTE_PGM_RSRC2:TRAP_HANDLER: 0
; COMPUTE_PGM_RSRC2:TGID_X_EN: 1
; COMPUTE_PGM_RSRC2:TGID_Y_EN: 0
; COMPUTE_PGM_RSRC2:TGID_Z_EN: 0
; COMPUTE_PGM_RSRC2:TIDIG_COMP_CNT: 0
; COMPUTE_PGM_RSRC3_GFX90A:ACCUM_OFFSET: 0
; COMPUTE_PGM_RSRC3_GFX90A:TG_SPLIT: 0
	.section	.text._ZN7rocprim17ROCPRIM_400000_NS6detail17trampoline_kernelINS0_14default_configENS1_27scan_by_key_config_selectorIiiEEZZNS1_16scan_by_key_implILNS1_25lookback_scan_determinismE0ELb0ES3_PKiN6hipcub16HIPCUB_304000_NS21ConstantInputIteratorIilEEPiiNSB_3SumENSB_8EqualityEiEE10hipError_tPvRmT2_T3_T4_T5_mT6_T7_P12ihipStream_tbENKUlT_T0_E_clISt17integral_constantIbLb1EESX_EEDaSS_ST_EUlSS_E_NS1_11comp_targetILNS1_3genE8ELNS1_11target_archE1030ELNS1_3gpuE2ELNS1_3repE0EEENS1_30default_config_static_selectorELNS0_4arch9wavefront6targetE1EEEvT1_,"axG",@progbits,_ZN7rocprim17ROCPRIM_400000_NS6detail17trampoline_kernelINS0_14default_configENS1_27scan_by_key_config_selectorIiiEEZZNS1_16scan_by_key_implILNS1_25lookback_scan_determinismE0ELb0ES3_PKiN6hipcub16HIPCUB_304000_NS21ConstantInputIteratorIilEEPiiNSB_3SumENSB_8EqualityEiEE10hipError_tPvRmT2_T3_T4_T5_mT6_T7_P12ihipStream_tbENKUlT_T0_E_clISt17integral_constantIbLb1EESX_EEDaSS_ST_EUlSS_E_NS1_11comp_targetILNS1_3genE8ELNS1_11target_archE1030ELNS1_3gpuE2ELNS1_3repE0EEENS1_30default_config_static_selectorELNS0_4arch9wavefront6targetE1EEEvT1_,comdat
	.protected	_ZN7rocprim17ROCPRIM_400000_NS6detail17trampoline_kernelINS0_14default_configENS1_27scan_by_key_config_selectorIiiEEZZNS1_16scan_by_key_implILNS1_25lookback_scan_determinismE0ELb0ES3_PKiN6hipcub16HIPCUB_304000_NS21ConstantInputIteratorIilEEPiiNSB_3SumENSB_8EqualityEiEE10hipError_tPvRmT2_T3_T4_T5_mT6_T7_P12ihipStream_tbENKUlT_T0_E_clISt17integral_constantIbLb1EESX_EEDaSS_ST_EUlSS_E_NS1_11comp_targetILNS1_3genE8ELNS1_11target_archE1030ELNS1_3gpuE2ELNS1_3repE0EEENS1_30default_config_static_selectorELNS0_4arch9wavefront6targetE1EEEvT1_ ; -- Begin function _ZN7rocprim17ROCPRIM_400000_NS6detail17trampoline_kernelINS0_14default_configENS1_27scan_by_key_config_selectorIiiEEZZNS1_16scan_by_key_implILNS1_25lookback_scan_determinismE0ELb0ES3_PKiN6hipcub16HIPCUB_304000_NS21ConstantInputIteratorIilEEPiiNSB_3SumENSB_8EqualityEiEE10hipError_tPvRmT2_T3_T4_T5_mT6_T7_P12ihipStream_tbENKUlT_T0_E_clISt17integral_constantIbLb1EESX_EEDaSS_ST_EUlSS_E_NS1_11comp_targetILNS1_3genE8ELNS1_11target_archE1030ELNS1_3gpuE2ELNS1_3repE0EEENS1_30default_config_static_selectorELNS0_4arch9wavefront6targetE1EEEvT1_
	.globl	_ZN7rocprim17ROCPRIM_400000_NS6detail17trampoline_kernelINS0_14default_configENS1_27scan_by_key_config_selectorIiiEEZZNS1_16scan_by_key_implILNS1_25lookback_scan_determinismE0ELb0ES3_PKiN6hipcub16HIPCUB_304000_NS21ConstantInputIteratorIilEEPiiNSB_3SumENSB_8EqualityEiEE10hipError_tPvRmT2_T3_T4_T5_mT6_T7_P12ihipStream_tbENKUlT_T0_E_clISt17integral_constantIbLb1EESX_EEDaSS_ST_EUlSS_E_NS1_11comp_targetILNS1_3genE8ELNS1_11target_archE1030ELNS1_3gpuE2ELNS1_3repE0EEENS1_30default_config_static_selectorELNS0_4arch9wavefront6targetE1EEEvT1_
	.p2align	8
	.type	_ZN7rocprim17ROCPRIM_400000_NS6detail17trampoline_kernelINS0_14default_configENS1_27scan_by_key_config_selectorIiiEEZZNS1_16scan_by_key_implILNS1_25lookback_scan_determinismE0ELb0ES3_PKiN6hipcub16HIPCUB_304000_NS21ConstantInputIteratorIilEEPiiNSB_3SumENSB_8EqualityEiEE10hipError_tPvRmT2_T3_T4_T5_mT6_T7_P12ihipStream_tbENKUlT_T0_E_clISt17integral_constantIbLb1EESX_EEDaSS_ST_EUlSS_E_NS1_11comp_targetILNS1_3genE8ELNS1_11target_archE1030ELNS1_3gpuE2ELNS1_3repE0EEENS1_30default_config_static_selectorELNS0_4arch9wavefront6targetE1EEEvT1_,@function
_ZN7rocprim17ROCPRIM_400000_NS6detail17trampoline_kernelINS0_14default_configENS1_27scan_by_key_config_selectorIiiEEZZNS1_16scan_by_key_implILNS1_25lookback_scan_determinismE0ELb0ES3_PKiN6hipcub16HIPCUB_304000_NS21ConstantInputIteratorIilEEPiiNSB_3SumENSB_8EqualityEiEE10hipError_tPvRmT2_T3_T4_T5_mT6_T7_P12ihipStream_tbENKUlT_T0_E_clISt17integral_constantIbLb1EESX_EEDaSS_ST_EUlSS_E_NS1_11comp_targetILNS1_3genE8ELNS1_11target_archE1030ELNS1_3gpuE2ELNS1_3repE0EEENS1_30default_config_static_selectorELNS0_4arch9wavefront6targetE1EEEvT1_: ; @_ZN7rocprim17ROCPRIM_400000_NS6detail17trampoline_kernelINS0_14default_configENS1_27scan_by_key_config_selectorIiiEEZZNS1_16scan_by_key_implILNS1_25lookback_scan_determinismE0ELb0ES3_PKiN6hipcub16HIPCUB_304000_NS21ConstantInputIteratorIilEEPiiNSB_3SumENSB_8EqualityEiEE10hipError_tPvRmT2_T3_T4_T5_mT6_T7_P12ihipStream_tbENKUlT_T0_E_clISt17integral_constantIbLb1EESX_EEDaSS_ST_EUlSS_E_NS1_11comp_targetILNS1_3genE8ELNS1_11target_archE1030ELNS1_3gpuE2ELNS1_3repE0EEENS1_30default_config_static_selectorELNS0_4arch9wavefront6targetE1EEEvT1_
; %bb.0:
	.section	.rodata,"a",@progbits
	.p2align	6, 0x0
	.amdhsa_kernel _ZN7rocprim17ROCPRIM_400000_NS6detail17trampoline_kernelINS0_14default_configENS1_27scan_by_key_config_selectorIiiEEZZNS1_16scan_by_key_implILNS1_25lookback_scan_determinismE0ELb0ES3_PKiN6hipcub16HIPCUB_304000_NS21ConstantInputIteratorIilEEPiiNSB_3SumENSB_8EqualityEiEE10hipError_tPvRmT2_T3_T4_T5_mT6_T7_P12ihipStream_tbENKUlT_T0_E_clISt17integral_constantIbLb1EESX_EEDaSS_ST_EUlSS_E_NS1_11comp_targetILNS1_3genE8ELNS1_11target_archE1030ELNS1_3gpuE2ELNS1_3repE0EEENS1_30default_config_static_selectorELNS0_4arch9wavefront6targetE1EEEvT1_
		.amdhsa_group_segment_fixed_size 0
		.amdhsa_private_segment_fixed_size 0
		.amdhsa_kernarg_size 120
		.amdhsa_user_sgpr_count 2
		.amdhsa_user_sgpr_dispatch_ptr 0
		.amdhsa_user_sgpr_queue_ptr 0
		.amdhsa_user_sgpr_kernarg_segment_ptr 1
		.amdhsa_user_sgpr_dispatch_id 0
		.amdhsa_user_sgpr_kernarg_preload_length 0
		.amdhsa_user_sgpr_kernarg_preload_offset 0
		.amdhsa_user_sgpr_private_segment_size 0
		.amdhsa_uses_dynamic_stack 0
		.amdhsa_enable_private_segment 0
		.amdhsa_system_sgpr_workgroup_id_x 1
		.amdhsa_system_sgpr_workgroup_id_y 0
		.amdhsa_system_sgpr_workgroup_id_z 0
		.amdhsa_system_sgpr_workgroup_info 0
		.amdhsa_system_vgpr_workitem_id 0
		.amdhsa_next_free_vgpr 1
		.amdhsa_next_free_sgpr 0
		.amdhsa_accum_offset 4
		.amdhsa_reserve_vcc 0
		.amdhsa_float_round_mode_32 0
		.amdhsa_float_round_mode_16_64 0
		.amdhsa_float_denorm_mode_32 3
		.amdhsa_float_denorm_mode_16_64 3
		.amdhsa_dx10_clamp 1
		.amdhsa_ieee_mode 1
		.amdhsa_fp16_overflow 0
		.amdhsa_tg_split 0
		.amdhsa_exception_fp_ieee_invalid_op 0
		.amdhsa_exception_fp_denorm_src 0
		.amdhsa_exception_fp_ieee_div_zero 0
		.amdhsa_exception_fp_ieee_overflow 0
		.amdhsa_exception_fp_ieee_underflow 0
		.amdhsa_exception_fp_ieee_inexact 0
		.amdhsa_exception_int_div_zero 0
	.end_amdhsa_kernel
	.section	.text._ZN7rocprim17ROCPRIM_400000_NS6detail17trampoline_kernelINS0_14default_configENS1_27scan_by_key_config_selectorIiiEEZZNS1_16scan_by_key_implILNS1_25lookback_scan_determinismE0ELb0ES3_PKiN6hipcub16HIPCUB_304000_NS21ConstantInputIteratorIilEEPiiNSB_3SumENSB_8EqualityEiEE10hipError_tPvRmT2_T3_T4_T5_mT6_T7_P12ihipStream_tbENKUlT_T0_E_clISt17integral_constantIbLb1EESX_EEDaSS_ST_EUlSS_E_NS1_11comp_targetILNS1_3genE8ELNS1_11target_archE1030ELNS1_3gpuE2ELNS1_3repE0EEENS1_30default_config_static_selectorELNS0_4arch9wavefront6targetE1EEEvT1_,"axG",@progbits,_ZN7rocprim17ROCPRIM_400000_NS6detail17trampoline_kernelINS0_14default_configENS1_27scan_by_key_config_selectorIiiEEZZNS1_16scan_by_key_implILNS1_25lookback_scan_determinismE0ELb0ES3_PKiN6hipcub16HIPCUB_304000_NS21ConstantInputIteratorIilEEPiiNSB_3SumENSB_8EqualityEiEE10hipError_tPvRmT2_T3_T4_T5_mT6_T7_P12ihipStream_tbENKUlT_T0_E_clISt17integral_constantIbLb1EESX_EEDaSS_ST_EUlSS_E_NS1_11comp_targetILNS1_3genE8ELNS1_11target_archE1030ELNS1_3gpuE2ELNS1_3repE0EEENS1_30default_config_static_selectorELNS0_4arch9wavefront6targetE1EEEvT1_,comdat
.Lfunc_end29:
	.size	_ZN7rocprim17ROCPRIM_400000_NS6detail17trampoline_kernelINS0_14default_configENS1_27scan_by_key_config_selectorIiiEEZZNS1_16scan_by_key_implILNS1_25lookback_scan_determinismE0ELb0ES3_PKiN6hipcub16HIPCUB_304000_NS21ConstantInputIteratorIilEEPiiNSB_3SumENSB_8EqualityEiEE10hipError_tPvRmT2_T3_T4_T5_mT6_T7_P12ihipStream_tbENKUlT_T0_E_clISt17integral_constantIbLb1EESX_EEDaSS_ST_EUlSS_E_NS1_11comp_targetILNS1_3genE8ELNS1_11target_archE1030ELNS1_3gpuE2ELNS1_3repE0EEENS1_30default_config_static_selectorELNS0_4arch9wavefront6targetE1EEEvT1_, .Lfunc_end29-_ZN7rocprim17ROCPRIM_400000_NS6detail17trampoline_kernelINS0_14default_configENS1_27scan_by_key_config_selectorIiiEEZZNS1_16scan_by_key_implILNS1_25lookback_scan_determinismE0ELb0ES3_PKiN6hipcub16HIPCUB_304000_NS21ConstantInputIteratorIilEEPiiNSB_3SumENSB_8EqualityEiEE10hipError_tPvRmT2_T3_T4_T5_mT6_T7_P12ihipStream_tbENKUlT_T0_E_clISt17integral_constantIbLb1EESX_EEDaSS_ST_EUlSS_E_NS1_11comp_targetILNS1_3genE8ELNS1_11target_archE1030ELNS1_3gpuE2ELNS1_3repE0EEENS1_30default_config_static_selectorELNS0_4arch9wavefront6targetE1EEEvT1_
                                        ; -- End function
	.section	.AMDGPU.csdata,"",@progbits
; Kernel info:
; codeLenInByte = 0
; NumSgprs: 6
; NumVgprs: 0
; NumAgprs: 0
; TotalNumVgprs: 0
; ScratchSize: 0
; MemoryBound: 0
; FloatMode: 240
; IeeeMode: 1
; LDSByteSize: 0 bytes/workgroup (compile time only)
; SGPRBlocks: 0
; VGPRBlocks: 0
; NumSGPRsForWavesPerEU: 6
; NumVGPRsForWavesPerEU: 1
; AccumOffset: 4
; Occupancy: 8
; WaveLimiterHint : 0
; COMPUTE_PGM_RSRC2:SCRATCH_EN: 0
; COMPUTE_PGM_RSRC2:USER_SGPR: 2
; COMPUTE_PGM_RSRC2:TRAP_HANDLER: 0
; COMPUTE_PGM_RSRC2:TGID_X_EN: 1
; COMPUTE_PGM_RSRC2:TGID_Y_EN: 0
; COMPUTE_PGM_RSRC2:TGID_Z_EN: 0
; COMPUTE_PGM_RSRC2:TIDIG_COMP_CNT: 0
; COMPUTE_PGM_RSRC3_GFX90A:ACCUM_OFFSET: 0
; COMPUTE_PGM_RSRC3_GFX90A:TG_SPLIT: 0
	.section	.text._ZN7rocprim17ROCPRIM_400000_NS6detail30init_device_scan_by_key_kernelINS1_19lookback_scan_stateINS0_5tupleIJibEEELb1ELb1EEEPKijNS1_16block_id_wrapperIjLb0EEEEEvT_jjPNSB_10value_typeET0_PNSt15iterator_traitsISE_E10value_typeEmT1_T2_,"axG",@progbits,_ZN7rocprim17ROCPRIM_400000_NS6detail30init_device_scan_by_key_kernelINS1_19lookback_scan_stateINS0_5tupleIJibEEELb1ELb1EEEPKijNS1_16block_id_wrapperIjLb0EEEEEvT_jjPNSB_10value_typeET0_PNSt15iterator_traitsISE_E10value_typeEmT1_T2_,comdat
	.protected	_ZN7rocprim17ROCPRIM_400000_NS6detail30init_device_scan_by_key_kernelINS1_19lookback_scan_stateINS0_5tupleIJibEEELb1ELb1EEEPKijNS1_16block_id_wrapperIjLb0EEEEEvT_jjPNSB_10value_typeET0_PNSt15iterator_traitsISE_E10value_typeEmT1_T2_ ; -- Begin function _ZN7rocprim17ROCPRIM_400000_NS6detail30init_device_scan_by_key_kernelINS1_19lookback_scan_stateINS0_5tupleIJibEEELb1ELb1EEEPKijNS1_16block_id_wrapperIjLb0EEEEEvT_jjPNSB_10value_typeET0_PNSt15iterator_traitsISE_E10value_typeEmT1_T2_
	.globl	_ZN7rocprim17ROCPRIM_400000_NS6detail30init_device_scan_by_key_kernelINS1_19lookback_scan_stateINS0_5tupleIJibEEELb1ELb1EEEPKijNS1_16block_id_wrapperIjLb0EEEEEvT_jjPNSB_10value_typeET0_PNSt15iterator_traitsISE_E10value_typeEmT1_T2_
	.p2align	8
	.type	_ZN7rocprim17ROCPRIM_400000_NS6detail30init_device_scan_by_key_kernelINS1_19lookback_scan_stateINS0_5tupleIJibEEELb1ELb1EEEPKijNS1_16block_id_wrapperIjLb0EEEEEvT_jjPNSB_10value_typeET0_PNSt15iterator_traitsISE_E10value_typeEmT1_T2_,@function
_ZN7rocprim17ROCPRIM_400000_NS6detail30init_device_scan_by_key_kernelINS1_19lookback_scan_stateINS0_5tupleIJibEEELb1ELb1EEEPKijNS1_16block_id_wrapperIjLb0EEEEEvT_jjPNSB_10value_typeET0_PNSt15iterator_traitsISE_E10value_typeEmT1_T2_: ; @_ZN7rocprim17ROCPRIM_400000_NS6detail30init_device_scan_by_key_kernelINS1_19lookback_scan_stateINS0_5tupleIJibEEELb1ELb1EEEPKijNS1_16block_id_wrapperIjLb0EEEEEvT_jjPNSB_10value_typeET0_PNSt15iterator_traitsISE_E10value_typeEmT1_T2_
; %bb.0:
	s_load_dword s3, s[0:1], 0x44
	s_load_dwordx8 s[4:11], s[0:1], 0x0
	s_load_dword s18, s[0:1], 0x38
	s_waitcnt lgkmcnt(0)
	s_and_b32 s19, s3, 0xffff
	s_mul_i32 s2, s2, s19
	s_cmp_eq_u64 s[8:9], 0
	v_add_u32_e32 v4, s2, v0
	s_cbranch_scc1 .LBB30_10
; %bb.1:
	s_cmp_lt_u32 s7, s6
	s_cselect_b32 s2, s7, 0
	s_mov_b32 s13, 0
	v_cmp_eq_u32_e32 vcc, s2, v4
	s_and_saveexec_b64 s[2:3], vcc
	s_cbranch_execz .LBB30_9
; %bb.2:
	s_add_i32 s12, s7, 64
	s_lshl_b64 s[12:13], s[12:13], 4
	s_add_u32 s16, s4, s12
	s_addc_u32 s17, s5, s13
	v_mov_b64_e32 v[0:1], s[16:17]
	;;#ASMSTART
	global_load_dwordx4 v[0:3], v[0:1] off sc1	
s_waitcnt vmcnt(0)
	;;#ASMEND
	v_mov_b32_e32 v7, 0
	v_and_b32_e32 v6, 0xff, v2
	s_mov_b64 s[14:15], 0
	v_cmp_eq_u64_e32 vcc, 0, v[6:7]
	s_and_saveexec_b64 s[12:13], vcc
	s_cbranch_execz .LBB30_8
; %bb.3:
	s_mov_b32 s7, 1
	v_mov_b64_e32 v[8:9], s[16:17]
.LBB30_4:                               ; =>This Loop Header: Depth=1
                                        ;     Child Loop BB30_5 Depth 2
	s_max_u32 s16, s7, 1
.LBB30_5:                               ;   Parent Loop BB30_4 Depth=1
                                        ; =>  This Inner Loop Header: Depth=2
	s_add_i32 s16, s16, -1
	s_cmp_eq_u32 s16, 0
	s_sleep 1
	s_cbranch_scc0 .LBB30_5
; %bb.6:                                ;   in Loop: Header=BB30_4 Depth=1
	s_cmp_lt_u32 s7, 32
	s_cselect_b64 s[16:17], -1, 0
	s_cmp_lg_u64 s[16:17], 0
	;;#ASMSTART
	global_load_dwordx4 v[0:3], v[8:9] off sc1	
s_waitcnt vmcnt(0)
	;;#ASMEND
	s_addc_u32 s7, s7, 0
	v_and_b32_e32 v6, 0xff, v2
	v_cmp_ne_u64_e32 vcc, 0, v[6:7]
	s_or_b64 s[14:15], vcc, s[14:15]
	s_andn2_b64 exec, exec, s[14:15]
	s_cbranch_execnz .LBB30_4
; %bb.7:
	s_or_b64 exec, exec, s[14:15]
.LBB30_8:
	s_or_b64 exec, exec, s[12:13]
	v_mov_b32_e32 v2, 0
	global_store_dword v2, v0, s[8:9]
	global_store_byte v2, v1, s[8:9] offset:4
.LBB30_9:
	s_or_b64 exec, exec, s[2:3]
.LBB30_10:
	v_cmp_gt_u32_e32 vcc, s6, v4
	s_and_saveexec_b64 s[2:3], vcc
	s_cbranch_execz .LBB30_12
; %bb.11:
	v_add_u32_e32 v0, 64, v4
	v_mov_b32_e32 v1, 0
	v_lshl_add_u64 v[6:7], v[0:1], 4, s[4:5]
	v_mov_b32_e32 v0, v1
	v_mov_b32_e32 v2, v1
	;; [unrolled: 1-line block ×3, first 2 shown]
	global_store_dwordx4 v[6:7], v[0:3], off
.LBB30_12:
	s_or_b64 exec, exec, s[2:3]
	v_cmp_gt_u32_e32 vcc, 64, v4
	v_mov_b32_e32 v5, 0
	s_and_saveexec_b64 s[2:3], vcc
	s_cbranch_execz .LBB30_14
; %bb.13:
	v_lshl_add_u64 v[6:7], v[4:5], 4, s[4:5]
	v_mov_b32_e32 v2, 0xff
	v_mov_b32_e32 v0, v5
	;; [unrolled: 1-line block ×4, first 2 shown]
	global_store_dwordx4 v[6:7], v[0:3], off
.LBB30_14:
	s_or_b64 exec, exec, s[2:3]
	s_load_dwordx2 s[2:3], s[0:1], 0x28
	s_waitcnt lgkmcnt(0)
	v_cmp_gt_u64_e32 vcc, s[2:3], v[4:5]
	s_and_saveexec_b64 s[4:5], vcc
	s_cbranch_execz .LBB30_17
; %bb.15:
	s_load_dword s12, s[0:1], 0x30
	s_load_dwordx2 s[6:7], s[0:1], 0x20
	s_mov_b32 s5, 0
	s_mov_b32 s1, s5
	s_mul_i32 s0, s18, s19
	s_waitcnt lgkmcnt(0)
	s_add_i32 s4, s12, -1
	s_lshl_b64 s[4:5], s[4:5], 2
	s_add_u32 s4, s10, s4
	v_mad_u64_u32 v[0:1], s[8:9], s12, v4, 0
	s_addc_u32 s5, s11, s5
	v_lshl_add_u64 v[0:1], v[0:1], 2, s[4:5]
	s_mul_hi_u32 s5, s12, s0
	s_mul_i32 s4, s12, s0
	s_lshl_b64 s[4:5], s[4:5], 2
	v_lshl_add_u64 v[2:3], v[4:5], 2, s[6:7]
	s_lshl_b64 s[6:7], s[0:1], 2
	s_mov_b64 s[8:9], 0
.LBB30_16:                              ; =>This Inner Loop Header: Depth=1
	global_load_dword v6, v[0:1], off
	v_lshl_add_u64 v[4:5], v[4:5], 0, s[0:1]
	v_cmp_le_u64_e32 vcc, s[2:3], v[4:5]
	v_lshl_add_u64 v[0:1], v[0:1], 0, s[4:5]
	s_or_b64 s[8:9], vcc, s[8:9]
	s_waitcnt vmcnt(0)
	global_store_dword v[2:3], v6, off
	v_lshl_add_u64 v[2:3], v[2:3], 0, s[6:7]
	s_andn2_b64 exec, exec, s[8:9]
	s_cbranch_execnz .LBB30_16
.LBB30_17:
	s_endpgm
	.section	.rodata,"a",@progbits
	.p2align	6, 0x0
	.amdhsa_kernel _ZN7rocprim17ROCPRIM_400000_NS6detail30init_device_scan_by_key_kernelINS1_19lookback_scan_stateINS0_5tupleIJibEEELb1ELb1EEEPKijNS1_16block_id_wrapperIjLb0EEEEEvT_jjPNSB_10value_typeET0_PNSt15iterator_traitsISE_E10value_typeEmT1_T2_
		.amdhsa_group_segment_fixed_size 0
		.amdhsa_private_segment_fixed_size 0
		.amdhsa_kernarg_size 312
		.amdhsa_user_sgpr_count 2
		.amdhsa_user_sgpr_dispatch_ptr 0
		.amdhsa_user_sgpr_queue_ptr 0
		.amdhsa_user_sgpr_kernarg_segment_ptr 1
		.amdhsa_user_sgpr_dispatch_id 0
		.amdhsa_user_sgpr_kernarg_preload_length 0
		.amdhsa_user_sgpr_kernarg_preload_offset 0
		.amdhsa_user_sgpr_private_segment_size 0
		.amdhsa_uses_dynamic_stack 0
		.amdhsa_enable_private_segment 0
		.amdhsa_system_sgpr_workgroup_id_x 1
		.amdhsa_system_sgpr_workgroup_id_y 0
		.amdhsa_system_sgpr_workgroup_id_z 0
		.amdhsa_system_sgpr_workgroup_info 0
		.amdhsa_system_vgpr_workitem_id 0
		.amdhsa_next_free_vgpr 10
		.amdhsa_next_free_sgpr 20
		.amdhsa_accum_offset 12
		.amdhsa_reserve_vcc 1
		.amdhsa_float_round_mode_32 0
		.amdhsa_float_round_mode_16_64 0
		.amdhsa_float_denorm_mode_32 3
		.amdhsa_float_denorm_mode_16_64 3
		.amdhsa_dx10_clamp 1
		.amdhsa_ieee_mode 1
		.amdhsa_fp16_overflow 0
		.amdhsa_tg_split 0
		.amdhsa_exception_fp_ieee_invalid_op 0
		.amdhsa_exception_fp_denorm_src 0
		.amdhsa_exception_fp_ieee_div_zero 0
		.amdhsa_exception_fp_ieee_overflow 0
		.amdhsa_exception_fp_ieee_underflow 0
		.amdhsa_exception_fp_ieee_inexact 0
		.amdhsa_exception_int_div_zero 0
	.end_amdhsa_kernel
	.section	.text._ZN7rocprim17ROCPRIM_400000_NS6detail30init_device_scan_by_key_kernelINS1_19lookback_scan_stateINS0_5tupleIJibEEELb1ELb1EEEPKijNS1_16block_id_wrapperIjLb0EEEEEvT_jjPNSB_10value_typeET0_PNSt15iterator_traitsISE_E10value_typeEmT1_T2_,"axG",@progbits,_ZN7rocprim17ROCPRIM_400000_NS6detail30init_device_scan_by_key_kernelINS1_19lookback_scan_stateINS0_5tupleIJibEEELb1ELb1EEEPKijNS1_16block_id_wrapperIjLb0EEEEEvT_jjPNSB_10value_typeET0_PNSt15iterator_traitsISE_E10value_typeEmT1_T2_,comdat
.Lfunc_end30:
	.size	_ZN7rocprim17ROCPRIM_400000_NS6detail30init_device_scan_by_key_kernelINS1_19lookback_scan_stateINS0_5tupleIJibEEELb1ELb1EEEPKijNS1_16block_id_wrapperIjLb0EEEEEvT_jjPNSB_10value_typeET0_PNSt15iterator_traitsISE_E10value_typeEmT1_T2_, .Lfunc_end30-_ZN7rocprim17ROCPRIM_400000_NS6detail30init_device_scan_by_key_kernelINS1_19lookback_scan_stateINS0_5tupleIJibEEELb1ELb1EEEPKijNS1_16block_id_wrapperIjLb0EEEEEvT_jjPNSB_10value_typeET0_PNSt15iterator_traitsISE_E10value_typeEmT1_T2_
                                        ; -- End function
	.section	.AMDGPU.csdata,"",@progbits
; Kernel info:
; codeLenInByte = 544
; NumSgprs: 26
; NumVgprs: 10
; NumAgprs: 0
; TotalNumVgprs: 10
; ScratchSize: 0
; MemoryBound: 0
; FloatMode: 240
; IeeeMode: 1
; LDSByteSize: 0 bytes/workgroup (compile time only)
; SGPRBlocks: 3
; VGPRBlocks: 1
; NumSGPRsForWavesPerEU: 26
; NumVGPRsForWavesPerEU: 10
; AccumOffset: 12
; Occupancy: 8
; WaveLimiterHint : 0
; COMPUTE_PGM_RSRC2:SCRATCH_EN: 0
; COMPUTE_PGM_RSRC2:USER_SGPR: 2
; COMPUTE_PGM_RSRC2:TRAP_HANDLER: 0
; COMPUTE_PGM_RSRC2:TGID_X_EN: 1
; COMPUTE_PGM_RSRC2:TGID_Y_EN: 0
; COMPUTE_PGM_RSRC2:TGID_Z_EN: 0
; COMPUTE_PGM_RSRC2:TIDIG_COMP_CNT: 0
; COMPUTE_PGM_RSRC3_GFX90A:ACCUM_OFFSET: 2
; COMPUTE_PGM_RSRC3_GFX90A:TG_SPLIT: 0
	.section	.text._ZN7rocprim17ROCPRIM_400000_NS6detail30init_device_scan_by_key_kernelINS1_19lookback_scan_stateINS0_5tupleIJibEEELb1ELb1EEENS1_16block_id_wrapperIjLb0EEEEEvT_jjPNS9_10value_typeET0_,"axG",@progbits,_ZN7rocprim17ROCPRIM_400000_NS6detail30init_device_scan_by_key_kernelINS1_19lookback_scan_stateINS0_5tupleIJibEEELb1ELb1EEENS1_16block_id_wrapperIjLb0EEEEEvT_jjPNS9_10value_typeET0_,comdat
	.protected	_ZN7rocprim17ROCPRIM_400000_NS6detail30init_device_scan_by_key_kernelINS1_19lookback_scan_stateINS0_5tupleIJibEEELb1ELb1EEENS1_16block_id_wrapperIjLb0EEEEEvT_jjPNS9_10value_typeET0_ ; -- Begin function _ZN7rocprim17ROCPRIM_400000_NS6detail30init_device_scan_by_key_kernelINS1_19lookback_scan_stateINS0_5tupleIJibEEELb1ELb1EEENS1_16block_id_wrapperIjLb0EEEEEvT_jjPNS9_10value_typeET0_
	.globl	_ZN7rocprim17ROCPRIM_400000_NS6detail30init_device_scan_by_key_kernelINS1_19lookback_scan_stateINS0_5tupleIJibEEELb1ELb1EEENS1_16block_id_wrapperIjLb0EEEEEvT_jjPNS9_10value_typeET0_
	.p2align	8
	.type	_ZN7rocprim17ROCPRIM_400000_NS6detail30init_device_scan_by_key_kernelINS1_19lookback_scan_stateINS0_5tupleIJibEEELb1ELb1EEENS1_16block_id_wrapperIjLb0EEEEEvT_jjPNS9_10value_typeET0_,@function
_ZN7rocprim17ROCPRIM_400000_NS6detail30init_device_scan_by_key_kernelINS1_19lookback_scan_stateINS0_5tupleIJibEEELb1ELb1EEENS1_16block_id_wrapperIjLb0EEEEEvT_jjPNS9_10value_typeET0_: ; @_ZN7rocprim17ROCPRIM_400000_NS6detail30init_device_scan_by_key_kernelINS1_19lookback_scan_stateINS0_5tupleIJibEEELb1ELb1EEENS1_16block_id_wrapperIjLb0EEEEEvT_jjPNS9_10value_typeET0_
; %bb.0:
	s_load_dword s3, s[0:1], 0x2c
	s_load_dwordx2 s[8:9], s[0:1], 0x10
	s_load_dwordx4 s[4:7], s[0:1], 0x0
	s_waitcnt lgkmcnt(0)
	s_and_b32 s0, s3, 0xffff
	s_mul_i32 s2, s2, s0
	s_cmp_eq_u64 s[8:9], 0
	v_add_u32_e32 v0, s2, v0
	s_cbranch_scc1 .LBB31_10
; %bb.1:
	s_cmp_lt_u32 s7, s6
	s_cselect_b32 s0, s7, 0
	s_mov_b32 s3, 0
	v_cmp_eq_u32_e32 vcc, s0, v0
	s_and_saveexec_b64 s[0:1], vcc
	s_cbranch_execz .LBB31_9
; %bb.2:
	s_add_i32 s2, s7, 64
	s_lshl_b64 s[2:3], s[2:3], 4
	s_add_u32 s12, s4, s2
	s_addc_u32 s13, s5, s3
	v_mov_b64_e32 v[2:3], s[12:13]
	;;#ASMSTART
	global_load_dwordx4 v[2:5], v[2:3] off sc1	
s_waitcnt vmcnt(0)
	;;#ASMEND
	v_mov_b32_e32 v7, 0
	v_and_b32_e32 v6, 0xff, v4
	s_mov_b64 s[10:11], 0
	v_cmp_eq_u64_e32 vcc, 0, v[6:7]
	s_and_saveexec_b64 s[2:3], vcc
	s_cbranch_execz .LBB31_8
; %bb.3:
	s_mov_b32 s7, 1
	v_mov_b64_e32 v[8:9], s[12:13]
.LBB31_4:                               ; =>This Loop Header: Depth=1
                                        ;     Child Loop BB31_5 Depth 2
	s_max_u32 s12, s7, 1
.LBB31_5:                               ;   Parent Loop BB31_4 Depth=1
                                        ; =>  This Inner Loop Header: Depth=2
	s_add_i32 s12, s12, -1
	s_cmp_eq_u32 s12, 0
	s_sleep 1
	s_cbranch_scc0 .LBB31_5
; %bb.6:                                ;   in Loop: Header=BB31_4 Depth=1
	s_cmp_lt_u32 s7, 32
	s_cselect_b64 s[12:13], -1, 0
	s_cmp_lg_u64 s[12:13], 0
	;;#ASMSTART
	global_load_dwordx4 v[2:5], v[8:9] off sc1	
s_waitcnt vmcnt(0)
	;;#ASMEND
	s_addc_u32 s7, s7, 0
	v_and_b32_e32 v6, 0xff, v4
	v_cmp_ne_u64_e32 vcc, 0, v[6:7]
	s_or_b64 s[10:11], vcc, s[10:11]
	s_andn2_b64 exec, exec, s[10:11]
	s_cbranch_execnz .LBB31_4
; %bb.7:
	s_or_b64 exec, exec, s[10:11]
.LBB31_8:
	s_or_b64 exec, exec, s[2:3]
	v_mov_b32_e32 v1, 0
	global_store_dword v1, v2, s[8:9]
	global_store_byte v1, v3, s[8:9] offset:4
.LBB31_9:
	s_or_b64 exec, exec, s[0:1]
.LBB31_10:
	v_cmp_gt_u32_e32 vcc, s6, v0
	s_and_saveexec_b64 s[0:1], vcc
	s_cbranch_execnz .LBB31_13
; %bb.11:
	s_or_b64 exec, exec, s[0:1]
	v_cmp_gt_u32_e32 vcc, 64, v0
	s_and_saveexec_b64 s[0:1], vcc
	s_cbranch_execnz .LBB31_14
.LBB31_12:
	s_endpgm
.LBB31_13:
	v_add_u32_e32 v2, 64, v0
	v_mov_b32_e32 v3, 0
	v_lshl_add_u64 v[6:7], v[2:3], 4, s[4:5]
	v_mov_b32_e32 v2, v3
	v_mov_b32_e32 v4, v3
	;; [unrolled: 1-line block ×3, first 2 shown]
	global_store_dwordx4 v[6:7], v[2:5], off
	s_or_b64 exec, exec, s[0:1]
	v_cmp_gt_u32_e32 vcc, 64, v0
	s_and_saveexec_b64 s[0:1], vcc
	s_cbranch_execz .LBB31_12
.LBB31_14:
	v_mov_b32_e32 v1, 0
	v_lshl_add_u64 v[4:5], v[0:1], 4, s[4:5]
	v_mov_b32_e32 v2, 0xff
	v_mov_b32_e32 v0, v1
	;; [unrolled: 1-line block ×3, first 2 shown]
	global_store_dwordx4 v[4:5], v[0:3], off
	s_endpgm
	.section	.rodata,"a",@progbits
	.p2align	6, 0x0
	.amdhsa_kernel _ZN7rocprim17ROCPRIM_400000_NS6detail30init_device_scan_by_key_kernelINS1_19lookback_scan_stateINS0_5tupleIJibEEELb1ELb1EEENS1_16block_id_wrapperIjLb0EEEEEvT_jjPNS9_10value_typeET0_
		.amdhsa_group_segment_fixed_size 0
		.amdhsa_private_segment_fixed_size 0
		.amdhsa_kernarg_size 288
		.amdhsa_user_sgpr_count 2
		.amdhsa_user_sgpr_dispatch_ptr 0
		.amdhsa_user_sgpr_queue_ptr 0
		.amdhsa_user_sgpr_kernarg_segment_ptr 1
		.amdhsa_user_sgpr_dispatch_id 0
		.amdhsa_user_sgpr_kernarg_preload_length 0
		.amdhsa_user_sgpr_kernarg_preload_offset 0
		.amdhsa_user_sgpr_private_segment_size 0
		.amdhsa_uses_dynamic_stack 0
		.amdhsa_enable_private_segment 0
		.amdhsa_system_sgpr_workgroup_id_x 1
		.amdhsa_system_sgpr_workgroup_id_y 0
		.amdhsa_system_sgpr_workgroup_id_z 0
		.amdhsa_system_sgpr_workgroup_info 0
		.amdhsa_system_vgpr_workitem_id 0
		.amdhsa_next_free_vgpr 10
		.amdhsa_next_free_sgpr 14
		.amdhsa_accum_offset 12
		.amdhsa_reserve_vcc 1
		.amdhsa_float_round_mode_32 0
		.amdhsa_float_round_mode_16_64 0
		.amdhsa_float_denorm_mode_32 3
		.amdhsa_float_denorm_mode_16_64 3
		.amdhsa_dx10_clamp 1
		.amdhsa_ieee_mode 1
		.amdhsa_fp16_overflow 0
		.amdhsa_tg_split 0
		.amdhsa_exception_fp_ieee_invalid_op 0
		.amdhsa_exception_fp_denorm_src 0
		.amdhsa_exception_fp_ieee_div_zero 0
		.amdhsa_exception_fp_ieee_overflow 0
		.amdhsa_exception_fp_ieee_underflow 0
		.amdhsa_exception_fp_ieee_inexact 0
		.amdhsa_exception_int_div_zero 0
	.end_amdhsa_kernel
	.section	.text._ZN7rocprim17ROCPRIM_400000_NS6detail30init_device_scan_by_key_kernelINS1_19lookback_scan_stateINS0_5tupleIJibEEELb1ELb1EEENS1_16block_id_wrapperIjLb0EEEEEvT_jjPNS9_10value_typeET0_,"axG",@progbits,_ZN7rocprim17ROCPRIM_400000_NS6detail30init_device_scan_by_key_kernelINS1_19lookback_scan_stateINS0_5tupleIJibEEELb1ELb1EEENS1_16block_id_wrapperIjLb0EEEEEvT_jjPNS9_10value_typeET0_,comdat
.Lfunc_end31:
	.size	_ZN7rocprim17ROCPRIM_400000_NS6detail30init_device_scan_by_key_kernelINS1_19lookback_scan_stateINS0_5tupleIJibEEELb1ELb1EEENS1_16block_id_wrapperIjLb0EEEEEvT_jjPNS9_10value_typeET0_, .Lfunc_end31-_ZN7rocprim17ROCPRIM_400000_NS6detail30init_device_scan_by_key_kernelINS1_19lookback_scan_stateINS0_5tupleIJibEEELb1ELb1EEENS1_16block_id_wrapperIjLb0EEEEEvT_jjPNS9_10value_typeET0_
                                        ; -- End function
	.section	.AMDGPU.csdata,"",@progbits
; Kernel info:
; codeLenInByte = 380
; NumSgprs: 20
; NumVgprs: 10
; NumAgprs: 0
; TotalNumVgprs: 10
; ScratchSize: 0
; MemoryBound: 0
; FloatMode: 240
; IeeeMode: 1
; LDSByteSize: 0 bytes/workgroup (compile time only)
; SGPRBlocks: 2
; VGPRBlocks: 1
; NumSGPRsForWavesPerEU: 20
; NumVGPRsForWavesPerEU: 10
; AccumOffset: 12
; Occupancy: 8
; WaveLimiterHint : 0
; COMPUTE_PGM_RSRC2:SCRATCH_EN: 0
; COMPUTE_PGM_RSRC2:USER_SGPR: 2
; COMPUTE_PGM_RSRC2:TRAP_HANDLER: 0
; COMPUTE_PGM_RSRC2:TGID_X_EN: 1
; COMPUTE_PGM_RSRC2:TGID_Y_EN: 0
; COMPUTE_PGM_RSRC2:TGID_Z_EN: 0
; COMPUTE_PGM_RSRC2:TIDIG_COMP_CNT: 0
; COMPUTE_PGM_RSRC3_GFX90A:ACCUM_OFFSET: 2
; COMPUTE_PGM_RSRC3_GFX90A:TG_SPLIT: 0
	.section	.text._ZN7rocprim17ROCPRIM_400000_NS6detail17trampoline_kernelINS0_14default_configENS1_27scan_by_key_config_selectorIiiEEZZNS1_16scan_by_key_implILNS1_25lookback_scan_determinismE0ELb0ES3_PKiN6hipcub16HIPCUB_304000_NS21ConstantInputIteratorIilEEPiiNSB_3SumENSB_8EqualityEiEE10hipError_tPvRmT2_T3_T4_T5_mT6_T7_P12ihipStream_tbENKUlT_T0_E_clISt17integral_constantIbLb1EESW_IbLb0EEEEDaSS_ST_EUlSS_E_NS1_11comp_targetILNS1_3genE0ELNS1_11target_archE4294967295ELNS1_3gpuE0ELNS1_3repE0EEENS1_30default_config_static_selectorELNS0_4arch9wavefront6targetE1EEEvT1_,"axG",@progbits,_ZN7rocprim17ROCPRIM_400000_NS6detail17trampoline_kernelINS0_14default_configENS1_27scan_by_key_config_selectorIiiEEZZNS1_16scan_by_key_implILNS1_25lookback_scan_determinismE0ELb0ES3_PKiN6hipcub16HIPCUB_304000_NS21ConstantInputIteratorIilEEPiiNSB_3SumENSB_8EqualityEiEE10hipError_tPvRmT2_T3_T4_T5_mT6_T7_P12ihipStream_tbENKUlT_T0_E_clISt17integral_constantIbLb1EESW_IbLb0EEEEDaSS_ST_EUlSS_E_NS1_11comp_targetILNS1_3genE0ELNS1_11target_archE4294967295ELNS1_3gpuE0ELNS1_3repE0EEENS1_30default_config_static_selectorELNS0_4arch9wavefront6targetE1EEEvT1_,comdat
	.protected	_ZN7rocprim17ROCPRIM_400000_NS6detail17trampoline_kernelINS0_14default_configENS1_27scan_by_key_config_selectorIiiEEZZNS1_16scan_by_key_implILNS1_25lookback_scan_determinismE0ELb0ES3_PKiN6hipcub16HIPCUB_304000_NS21ConstantInputIteratorIilEEPiiNSB_3SumENSB_8EqualityEiEE10hipError_tPvRmT2_T3_T4_T5_mT6_T7_P12ihipStream_tbENKUlT_T0_E_clISt17integral_constantIbLb1EESW_IbLb0EEEEDaSS_ST_EUlSS_E_NS1_11comp_targetILNS1_3genE0ELNS1_11target_archE4294967295ELNS1_3gpuE0ELNS1_3repE0EEENS1_30default_config_static_selectorELNS0_4arch9wavefront6targetE1EEEvT1_ ; -- Begin function _ZN7rocprim17ROCPRIM_400000_NS6detail17trampoline_kernelINS0_14default_configENS1_27scan_by_key_config_selectorIiiEEZZNS1_16scan_by_key_implILNS1_25lookback_scan_determinismE0ELb0ES3_PKiN6hipcub16HIPCUB_304000_NS21ConstantInputIteratorIilEEPiiNSB_3SumENSB_8EqualityEiEE10hipError_tPvRmT2_T3_T4_T5_mT6_T7_P12ihipStream_tbENKUlT_T0_E_clISt17integral_constantIbLb1EESW_IbLb0EEEEDaSS_ST_EUlSS_E_NS1_11comp_targetILNS1_3genE0ELNS1_11target_archE4294967295ELNS1_3gpuE0ELNS1_3repE0EEENS1_30default_config_static_selectorELNS0_4arch9wavefront6targetE1EEEvT1_
	.globl	_ZN7rocprim17ROCPRIM_400000_NS6detail17trampoline_kernelINS0_14default_configENS1_27scan_by_key_config_selectorIiiEEZZNS1_16scan_by_key_implILNS1_25lookback_scan_determinismE0ELb0ES3_PKiN6hipcub16HIPCUB_304000_NS21ConstantInputIteratorIilEEPiiNSB_3SumENSB_8EqualityEiEE10hipError_tPvRmT2_T3_T4_T5_mT6_T7_P12ihipStream_tbENKUlT_T0_E_clISt17integral_constantIbLb1EESW_IbLb0EEEEDaSS_ST_EUlSS_E_NS1_11comp_targetILNS1_3genE0ELNS1_11target_archE4294967295ELNS1_3gpuE0ELNS1_3repE0EEENS1_30default_config_static_selectorELNS0_4arch9wavefront6targetE1EEEvT1_
	.p2align	8
	.type	_ZN7rocprim17ROCPRIM_400000_NS6detail17trampoline_kernelINS0_14default_configENS1_27scan_by_key_config_selectorIiiEEZZNS1_16scan_by_key_implILNS1_25lookback_scan_determinismE0ELb0ES3_PKiN6hipcub16HIPCUB_304000_NS21ConstantInputIteratorIilEEPiiNSB_3SumENSB_8EqualityEiEE10hipError_tPvRmT2_T3_T4_T5_mT6_T7_P12ihipStream_tbENKUlT_T0_E_clISt17integral_constantIbLb1EESW_IbLb0EEEEDaSS_ST_EUlSS_E_NS1_11comp_targetILNS1_3genE0ELNS1_11target_archE4294967295ELNS1_3gpuE0ELNS1_3repE0EEENS1_30default_config_static_selectorELNS0_4arch9wavefront6targetE1EEEvT1_,@function
_ZN7rocprim17ROCPRIM_400000_NS6detail17trampoline_kernelINS0_14default_configENS1_27scan_by_key_config_selectorIiiEEZZNS1_16scan_by_key_implILNS1_25lookback_scan_determinismE0ELb0ES3_PKiN6hipcub16HIPCUB_304000_NS21ConstantInputIteratorIilEEPiiNSB_3SumENSB_8EqualityEiEE10hipError_tPvRmT2_T3_T4_T5_mT6_T7_P12ihipStream_tbENKUlT_T0_E_clISt17integral_constantIbLb1EESW_IbLb0EEEEDaSS_ST_EUlSS_E_NS1_11comp_targetILNS1_3genE0ELNS1_11target_archE4294967295ELNS1_3gpuE0ELNS1_3repE0EEENS1_30default_config_static_selectorELNS0_4arch9wavefront6targetE1EEEvT1_: ; @_ZN7rocprim17ROCPRIM_400000_NS6detail17trampoline_kernelINS0_14default_configENS1_27scan_by_key_config_selectorIiiEEZZNS1_16scan_by_key_implILNS1_25lookback_scan_determinismE0ELb0ES3_PKiN6hipcub16HIPCUB_304000_NS21ConstantInputIteratorIilEEPiiNSB_3SumENSB_8EqualityEiEE10hipError_tPvRmT2_T3_T4_T5_mT6_T7_P12ihipStream_tbENKUlT_T0_E_clISt17integral_constantIbLb1EESW_IbLb0EEEEDaSS_ST_EUlSS_E_NS1_11comp_targetILNS1_3genE0ELNS1_11target_archE4294967295ELNS1_3gpuE0ELNS1_3repE0EEENS1_30default_config_static_selectorELNS0_4arch9wavefront6targetE1EEEvT1_
; %bb.0:
	.section	.rodata,"a",@progbits
	.p2align	6, 0x0
	.amdhsa_kernel _ZN7rocprim17ROCPRIM_400000_NS6detail17trampoline_kernelINS0_14default_configENS1_27scan_by_key_config_selectorIiiEEZZNS1_16scan_by_key_implILNS1_25lookback_scan_determinismE0ELb0ES3_PKiN6hipcub16HIPCUB_304000_NS21ConstantInputIteratorIilEEPiiNSB_3SumENSB_8EqualityEiEE10hipError_tPvRmT2_T3_T4_T5_mT6_T7_P12ihipStream_tbENKUlT_T0_E_clISt17integral_constantIbLb1EESW_IbLb0EEEEDaSS_ST_EUlSS_E_NS1_11comp_targetILNS1_3genE0ELNS1_11target_archE4294967295ELNS1_3gpuE0ELNS1_3repE0EEENS1_30default_config_static_selectorELNS0_4arch9wavefront6targetE1EEEvT1_
		.amdhsa_group_segment_fixed_size 0
		.amdhsa_private_segment_fixed_size 0
		.amdhsa_kernarg_size 120
		.amdhsa_user_sgpr_count 2
		.amdhsa_user_sgpr_dispatch_ptr 0
		.amdhsa_user_sgpr_queue_ptr 0
		.amdhsa_user_sgpr_kernarg_segment_ptr 1
		.amdhsa_user_sgpr_dispatch_id 0
		.amdhsa_user_sgpr_kernarg_preload_length 0
		.amdhsa_user_sgpr_kernarg_preload_offset 0
		.amdhsa_user_sgpr_private_segment_size 0
		.amdhsa_uses_dynamic_stack 0
		.amdhsa_enable_private_segment 0
		.amdhsa_system_sgpr_workgroup_id_x 1
		.amdhsa_system_sgpr_workgroup_id_y 0
		.amdhsa_system_sgpr_workgroup_id_z 0
		.amdhsa_system_sgpr_workgroup_info 0
		.amdhsa_system_vgpr_workitem_id 0
		.amdhsa_next_free_vgpr 1
		.amdhsa_next_free_sgpr 0
		.amdhsa_accum_offset 4
		.amdhsa_reserve_vcc 0
		.amdhsa_float_round_mode_32 0
		.amdhsa_float_round_mode_16_64 0
		.amdhsa_float_denorm_mode_32 3
		.amdhsa_float_denorm_mode_16_64 3
		.amdhsa_dx10_clamp 1
		.amdhsa_ieee_mode 1
		.amdhsa_fp16_overflow 0
		.amdhsa_tg_split 0
		.amdhsa_exception_fp_ieee_invalid_op 0
		.amdhsa_exception_fp_denorm_src 0
		.amdhsa_exception_fp_ieee_div_zero 0
		.amdhsa_exception_fp_ieee_overflow 0
		.amdhsa_exception_fp_ieee_underflow 0
		.amdhsa_exception_fp_ieee_inexact 0
		.amdhsa_exception_int_div_zero 0
	.end_amdhsa_kernel
	.section	.text._ZN7rocprim17ROCPRIM_400000_NS6detail17trampoline_kernelINS0_14default_configENS1_27scan_by_key_config_selectorIiiEEZZNS1_16scan_by_key_implILNS1_25lookback_scan_determinismE0ELb0ES3_PKiN6hipcub16HIPCUB_304000_NS21ConstantInputIteratorIilEEPiiNSB_3SumENSB_8EqualityEiEE10hipError_tPvRmT2_T3_T4_T5_mT6_T7_P12ihipStream_tbENKUlT_T0_E_clISt17integral_constantIbLb1EESW_IbLb0EEEEDaSS_ST_EUlSS_E_NS1_11comp_targetILNS1_3genE0ELNS1_11target_archE4294967295ELNS1_3gpuE0ELNS1_3repE0EEENS1_30default_config_static_selectorELNS0_4arch9wavefront6targetE1EEEvT1_,"axG",@progbits,_ZN7rocprim17ROCPRIM_400000_NS6detail17trampoline_kernelINS0_14default_configENS1_27scan_by_key_config_selectorIiiEEZZNS1_16scan_by_key_implILNS1_25lookback_scan_determinismE0ELb0ES3_PKiN6hipcub16HIPCUB_304000_NS21ConstantInputIteratorIilEEPiiNSB_3SumENSB_8EqualityEiEE10hipError_tPvRmT2_T3_T4_T5_mT6_T7_P12ihipStream_tbENKUlT_T0_E_clISt17integral_constantIbLb1EESW_IbLb0EEEEDaSS_ST_EUlSS_E_NS1_11comp_targetILNS1_3genE0ELNS1_11target_archE4294967295ELNS1_3gpuE0ELNS1_3repE0EEENS1_30default_config_static_selectorELNS0_4arch9wavefront6targetE1EEEvT1_,comdat
.Lfunc_end32:
	.size	_ZN7rocprim17ROCPRIM_400000_NS6detail17trampoline_kernelINS0_14default_configENS1_27scan_by_key_config_selectorIiiEEZZNS1_16scan_by_key_implILNS1_25lookback_scan_determinismE0ELb0ES3_PKiN6hipcub16HIPCUB_304000_NS21ConstantInputIteratorIilEEPiiNSB_3SumENSB_8EqualityEiEE10hipError_tPvRmT2_T3_T4_T5_mT6_T7_P12ihipStream_tbENKUlT_T0_E_clISt17integral_constantIbLb1EESW_IbLb0EEEEDaSS_ST_EUlSS_E_NS1_11comp_targetILNS1_3genE0ELNS1_11target_archE4294967295ELNS1_3gpuE0ELNS1_3repE0EEENS1_30default_config_static_selectorELNS0_4arch9wavefront6targetE1EEEvT1_, .Lfunc_end32-_ZN7rocprim17ROCPRIM_400000_NS6detail17trampoline_kernelINS0_14default_configENS1_27scan_by_key_config_selectorIiiEEZZNS1_16scan_by_key_implILNS1_25lookback_scan_determinismE0ELb0ES3_PKiN6hipcub16HIPCUB_304000_NS21ConstantInputIteratorIilEEPiiNSB_3SumENSB_8EqualityEiEE10hipError_tPvRmT2_T3_T4_T5_mT6_T7_P12ihipStream_tbENKUlT_T0_E_clISt17integral_constantIbLb1EESW_IbLb0EEEEDaSS_ST_EUlSS_E_NS1_11comp_targetILNS1_3genE0ELNS1_11target_archE4294967295ELNS1_3gpuE0ELNS1_3repE0EEENS1_30default_config_static_selectorELNS0_4arch9wavefront6targetE1EEEvT1_
                                        ; -- End function
	.section	.AMDGPU.csdata,"",@progbits
; Kernel info:
; codeLenInByte = 0
; NumSgprs: 6
; NumVgprs: 0
; NumAgprs: 0
; TotalNumVgprs: 0
; ScratchSize: 0
; MemoryBound: 0
; FloatMode: 240
; IeeeMode: 1
; LDSByteSize: 0 bytes/workgroup (compile time only)
; SGPRBlocks: 0
; VGPRBlocks: 0
; NumSGPRsForWavesPerEU: 6
; NumVGPRsForWavesPerEU: 1
; AccumOffset: 4
; Occupancy: 8
; WaveLimiterHint : 0
; COMPUTE_PGM_RSRC2:SCRATCH_EN: 0
; COMPUTE_PGM_RSRC2:USER_SGPR: 2
; COMPUTE_PGM_RSRC2:TRAP_HANDLER: 0
; COMPUTE_PGM_RSRC2:TGID_X_EN: 1
; COMPUTE_PGM_RSRC2:TGID_Y_EN: 0
; COMPUTE_PGM_RSRC2:TGID_Z_EN: 0
; COMPUTE_PGM_RSRC2:TIDIG_COMP_CNT: 0
; COMPUTE_PGM_RSRC3_GFX90A:ACCUM_OFFSET: 0
; COMPUTE_PGM_RSRC3_GFX90A:TG_SPLIT: 0
	.section	.text._ZN7rocprim17ROCPRIM_400000_NS6detail17trampoline_kernelINS0_14default_configENS1_27scan_by_key_config_selectorIiiEEZZNS1_16scan_by_key_implILNS1_25lookback_scan_determinismE0ELb0ES3_PKiN6hipcub16HIPCUB_304000_NS21ConstantInputIteratorIilEEPiiNSB_3SumENSB_8EqualityEiEE10hipError_tPvRmT2_T3_T4_T5_mT6_T7_P12ihipStream_tbENKUlT_T0_E_clISt17integral_constantIbLb1EESW_IbLb0EEEEDaSS_ST_EUlSS_E_NS1_11comp_targetILNS1_3genE10ELNS1_11target_archE1201ELNS1_3gpuE5ELNS1_3repE0EEENS1_30default_config_static_selectorELNS0_4arch9wavefront6targetE1EEEvT1_,"axG",@progbits,_ZN7rocprim17ROCPRIM_400000_NS6detail17trampoline_kernelINS0_14default_configENS1_27scan_by_key_config_selectorIiiEEZZNS1_16scan_by_key_implILNS1_25lookback_scan_determinismE0ELb0ES3_PKiN6hipcub16HIPCUB_304000_NS21ConstantInputIteratorIilEEPiiNSB_3SumENSB_8EqualityEiEE10hipError_tPvRmT2_T3_T4_T5_mT6_T7_P12ihipStream_tbENKUlT_T0_E_clISt17integral_constantIbLb1EESW_IbLb0EEEEDaSS_ST_EUlSS_E_NS1_11comp_targetILNS1_3genE10ELNS1_11target_archE1201ELNS1_3gpuE5ELNS1_3repE0EEENS1_30default_config_static_selectorELNS0_4arch9wavefront6targetE1EEEvT1_,comdat
	.protected	_ZN7rocprim17ROCPRIM_400000_NS6detail17trampoline_kernelINS0_14default_configENS1_27scan_by_key_config_selectorIiiEEZZNS1_16scan_by_key_implILNS1_25lookback_scan_determinismE0ELb0ES3_PKiN6hipcub16HIPCUB_304000_NS21ConstantInputIteratorIilEEPiiNSB_3SumENSB_8EqualityEiEE10hipError_tPvRmT2_T3_T4_T5_mT6_T7_P12ihipStream_tbENKUlT_T0_E_clISt17integral_constantIbLb1EESW_IbLb0EEEEDaSS_ST_EUlSS_E_NS1_11comp_targetILNS1_3genE10ELNS1_11target_archE1201ELNS1_3gpuE5ELNS1_3repE0EEENS1_30default_config_static_selectorELNS0_4arch9wavefront6targetE1EEEvT1_ ; -- Begin function _ZN7rocprim17ROCPRIM_400000_NS6detail17trampoline_kernelINS0_14default_configENS1_27scan_by_key_config_selectorIiiEEZZNS1_16scan_by_key_implILNS1_25lookback_scan_determinismE0ELb0ES3_PKiN6hipcub16HIPCUB_304000_NS21ConstantInputIteratorIilEEPiiNSB_3SumENSB_8EqualityEiEE10hipError_tPvRmT2_T3_T4_T5_mT6_T7_P12ihipStream_tbENKUlT_T0_E_clISt17integral_constantIbLb1EESW_IbLb0EEEEDaSS_ST_EUlSS_E_NS1_11comp_targetILNS1_3genE10ELNS1_11target_archE1201ELNS1_3gpuE5ELNS1_3repE0EEENS1_30default_config_static_selectorELNS0_4arch9wavefront6targetE1EEEvT1_
	.globl	_ZN7rocprim17ROCPRIM_400000_NS6detail17trampoline_kernelINS0_14default_configENS1_27scan_by_key_config_selectorIiiEEZZNS1_16scan_by_key_implILNS1_25lookback_scan_determinismE0ELb0ES3_PKiN6hipcub16HIPCUB_304000_NS21ConstantInputIteratorIilEEPiiNSB_3SumENSB_8EqualityEiEE10hipError_tPvRmT2_T3_T4_T5_mT6_T7_P12ihipStream_tbENKUlT_T0_E_clISt17integral_constantIbLb1EESW_IbLb0EEEEDaSS_ST_EUlSS_E_NS1_11comp_targetILNS1_3genE10ELNS1_11target_archE1201ELNS1_3gpuE5ELNS1_3repE0EEENS1_30default_config_static_selectorELNS0_4arch9wavefront6targetE1EEEvT1_
	.p2align	8
	.type	_ZN7rocprim17ROCPRIM_400000_NS6detail17trampoline_kernelINS0_14default_configENS1_27scan_by_key_config_selectorIiiEEZZNS1_16scan_by_key_implILNS1_25lookback_scan_determinismE0ELb0ES3_PKiN6hipcub16HIPCUB_304000_NS21ConstantInputIteratorIilEEPiiNSB_3SumENSB_8EqualityEiEE10hipError_tPvRmT2_T3_T4_T5_mT6_T7_P12ihipStream_tbENKUlT_T0_E_clISt17integral_constantIbLb1EESW_IbLb0EEEEDaSS_ST_EUlSS_E_NS1_11comp_targetILNS1_3genE10ELNS1_11target_archE1201ELNS1_3gpuE5ELNS1_3repE0EEENS1_30default_config_static_selectorELNS0_4arch9wavefront6targetE1EEEvT1_,@function
_ZN7rocprim17ROCPRIM_400000_NS6detail17trampoline_kernelINS0_14default_configENS1_27scan_by_key_config_selectorIiiEEZZNS1_16scan_by_key_implILNS1_25lookback_scan_determinismE0ELb0ES3_PKiN6hipcub16HIPCUB_304000_NS21ConstantInputIteratorIilEEPiiNSB_3SumENSB_8EqualityEiEE10hipError_tPvRmT2_T3_T4_T5_mT6_T7_P12ihipStream_tbENKUlT_T0_E_clISt17integral_constantIbLb1EESW_IbLb0EEEEDaSS_ST_EUlSS_E_NS1_11comp_targetILNS1_3genE10ELNS1_11target_archE1201ELNS1_3gpuE5ELNS1_3repE0EEENS1_30default_config_static_selectorELNS0_4arch9wavefront6targetE1EEEvT1_: ; @_ZN7rocprim17ROCPRIM_400000_NS6detail17trampoline_kernelINS0_14default_configENS1_27scan_by_key_config_selectorIiiEEZZNS1_16scan_by_key_implILNS1_25lookback_scan_determinismE0ELb0ES3_PKiN6hipcub16HIPCUB_304000_NS21ConstantInputIteratorIilEEPiiNSB_3SumENSB_8EqualityEiEE10hipError_tPvRmT2_T3_T4_T5_mT6_T7_P12ihipStream_tbENKUlT_T0_E_clISt17integral_constantIbLb1EESW_IbLb0EEEEDaSS_ST_EUlSS_E_NS1_11comp_targetILNS1_3genE10ELNS1_11target_archE1201ELNS1_3gpuE5ELNS1_3repE0EEENS1_30default_config_static_selectorELNS0_4arch9wavefront6targetE1EEEvT1_
; %bb.0:
	.section	.rodata,"a",@progbits
	.p2align	6, 0x0
	.amdhsa_kernel _ZN7rocprim17ROCPRIM_400000_NS6detail17trampoline_kernelINS0_14default_configENS1_27scan_by_key_config_selectorIiiEEZZNS1_16scan_by_key_implILNS1_25lookback_scan_determinismE0ELb0ES3_PKiN6hipcub16HIPCUB_304000_NS21ConstantInputIteratorIilEEPiiNSB_3SumENSB_8EqualityEiEE10hipError_tPvRmT2_T3_T4_T5_mT6_T7_P12ihipStream_tbENKUlT_T0_E_clISt17integral_constantIbLb1EESW_IbLb0EEEEDaSS_ST_EUlSS_E_NS1_11comp_targetILNS1_3genE10ELNS1_11target_archE1201ELNS1_3gpuE5ELNS1_3repE0EEENS1_30default_config_static_selectorELNS0_4arch9wavefront6targetE1EEEvT1_
		.amdhsa_group_segment_fixed_size 0
		.amdhsa_private_segment_fixed_size 0
		.amdhsa_kernarg_size 120
		.amdhsa_user_sgpr_count 2
		.amdhsa_user_sgpr_dispatch_ptr 0
		.amdhsa_user_sgpr_queue_ptr 0
		.amdhsa_user_sgpr_kernarg_segment_ptr 1
		.amdhsa_user_sgpr_dispatch_id 0
		.amdhsa_user_sgpr_kernarg_preload_length 0
		.amdhsa_user_sgpr_kernarg_preload_offset 0
		.amdhsa_user_sgpr_private_segment_size 0
		.amdhsa_uses_dynamic_stack 0
		.amdhsa_enable_private_segment 0
		.amdhsa_system_sgpr_workgroup_id_x 1
		.amdhsa_system_sgpr_workgroup_id_y 0
		.amdhsa_system_sgpr_workgroup_id_z 0
		.amdhsa_system_sgpr_workgroup_info 0
		.amdhsa_system_vgpr_workitem_id 0
		.amdhsa_next_free_vgpr 1
		.amdhsa_next_free_sgpr 0
		.amdhsa_accum_offset 4
		.amdhsa_reserve_vcc 0
		.amdhsa_float_round_mode_32 0
		.amdhsa_float_round_mode_16_64 0
		.amdhsa_float_denorm_mode_32 3
		.amdhsa_float_denorm_mode_16_64 3
		.amdhsa_dx10_clamp 1
		.amdhsa_ieee_mode 1
		.amdhsa_fp16_overflow 0
		.amdhsa_tg_split 0
		.amdhsa_exception_fp_ieee_invalid_op 0
		.amdhsa_exception_fp_denorm_src 0
		.amdhsa_exception_fp_ieee_div_zero 0
		.amdhsa_exception_fp_ieee_overflow 0
		.amdhsa_exception_fp_ieee_underflow 0
		.amdhsa_exception_fp_ieee_inexact 0
		.amdhsa_exception_int_div_zero 0
	.end_amdhsa_kernel
	.section	.text._ZN7rocprim17ROCPRIM_400000_NS6detail17trampoline_kernelINS0_14default_configENS1_27scan_by_key_config_selectorIiiEEZZNS1_16scan_by_key_implILNS1_25lookback_scan_determinismE0ELb0ES3_PKiN6hipcub16HIPCUB_304000_NS21ConstantInputIteratorIilEEPiiNSB_3SumENSB_8EqualityEiEE10hipError_tPvRmT2_T3_T4_T5_mT6_T7_P12ihipStream_tbENKUlT_T0_E_clISt17integral_constantIbLb1EESW_IbLb0EEEEDaSS_ST_EUlSS_E_NS1_11comp_targetILNS1_3genE10ELNS1_11target_archE1201ELNS1_3gpuE5ELNS1_3repE0EEENS1_30default_config_static_selectorELNS0_4arch9wavefront6targetE1EEEvT1_,"axG",@progbits,_ZN7rocprim17ROCPRIM_400000_NS6detail17trampoline_kernelINS0_14default_configENS1_27scan_by_key_config_selectorIiiEEZZNS1_16scan_by_key_implILNS1_25lookback_scan_determinismE0ELb0ES3_PKiN6hipcub16HIPCUB_304000_NS21ConstantInputIteratorIilEEPiiNSB_3SumENSB_8EqualityEiEE10hipError_tPvRmT2_T3_T4_T5_mT6_T7_P12ihipStream_tbENKUlT_T0_E_clISt17integral_constantIbLb1EESW_IbLb0EEEEDaSS_ST_EUlSS_E_NS1_11comp_targetILNS1_3genE10ELNS1_11target_archE1201ELNS1_3gpuE5ELNS1_3repE0EEENS1_30default_config_static_selectorELNS0_4arch9wavefront6targetE1EEEvT1_,comdat
.Lfunc_end33:
	.size	_ZN7rocprim17ROCPRIM_400000_NS6detail17trampoline_kernelINS0_14default_configENS1_27scan_by_key_config_selectorIiiEEZZNS1_16scan_by_key_implILNS1_25lookback_scan_determinismE0ELb0ES3_PKiN6hipcub16HIPCUB_304000_NS21ConstantInputIteratorIilEEPiiNSB_3SumENSB_8EqualityEiEE10hipError_tPvRmT2_T3_T4_T5_mT6_T7_P12ihipStream_tbENKUlT_T0_E_clISt17integral_constantIbLb1EESW_IbLb0EEEEDaSS_ST_EUlSS_E_NS1_11comp_targetILNS1_3genE10ELNS1_11target_archE1201ELNS1_3gpuE5ELNS1_3repE0EEENS1_30default_config_static_selectorELNS0_4arch9wavefront6targetE1EEEvT1_, .Lfunc_end33-_ZN7rocprim17ROCPRIM_400000_NS6detail17trampoline_kernelINS0_14default_configENS1_27scan_by_key_config_selectorIiiEEZZNS1_16scan_by_key_implILNS1_25lookback_scan_determinismE0ELb0ES3_PKiN6hipcub16HIPCUB_304000_NS21ConstantInputIteratorIilEEPiiNSB_3SumENSB_8EqualityEiEE10hipError_tPvRmT2_T3_T4_T5_mT6_T7_P12ihipStream_tbENKUlT_T0_E_clISt17integral_constantIbLb1EESW_IbLb0EEEEDaSS_ST_EUlSS_E_NS1_11comp_targetILNS1_3genE10ELNS1_11target_archE1201ELNS1_3gpuE5ELNS1_3repE0EEENS1_30default_config_static_selectorELNS0_4arch9wavefront6targetE1EEEvT1_
                                        ; -- End function
	.section	.AMDGPU.csdata,"",@progbits
; Kernel info:
; codeLenInByte = 0
; NumSgprs: 6
; NumVgprs: 0
; NumAgprs: 0
; TotalNumVgprs: 0
; ScratchSize: 0
; MemoryBound: 0
; FloatMode: 240
; IeeeMode: 1
; LDSByteSize: 0 bytes/workgroup (compile time only)
; SGPRBlocks: 0
; VGPRBlocks: 0
; NumSGPRsForWavesPerEU: 6
; NumVGPRsForWavesPerEU: 1
; AccumOffset: 4
; Occupancy: 8
; WaveLimiterHint : 0
; COMPUTE_PGM_RSRC2:SCRATCH_EN: 0
; COMPUTE_PGM_RSRC2:USER_SGPR: 2
; COMPUTE_PGM_RSRC2:TRAP_HANDLER: 0
; COMPUTE_PGM_RSRC2:TGID_X_EN: 1
; COMPUTE_PGM_RSRC2:TGID_Y_EN: 0
; COMPUTE_PGM_RSRC2:TGID_Z_EN: 0
; COMPUTE_PGM_RSRC2:TIDIG_COMP_CNT: 0
; COMPUTE_PGM_RSRC3_GFX90A:ACCUM_OFFSET: 0
; COMPUTE_PGM_RSRC3_GFX90A:TG_SPLIT: 0
	.section	.text._ZN7rocprim17ROCPRIM_400000_NS6detail17trampoline_kernelINS0_14default_configENS1_27scan_by_key_config_selectorIiiEEZZNS1_16scan_by_key_implILNS1_25lookback_scan_determinismE0ELb0ES3_PKiN6hipcub16HIPCUB_304000_NS21ConstantInputIteratorIilEEPiiNSB_3SumENSB_8EqualityEiEE10hipError_tPvRmT2_T3_T4_T5_mT6_T7_P12ihipStream_tbENKUlT_T0_E_clISt17integral_constantIbLb1EESW_IbLb0EEEEDaSS_ST_EUlSS_E_NS1_11comp_targetILNS1_3genE5ELNS1_11target_archE942ELNS1_3gpuE9ELNS1_3repE0EEENS1_30default_config_static_selectorELNS0_4arch9wavefront6targetE1EEEvT1_,"axG",@progbits,_ZN7rocprim17ROCPRIM_400000_NS6detail17trampoline_kernelINS0_14default_configENS1_27scan_by_key_config_selectorIiiEEZZNS1_16scan_by_key_implILNS1_25lookback_scan_determinismE0ELb0ES3_PKiN6hipcub16HIPCUB_304000_NS21ConstantInputIteratorIilEEPiiNSB_3SumENSB_8EqualityEiEE10hipError_tPvRmT2_T3_T4_T5_mT6_T7_P12ihipStream_tbENKUlT_T0_E_clISt17integral_constantIbLb1EESW_IbLb0EEEEDaSS_ST_EUlSS_E_NS1_11comp_targetILNS1_3genE5ELNS1_11target_archE942ELNS1_3gpuE9ELNS1_3repE0EEENS1_30default_config_static_selectorELNS0_4arch9wavefront6targetE1EEEvT1_,comdat
	.protected	_ZN7rocprim17ROCPRIM_400000_NS6detail17trampoline_kernelINS0_14default_configENS1_27scan_by_key_config_selectorIiiEEZZNS1_16scan_by_key_implILNS1_25lookback_scan_determinismE0ELb0ES3_PKiN6hipcub16HIPCUB_304000_NS21ConstantInputIteratorIilEEPiiNSB_3SumENSB_8EqualityEiEE10hipError_tPvRmT2_T3_T4_T5_mT6_T7_P12ihipStream_tbENKUlT_T0_E_clISt17integral_constantIbLb1EESW_IbLb0EEEEDaSS_ST_EUlSS_E_NS1_11comp_targetILNS1_3genE5ELNS1_11target_archE942ELNS1_3gpuE9ELNS1_3repE0EEENS1_30default_config_static_selectorELNS0_4arch9wavefront6targetE1EEEvT1_ ; -- Begin function _ZN7rocprim17ROCPRIM_400000_NS6detail17trampoline_kernelINS0_14default_configENS1_27scan_by_key_config_selectorIiiEEZZNS1_16scan_by_key_implILNS1_25lookback_scan_determinismE0ELb0ES3_PKiN6hipcub16HIPCUB_304000_NS21ConstantInputIteratorIilEEPiiNSB_3SumENSB_8EqualityEiEE10hipError_tPvRmT2_T3_T4_T5_mT6_T7_P12ihipStream_tbENKUlT_T0_E_clISt17integral_constantIbLb1EESW_IbLb0EEEEDaSS_ST_EUlSS_E_NS1_11comp_targetILNS1_3genE5ELNS1_11target_archE942ELNS1_3gpuE9ELNS1_3repE0EEENS1_30default_config_static_selectorELNS0_4arch9wavefront6targetE1EEEvT1_
	.globl	_ZN7rocprim17ROCPRIM_400000_NS6detail17trampoline_kernelINS0_14default_configENS1_27scan_by_key_config_selectorIiiEEZZNS1_16scan_by_key_implILNS1_25lookback_scan_determinismE0ELb0ES3_PKiN6hipcub16HIPCUB_304000_NS21ConstantInputIteratorIilEEPiiNSB_3SumENSB_8EqualityEiEE10hipError_tPvRmT2_T3_T4_T5_mT6_T7_P12ihipStream_tbENKUlT_T0_E_clISt17integral_constantIbLb1EESW_IbLb0EEEEDaSS_ST_EUlSS_E_NS1_11comp_targetILNS1_3genE5ELNS1_11target_archE942ELNS1_3gpuE9ELNS1_3repE0EEENS1_30default_config_static_selectorELNS0_4arch9wavefront6targetE1EEEvT1_
	.p2align	8
	.type	_ZN7rocprim17ROCPRIM_400000_NS6detail17trampoline_kernelINS0_14default_configENS1_27scan_by_key_config_selectorIiiEEZZNS1_16scan_by_key_implILNS1_25lookback_scan_determinismE0ELb0ES3_PKiN6hipcub16HIPCUB_304000_NS21ConstantInputIteratorIilEEPiiNSB_3SumENSB_8EqualityEiEE10hipError_tPvRmT2_T3_T4_T5_mT6_T7_P12ihipStream_tbENKUlT_T0_E_clISt17integral_constantIbLb1EESW_IbLb0EEEEDaSS_ST_EUlSS_E_NS1_11comp_targetILNS1_3genE5ELNS1_11target_archE942ELNS1_3gpuE9ELNS1_3repE0EEENS1_30default_config_static_selectorELNS0_4arch9wavefront6targetE1EEEvT1_,@function
_ZN7rocprim17ROCPRIM_400000_NS6detail17trampoline_kernelINS0_14default_configENS1_27scan_by_key_config_selectorIiiEEZZNS1_16scan_by_key_implILNS1_25lookback_scan_determinismE0ELb0ES3_PKiN6hipcub16HIPCUB_304000_NS21ConstantInputIteratorIilEEPiiNSB_3SumENSB_8EqualityEiEE10hipError_tPvRmT2_T3_T4_T5_mT6_T7_P12ihipStream_tbENKUlT_T0_E_clISt17integral_constantIbLb1EESW_IbLb0EEEEDaSS_ST_EUlSS_E_NS1_11comp_targetILNS1_3genE5ELNS1_11target_archE942ELNS1_3gpuE9ELNS1_3repE0EEENS1_30default_config_static_selectorELNS0_4arch9wavefront6targetE1EEEvT1_: ; @_ZN7rocprim17ROCPRIM_400000_NS6detail17trampoline_kernelINS0_14default_configENS1_27scan_by_key_config_selectorIiiEEZZNS1_16scan_by_key_implILNS1_25lookback_scan_determinismE0ELb0ES3_PKiN6hipcub16HIPCUB_304000_NS21ConstantInputIteratorIilEEPiiNSB_3SumENSB_8EqualityEiEE10hipError_tPvRmT2_T3_T4_T5_mT6_T7_P12ihipStream_tbENKUlT_T0_E_clISt17integral_constantIbLb1EESW_IbLb0EEEEDaSS_ST_EUlSS_E_NS1_11comp_targetILNS1_3genE5ELNS1_11target_archE942ELNS1_3gpuE9ELNS1_3repE0EEENS1_30default_config_static_selectorELNS0_4arch9wavefront6targetE1EEEvT1_
; %bb.0:
	s_load_dwordx2 s[70:71], s[0:1], 0x40
	s_load_dword s8, s[0:1], 0x48
	s_load_dwordx4 s[64:67], s[0:1], 0x30
	s_load_dwordx4 s[4:7], s[0:1], 0x0
	s_load_dword s3, s[0:1], 0x10
	s_load_dwordx8 s[56:63], s[0:1], 0x50
	s_waitcnt lgkmcnt(0)
	s_mul_i32 s9, s71, s8
	s_mul_hi_u32 s10, s70, s8
	s_add_i32 s11, s10, s9
	s_lshl_b64 s[68:69], s[6:7], 2
	s_add_u32 s6, s4, s68
	s_addc_u32 s7, s5, s69
	s_cmp_lg_u64 s[60:61], 0
	s_mul_i32 s4, s2, 0x1700
	s_mov_b32 s5, 0
	s_mul_i32 s10, s70, s8
	s_cselect_b64 s[8:9], -1, 0
	s_lshl_b64 s[60:61], s[4:5], 2
	s_add_u32 s6, s6, s60
	s_addc_u32 s7, s7, s61
	s_add_u32 s10, s10, s2
	s_addc_u32 s11, s11, 0
	s_add_u32 s4, s56, -1
	s_addc_u32 s5, s57, -1
	v_mov_b64_e32 v[2:3], s[4:5]
	v_cmp_ge_u64_e64 s[54:55], s[10:11], v[2:3]
	s_mov_b64 s[16:17], 0
	s_mov_b64 s[12:13], -1
	s_and_b64 vcc, exec, s[54:55]
	s_mul_i32 s33, s4, 0xffffe900
	s_barrier
	s_cbranch_vccz .LBB34_98
; %bb.1:
	s_load_dword s12, s[6:7], 0x0
	s_add_i32 s67, s33, s66
	v_cmp_gt_u32_e32 vcc, s67, v0
	s_waitcnt lgkmcnt(0)
	v_mov_b32_e32 v1, s12
	s_and_saveexec_b64 s[4:5], vcc
	s_cbranch_execz .LBB34_3
; %bb.2:
	v_lshlrev_b32_e32 v1, 2, v0
	global_load_dword v1, v1, s[6:7]
.LBB34_3:
	s_or_b64 exec, exec, s[4:5]
	v_or_b32_e32 v2, 0x100, v0
	v_cmp_gt_u32_e32 vcc, s67, v2
	v_mov_b32_e32 v2, s12
	s_and_saveexec_b64 s[4:5], vcc
	s_cbranch_execz .LBB34_5
; %bb.4:
	v_lshlrev_b32_e32 v2, 2, v0
	global_load_dword v2, v2, s[6:7] offset:1024
.LBB34_5:
	s_or_b64 exec, exec, s[4:5]
	v_or_b32_e32 v3, 0x200, v0
	v_cmp_gt_u32_e32 vcc, s67, v3
	v_mov_b32_e32 v3, s12
	s_and_saveexec_b64 s[4:5], vcc
	s_cbranch_execz .LBB34_7
; %bb.6:
	v_lshlrev_b32_e32 v3, 2, v0
	global_load_dword v3, v3, s[6:7] offset:2048
.LBB34_7:
	;; [unrolled: 10-line block ×3, first 2 shown]
	s_or_b64 exec, exec, s[4:5]
	v_or_b32_e32 v6, 0x400, v0
	v_cmp_gt_u32_e32 vcc, s67, v6
	v_mov_b32_e32 v5, s12
	s_and_saveexec_b64 s[4:5], vcc
	s_cbranch_execz .LBB34_11
; %bb.10:
	v_lshlrev_b32_e32 v5, 2, v6
	global_load_dword v5, v5, s[6:7]
.LBB34_11:
	s_or_b64 exec, exec, s[4:5]
	v_or_b32_e32 v7, 0x500, v0
	v_cmp_gt_u32_e32 vcc, s67, v7
	v_mov_b32_e32 v6, s12
	s_and_saveexec_b64 s[4:5], vcc
	s_cbranch_execz .LBB34_13
; %bb.12:
	v_lshlrev_b32_e32 v6, 2, v7
	global_load_dword v6, v6, s[6:7]
.LBB34_13:
	;; [unrolled: 10-line block ×19, first 2 shown]
	s_or_b64 exec, exec, s[4:5]
	v_lshlrev_b32_e32 v18, 2, v0
	s_movk_i32 s4, 0x58
	s_waitcnt vmcnt(0)
	ds_write2st64_b32 v18, v1, v2 offset1:4
	ds_write2st64_b32 v18, v3, v4 offset0:8 offset1:12
	ds_write2st64_b32 v18, v5, v6 offset0:16 offset1:20
	;; [unrolled: 1-line block ×10, first 2 shown]
	ds_write_b32 v18, v24 offset:22528
	v_mad_u32_u24 v1, v0, s4, v18
	s_waitcnt lgkmcnt(0)
	s_barrier
	ds_read2_b32 v[68:69], v1 offset1:1
	ds_read2_b32 v[66:67], v1 offset0:2 offset1:3
	ds_read2_b32 v[64:65], v1 offset0:4 offset1:5
	;; [unrolled: 1-line block ×10, first 2 shown]
	ds_read_b32 v72, v1 offset:88
	s_cmp_eq_u64 s[10:11], 0
	s_mov_b64 s[4:5], s[6:7]
	s_cbranch_scc1 .LBB34_51
; %bb.48:
	s_andn2_b64 vcc, exec, s[8:9]
	s_cbranch_vccnz .LBB34_221
; %bb.49:
	s_lshl_b64 s[4:5], s[10:11], 2
	s_add_u32 s4, s62, s4
	s_addc_u32 s5, s63, s5
	s_add_u32 s4, s4, -4
	s_addc_u32 s5, s5, -1
	s_cbranch_execnz .LBB34_51
.LBB34_50:
	s_add_u32 s4, s6, -4
	s_addc_u32 s5, s7, -1
.LBB34_51:
	s_load_dword s4, s[4:5], 0x0
	s_movk_i32 s5, 0xffa8
	v_mad_i32_i24 v2, v0, s5, v1
	s_waitcnt lgkmcnt(0)
	ds_write_b32 v2, v72 offset:23552
	v_cmp_ne_u32_e32 vcc, 0, v0
	v_mov_b32_e32 v2, s4
	s_waitcnt lgkmcnt(0)
	s_barrier
	s_and_saveexec_b64 s[4:5], vcc
	s_cbranch_execz .LBB34_53
; %bb.52:
	v_mul_i32_i24_e32 v2, 0xffffffa8, v0
	v_add_u32_e32 v2, v1, v2
	ds_read_b32 v2, v2 offset:23548
.LBB34_53:
	s_or_b64 exec, exec, s[4:5]
	v_mul_u32_u24_e32 v73, 23, v0
	v_mov_b32_e32 v3, s3
	v_mov_b64_e32 v[10:11], 0
	s_waitcnt lgkmcnt(0)
	s_barrier
	ds_write2st64_b32 v18, v3, v3 offset1:4
	ds_write2st64_b32 v18, v3, v3 offset0:8 offset1:12
	ds_write2st64_b32 v18, v3, v3 offset0:16 offset1:20
	;; [unrolled: 1-line block ×10, first 2 shown]
	ds_write_b32 v18, v3 offset:22528
	v_cmp_gt_u32_e32 vcc, s67, v73
	s_mov_b64 s[12:13], 0
	v_mov_b64_e32 v[12:13], v[10:11]
	v_mov_b64_e32 v[14:15], v[10:11]
	;; [unrolled: 1-line block ×21, first 2 shown]
	s_waitcnt lgkmcnt(0)
	s_barrier
	s_waitcnt lgkmcnt(0)
                                        ; implicit-def: $sgpr4_sgpr5
                                        ; implicit-def: $vgpr3
	s_and_saveexec_b64 s[14:15], vcc
	s_cbranch_execz .LBB34_97
; %bb.54:
	ds_read_b32 v10, v1
	v_add_u32_e32 v3, 1, v73
	v_cmp_ne_u32_e32 vcc, v2, v68
	v_mov_b64_e32 v[12:13], 0
	s_mov_b64 s[18:19], 0
	v_cndmask_b32_e64 v11, 0, 1, vcc
	v_cmp_gt_u32_e32 vcc, s67, v3
	s_mov_b64 s[4:5], 0
	v_mov_b64_e32 v[14:15], v[12:13]
	v_mov_b64_e32 v[16:17], v[12:13]
	;; [unrolled: 1-line block ×20, first 2 shown]
                                        ; implicit-def: $sgpr20_sgpr21
                                        ; implicit-def: $vgpr3
	s_and_saveexec_b64 s[16:17], vcc
	s_cbranch_execz .LBB34_96
; %bb.55:
	ds_read2_b32 v[70:71], v1 offset0:1 offset1:2
	v_add_u32_e32 v2, 2, v73
	v_cmp_ne_u32_e32 vcc, v68, v69
	v_mov_b64_e32 v[14:15], 0
	s_mov_b64 s[22:23], 0
	v_cndmask_b32_e64 v13, 0, 1, vcc
	v_cmp_gt_u32_e32 vcc, s67, v2
	s_waitcnt lgkmcnt(0)
	v_mov_b32_e32 v12, v70
	v_mov_b64_e32 v[16:17], v[14:15]
	v_mov_b64_e32 v[18:19], v[14:15]
	;; [unrolled: 1-line block ×19, first 2 shown]
                                        ; implicit-def: $sgpr20_sgpr21
                                        ; implicit-def: $vgpr3
	s_and_saveexec_b64 s[18:19], vcc
	s_cbranch_execz .LBB34_95
; %bb.56:
	v_add_u32_e32 v2, 3, v73
	v_cmp_ne_u32_e32 vcc, v69, v66
	v_mov_b64_e32 v[16:17], 0
	v_mov_b32_e32 v14, v71
	v_cndmask_b32_e64 v15, 0, 1, vcc
	v_cmp_gt_u32_e32 vcc, s67, v2
	v_mov_b64_e32 v[18:19], v[16:17]
	v_mov_b64_e32 v[20:21], v[16:17]
	;; [unrolled: 1-line block ×18, first 2 shown]
                                        ; implicit-def: $sgpr24_sgpr25
                                        ; implicit-def: $vgpr3
	s_and_saveexec_b64 s[20:21], vcc
	s_cbranch_execz .LBB34_94
; %bb.57:
	ds_read2_b32 v[68:69], v1 offset0:3 offset1:4
	v_add_u32_e32 v2, 4, v73
	v_cmp_ne_u32_e32 vcc, v66, v67
	v_mov_b64_e32 v[18:19], 0
	s_mov_b64 s[26:27], 0
	v_cndmask_b32_e64 v17, 0, 1, vcc
	v_cmp_gt_u32_e32 vcc, s67, v2
	s_waitcnt lgkmcnt(0)
	v_mov_b32_e32 v16, v68
	v_mov_b64_e32 v[20:21], v[18:19]
	v_mov_b64_e32 v[22:23], v[18:19]
	v_mov_b64_e32 v[24:25], v[18:19]
	v_mov_b64_e32 v[26:27], v[18:19]
	v_mov_b64_e32 v[28:29], v[18:19]
	v_mov_b64_e32 v[30:31], v[18:19]
	v_mov_b64_e32 v[32:33], v[18:19]
	v_mov_b64_e32 v[34:35], v[18:19]
	v_mov_b64_e32 v[36:37], v[18:19]
	v_mov_b64_e32 v[38:39], v[18:19]
	v_mov_b64_e32 v[40:41], v[18:19]
	v_mov_b64_e32 v[42:43], v[18:19]
	v_mov_b64_e32 v[44:45], v[18:19]
	v_mov_b64_e32 v[46:47], v[18:19]
	v_mov_b64_e32 v[48:49], v[18:19]
	v_mov_b64_e32 v[50:51], v[18:19]
	v_mov_b64_e32 v[52:53], v[18:19]
                                        ; implicit-def: $sgpr24_sgpr25
                                        ; implicit-def: $vgpr3
	s_and_saveexec_b64 s[22:23], vcc
	s_cbranch_execz .LBB34_93
; %bb.58:
	v_add_u32_e32 v2, 5, v73
	v_cmp_ne_u32_e32 vcc, v67, v64
	v_mov_b64_e32 v[20:21], 0
	v_mov_b32_e32 v18, v69
	v_cndmask_b32_e64 v19, 0, 1, vcc
	v_cmp_gt_u32_e32 vcc, s67, v2
	v_mov_b64_e32 v[22:23], v[20:21]
	v_mov_b64_e32 v[24:25], v[20:21]
	;; [unrolled: 1-line block ×16, first 2 shown]
                                        ; implicit-def: $sgpr28_sgpr29
                                        ; implicit-def: $vgpr3
	s_and_saveexec_b64 s[24:25], vcc
	s_cbranch_execz .LBB34_92
; %bb.59:
	ds_read2_b32 v[66:67], v1 offset0:5 offset1:6
	v_add_u32_e32 v2, 6, v73
	v_cmp_ne_u32_e32 vcc, v64, v65
	v_mov_b64_e32 v[22:23], 0
	s_mov_b64 s[30:31], 0
	v_cndmask_b32_e64 v21, 0, 1, vcc
	v_cmp_gt_u32_e32 vcc, s67, v2
	s_waitcnt lgkmcnt(0)
	v_mov_b32_e32 v20, v66
	v_mov_b64_e32 v[24:25], v[22:23]
	v_mov_b64_e32 v[26:27], v[22:23]
	;; [unrolled: 1-line block ×15, first 2 shown]
                                        ; implicit-def: $sgpr28_sgpr29
                                        ; implicit-def: $vgpr3
	s_and_saveexec_b64 s[26:27], vcc
	s_cbranch_execz .LBB34_91
; %bb.60:
	v_add_u32_e32 v2, 7, v73
	v_cmp_ne_u32_e32 vcc, v65, v62
	v_mov_b64_e32 v[24:25], 0
	v_mov_b32_e32 v22, v67
	v_cndmask_b32_e64 v23, 0, 1, vcc
	v_cmp_gt_u32_e32 vcc, s67, v2
	v_mov_b64_e32 v[26:27], v[24:25]
	v_mov_b64_e32 v[28:29], v[24:25]
	;; [unrolled: 1-line block ×14, first 2 shown]
                                        ; implicit-def: $sgpr34_sgpr35
                                        ; implicit-def: $vgpr3
	s_and_saveexec_b64 s[28:29], vcc
	s_cbranch_execz .LBB34_90
; %bb.61:
	ds_read2_b32 v[64:65], v1 offset0:7 offset1:8
	v_add_u32_e32 v2, 8, v73
	v_cmp_ne_u32_e32 vcc, v62, v63
	v_mov_b64_e32 v[26:27], 0
	s_mov_b64 s[36:37], 0
	v_cndmask_b32_e64 v25, 0, 1, vcc
	v_cmp_gt_u32_e32 vcc, s67, v2
	s_waitcnt lgkmcnt(0)
	v_mov_b32_e32 v24, v64
	v_mov_b64_e32 v[28:29], v[26:27]
	v_mov_b64_e32 v[30:31], v[26:27]
	;; [unrolled: 1-line block ×13, first 2 shown]
                                        ; implicit-def: $sgpr34_sgpr35
                                        ; implicit-def: $vgpr3
	s_and_saveexec_b64 s[30:31], vcc
	s_cbranch_execz .LBB34_89
; %bb.62:
	v_add_u32_e32 v2, 9, v73
	v_cmp_ne_u32_e32 vcc, v63, v60
	v_mov_b64_e32 v[28:29], 0
	v_mov_b32_e32 v26, v65
	v_cndmask_b32_e64 v27, 0, 1, vcc
	v_cmp_gt_u32_e32 vcc, s67, v2
	v_mov_b64_e32 v[30:31], v[28:29]
	v_mov_b64_e32 v[32:33], v[28:29]
	;; [unrolled: 1-line block ×12, first 2 shown]
                                        ; implicit-def: $sgpr38_sgpr39
                                        ; implicit-def: $vgpr3
	s_and_saveexec_b64 s[34:35], vcc
	s_cbranch_execz .LBB34_88
; %bb.63:
	ds_read2_b32 v[62:63], v1 offset0:9 offset1:10
	v_add_u32_e32 v2, 10, v73
	v_cmp_ne_u32_e32 vcc, v60, v61
	v_mov_b64_e32 v[30:31], 0
	s_mov_b64 s[40:41], 0
	v_cndmask_b32_e64 v29, 0, 1, vcc
	v_cmp_gt_u32_e32 vcc, s67, v2
	s_waitcnt lgkmcnt(0)
	v_mov_b32_e32 v28, v62
	v_mov_b64_e32 v[32:33], v[30:31]
	v_mov_b64_e32 v[34:35], v[30:31]
	;; [unrolled: 1-line block ×11, first 2 shown]
                                        ; implicit-def: $sgpr38_sgpr39
                                        ; implicit-def: $vgpr3
	s_and_saveexec_b64 s[36:37], vcc
	s_cbranch_execz .LBB34_87
; %bb.64:
	v_add_u32_e32 v2, 11, v73
	v_cmp_ne_u32_e32 vcc, v61, v58
	v_mov_b64_e32 v[32:33], 0
	v_mov_b32_e32 v30, v63
	v_cndmask_b32_e64 v31, 0, 1, vcc
	v_cmp_gt_u32_e32 vcc, s67, v2
	v_mov_b64_e32 v[34:35], v[32:33]
	v_mov_b64_e32 v[36:37], v[32:33]
	;; [unrolled: 1-line block ×10, first 2 shown]
                                        ; implicit-def: $sgpr42_sgpr43
                                        ; implicit-def: $vgpr3
	s_and_saveexec_b64 s[38:39], vcc
	s_cbranch_execz .LBB34_86
; %bb.65:
	ds_read2_b32 v[60:61], v1 offset0:11 offset1:12
	v_add_u32_e32 v2, 12, v73
	v_cmp_ne_u32_e32 vcc, v58, v59
	v_mov_b64_e32 v[34:35], 0
	s_mov_b64 s[44:45], 0
	v_cndmask_b32_e64 v33, 0, 1, vcc
	v_cmp_gt_u32_e32 vcc, s67, v2
	s_waitcnt lgkmcnt(0)
	v_mov_b32_e32 v32, v60
	v_mov_b64_e32 v[36:37], v[34:35]
	v_mov_b64_e32 v[38:39], v[34:35]
	v_mov_b64_e32 v[40:41], v[34:35]
	v_mov_b64_e32 v[42:43], v[34:35]
	v_mov_b64_e32 v[44:45], v[34:35]
	v_mov_b64_e32 v[46:47], v[34:35]
	v_mov_b64_e32 v[48:49], v[34:35]
	v_mov_b64_e32 v[50:51], v[34:35]
	v_mov_b64_e32 v[52:53], v[34:35]
                                        ; implicit-def: $sgpr42_sgpr43
                                        ; implicit-def: $vgpr3
	s_and_saveexec_b64 s[40:41], vcc
	s_cbranch_execz .LBB34_85
; %bb.66:
	v_add_u32_e32 v2, 13, v73
	v_cmp_ne_u32_e32 vcc, v59, v56
	v_mov_b64_e32 v[36:37], 0
	v_mov_b32_e32 v34, v61
	v_cndmask_b32_e64 v35, 0, 1, vcc
	v_cmp_gt_u32_e32 vcc, s67, v2
	v_mov_b64_e32 v[38:39], v[36:37]
	v_mov_b64_e32 v[40:41], v[36:37]
	;; [unrolled: 1-line block ×8, first 2 shown]
                                        ; implicit-def: $sgpr46_sgpr47
                                        ; implicit-def: $vgpr3
	s_and_saveexec_b64 s[42:43], vcc
	s_cbranch_execz .LBB34_84
; %bb.67:
	ds_read2_b32 v[58:59], v1 offset0:13 offset1:14
	v_add_u32_e32 v2, 14, v73
	v_cmp_ne_u32_e32 vcc, v56, v57
	v_mov_b64_e32 v[38:39], 0
	s_mov_b64 s[48:49], 0
	v_cndmask_b32_e64 v37, 0, 1, vcc
	v_cmp_gt_u32_e32 vcc, s67, v2
	s_waitcnt lgkmcnt(0)
	v_mov_b32_e32 v36, v58
	v_mov_b64_e32 v[40:41], v[38:39]
	v_mov_b64_e32 v[42:43], v[38:39]
	;; [unrolled: 1-line block ×7, first 2 shown]
                                        ; implicit-def: $sgpr46_sgpr47
                                        ; implicit-def: $vgpr3
	s_and_saveexec_b64 s[44:45], vcc
	s_cbranch_execz .LBB34_83
; %bb.68:
	v_add_u32_e32 v2, 15, v73
	v_cmp_ne_u32_e32 vcc, v57, v54
	v_mov_b64_e32 v[40:41], 0
	v_mov_b32_e32 v38, v59
	v_cndmask_b32_e64 v39, 0, 1, vcc
	v_cmp_gt_u32_e32 vcc, s67, v2
	v_mov_b64_e32 v[42:43], v[40:41]
	v_mov_b64_e32 v[44:45], v[40:41]
	;; [unrolled: 1-line block ×6, first 2 shown]
                                        ; implicit-def: $sgpr50_sgpr51
                                        ; implicit-def: $vgpr3
	s_and_saveexec_b64 s[46:47], vcc
	s_cbranch_execz .LBB34_82
; %bb.69:
	ds_read2_b32 v[56:57], v1 offset0:15 offset1:16
	v_add_u32_e32 v2, 16, v73
	v_cmp_ne_u32_e32 vcc, v54, v55
	v_mov_b64_e32 v[42:43], 0
	s_mov_b64 s[52:53], 0
	v_cndmask_b32_e64 v41, 0, 1, vcc
	v_cmp_gt_u32_e32 vcc, s67, v2
	s_waitcnt lgkmcnt(0)
	v_mov_b32_e32 v40, v56
	v_mov_b64_e32 v[44:45], v[42:43]
	v_mov_b64_e32 v[46:47], v[42:43]
	;; [unrolled: 1-line block ×5, first 2 shown]
                                        ; implicit-def: $sgpr50_sgpr51
                                        ; implicit-def: $vgpr3
	s_and_saveexec_b64 s[48:49], vcc
	s_cbranch_execz .LBB34_81
; %bb.70:
	v_add_u32_e32 v2, 17, v73
	v_cmp_ne_u32_e32 vcc, v55, v8
	v_mov_b64_e32 v[44:45], 0
	v_mov_b32_e32 v42, v57
	v_cndmask_b32_e64 v43, 0, 1, vcc
	v_cmp_gt_u32_e32 vcc, s67, v2
	v_mov_b64_e32 v[46:47], v[44:45]
	v_mov_b64_e32 v[48:49], v[44:45]
	;; [unrolled: 1-line block ×4, first 2 shown]
                                        ; implicit-def: $sgpr56_sgpr57
                                        ; implicit-def: $vgpr3
	s_and_saveexec_b64 s[50:51], vcc
	s_cbranch_execz .LBB34_80
; %bb.71:
	ds_read2_b32 v[54:55], v1 offset0:17 offset1:18
	v_add_u32_e32 v2, 18, v73
	v_cmp_ne_u32_e32 vcc, v8, v9
	v_mov_b64_e32 v[46:47], 0
	s_mov_b64 s[72:73], 0
	v_cndmask_b32_e64 v45, 0, 1, vcc
	v_cmp_gt_u32_e32 vcc, s67, v2
	s_waitcnt lgkmcnt(0)
	v_mov_b32_e32 v44, v54
	v_mov_b64_e32 v[48:49], v[46:47]
	v_mov_b64_e32 v[50:51], v[46:47]
	;; [unrolled: 1-line block ×3, first 2 shown]
                                        ; implicit-def: $sgpr56_sgpr57
                                        ; implicit-def: $vgpr3
	s_and_saveexec_b64 s[52:53], vcc
	s_cbranch_execz .LBB34_79
; %bb.72:
	v_add_u32_e32 v2, 19, v73
	v_cmp_ne_u32_e32 vcc, v9, v6
	v_mov_b64_e32 v[48:49], 0
	v_mov_b32_e32 v46, v55
	v_cndmask_b32_e64 v47, 0, 1, vcc
	v_cmp_gt_u32_e32 vcc, s67, v2
	v_mov_b64_e32 v[50:51], v[48:49]
	v_mov_b64_e32 v[52:53], v[48:49]
                                        ; implicit-def: $sgpr74_sgpr75
                                        ; implicit-def: $vgpr3
	s_and_saveexec_b64 s[56:57], vcc
	s_cbranch_execz .LBB34_78
; %bb.73:
	ds_read2_b32 v[8:9], v1 offset0:19 offset1:20
	v_add_u32_e32 v2, 20, v73
	v_cmp_ne_u32_e32 vcc, v6, v7
	v_mov_b64_e32 v[50:51], 0
	s_mov_b64 s[74:75], 0
	v_cndmask_b32_e64 v49, 0, 1, vcc
	v_cmp_gt_u32_e32 vcc, s67, v2
	s_waitcnt lgkmcnt(0)
	v_mov_b32_e32 v48, v8
	v_mov_b64_e32 v[52:53], v[50:51]
                                        ; implicit-def: $sgpr76_sgpr77
                                        ; implicit-def: $vgpr3
	s_and_saveexec_b64 s[72:73], vcc
	s_cbranch_execz .LBB34_77
; %bb.74:
	v_add_u32_e32 v2, 21, v73
	v_cmp_ne_u32_e32 vcc, v7, v4
	v_mov_b32_e32 v50, v9
	v_mov_b64_e32 v[52:53], 0
	v_cndmask_b32_e64 v51, 0, 1, vcc
	v_cmp_gt_u32_e32 vcc, s67, v2
                                        ; implicit-def: $sgpr76_sgpr77
                                        ; implicit-def: $vgpr3
	s_and_saveexec_b64 s[4:5], vcc
	s_xor_b64 s[78:79], exec, s[4:5]
	s_cbranch_execz .LBB34_76
; %bb.75:
	ds_read2_b32 v[2:3], v1 offset0:21 offset1:22
	v_add_u32_e32 v1, 22, v73
	v_cmp_ne_u32_e64 s[4:5], v4, v5
	v_cmp_ne_u32_e32 vcc, v5, v72
	s_and_b64 s[76:77], vcc, exec
	v_cndmask_b32_e64 v53, 0, 1, s[4:5]
	v_cmp_gt_u32_e64 s[4:5], s67, v1
	s_waitcnt lgkmcnt(0)
	v_mov_b32_e32 v52, v2
	s_and_b64 s[74:75], s[4:5], exec
.LBB34_76:
	s_or_b64 exec, exec, s[78:79]
	s_and_b64 s[76:77], s[76:77], exec
	s_and_b64 s[4:5], s[74:75], exec
.LBB34_77:
	s_or_b64 exec, exec, s[72:73]
	s_and_b64 s[74:75], s[76:77], exec
	s_and_b64 s[72:73], s[4:5], exec
.LBB34_78:
	s_or_b64 exec, exec, s[56:57]
	s_and_b64 s[56:57], s[74:75], exec
	s_and_b64 s[4:5], s[72:73], exec
.LBB34_79:
	s_or_b64 exec, exec, s[52:53]
	s_and_b64 s[56:57], s[56:57], exec
	s_and_b64 s[52:53], s[4:5], exec
.LBB34_80:
	s_or_b64 exec, exec, s[50:51]
	s_and_b64 s[50:51], s[56:57], exec
	s_and_b64 s[4:5], s[52:53], exec
.LBB34_81:
	s_or_b64 exec, exec, s[48:49]
	s_and_b64 s[50:51], s[50:51], exec
	s_and_b64 s[48:49], s[4:5], exec
.LBB34_82:
	s_or_b64 exec, exec, s[46:47]
	s_and_b64 s[46:47], s[50:51], exec
	s_and_b64 s[4:5], s[48:49], exec
.LBB34_83:
	s_or_b64 exec, exec, s[44:45]
	s_and_b64 s[46:47], s[46:47], exec
	s_and_b64 s[44:45], s[4:5], exec
.LBB34_84:
	s_or_b64 exec, exec, s[42:43]
	s_and_b64 s[42:43], s[46:47], exec
	s_and_b64 s[4:5], s[44:45], exec
.LBB34_85:
	s_or_b64 exec, exec, s[40:41]
	s_and_b64 s[42:43], s[42:43], exec
	s_and_b64 s[40:41], s[4:5], exec
.LBB34_86:
	s_or_b64 exec, exec, s[38:39]
	s_and_b64 s[38:39], s[42:43], exec
	s_and_b64 s[4:5], s[40:41], exec
.LBB34_87:
	s_or_b64 exec, exec, s[36:37]
	s_and_b64 s[38:39], s[38:39], exec
	s_and_b64 s[36:37], s[4:5], exec
.LBB34_88:
	s_or_b64 exec, exec, s[34:35]
	s_and_b64 s[34:35], s[38:39], exec
	s_and_b64 s[4:5], s[36:37], exec
.LBB34_89:
	s_or_b64 exec, exec, s[30:31]
	s_and_b64 s[34:35], s[34:35], exec
	s_and_b64 s[30:31], s[4:5], exec
.LBB34_90:
	s_or_b64 exec, exec, s[28:29]
	s_and_b64 s[28:29], s[34:35], exec
	s_and_b64 s[4:5], s[30:31], exec
.LBB34_91:
	s_or_b64 exec, exec, s[26:27]
	s_and_b64 s[28:29], s[28:29], exec
	s_and_b64 s[26:27], s[4:5], exec
.LBB34_92:
	s_or_b64 exec, exec, s[24:25]
	s_and_b64 s[24:25], s[28:29], exec
	s_and_b64 s[4:5], s[26:27], exec
.LBB34_93:
	s_or_b64 exec, exec, s[22:23]
	s_and_b64 s[24:25], s[24:25], exec
	s_and_b64 s[22:23], s[4:5], exec
.LBB34_94:
	s_or_b64 exec, exec, s[20:21]
	s_and_b64 s[20:21], s[24:25], exec
	s_and_b64 s[4:5], s[22:23], exec
.LBB34_95:
	s_or_b64 exec, exec, s[18:19]
	s_and_b64 s[20:21], s[20:21], exec
	s_and_b64 s[18:19], s[4:5], exec
.LBB34_96:
	s_or_b64 exec, exec, s[16:17]
	s_and_b64 s[4:5], s[20:21], exec
	s_and_b64 s[16:17], s[18:19], exec
.LBB34_97:
	s_or_b64 exec, exec, s[14:15]
	s_mov_b64 s[14:15], 0
	s_and_b64 vcc, exec, s[12:13]
	v_lshlrev_b32_e32 v54, 2, v0
	s_cbranch_vccnz .LBB34_99
	s_branch .LBB34_107
.LBB34_98:
                                        ; implicit-def: $sgpr4_sgpr5
                                        ; implicit-def: $vgpr3
                                        ; implicit-def: $vgpr10_vgpr11
                                        ; implicit-def: $vgpr12_vgpr13
                                        ; implicit-def: $vgpr14_vgpr15
                                        ; implicit-def: $vgpr16_vgpr17
                                        ; implicit-def: $vgpr18_vgpr19
                                        ; implicit-def: $vgpr20_vgpr21
                                        ; implicit-def: $vgpr22_vgpr23
                                        ; implicit-def: $vgpr24_vgpr25
                                        ; implicit-def: $vgpr26_vgpr27
                                        ; implicit-def: $vgpr28_vgpr29
                                        ; implicit-def: $vgpr30_vgpr31
                                        ; implicit-def: $vgpr32_vgpr33
                                        ; implicit-def: $vgpr34_vgpr35
                                        ; implicit-def: $vgpr36_vgpr37
                                        ; implicit-def: $vgpr38_vgpr39
                                        ; implicit-def: $vgpr40_vgpr41
                                        ; implicit-def: $vgpr42_vgpr43
                                        ; implicit-def: $vgpr44_vgpr45
                                        ; implicit-def: $vgpr46_vgpr47
                                        ; implicit-def: $vgpr48_vgpr49
                                        ; implicit-def: $vgpr50_vgpr51
                                        ; implicit-def: $vgpr52_vgpr53
                                        ; implicit-def: $sgpr14_sgpr15
	s_and_b64 vcc, exec, s[12:13]
	v_lshlrev_b32_e32 v54, 2, v0
	s_cbranch_vccz .LBB34_107
.LBB34_99:
	v_mov_b32_e32 v55, 0
	v_lshl_add_u64 v[2:3], s[6:7], 0, v[54:55]
	v_add_co_u32_e32 v4, vcc, 0x1000, v2
	global_load_dword v8, v54, s[6:7]
	global_load_dword v9, v54, s[6:7] offset:1024
	s_waitcnt lgkmcnt(0)
	global_load_dword v10, v54, s[6:7] offset:2048
	global_load_dword v11, v54, s[6:7] offset:3072
	v_addc_co_u32_e32 v5, vcc, 0, v3, vcc
	v_add_co_u32_e32 v6, vcc, 0x2000, v2
	s_movk_i32 s4, 0x58
	s_nop 0
	v_addc_co_u32_e32 v7, vcc, 0, v3, vcc
	global_load_dword v12, v[4:5], off
	global_load_dword v13, v[4:5], off offset:1024
	global_load_dword v14, v[4:5], off offset:2048
	;; [unrolled: 1-line block ×3, first 2 shown]
	global_load_dword v16, v[6:7], off
	global_load_dword v17, v[6:7], off offset:1024
	global_load_dword v18, v[6:7], off offset:2048
	;; [unrolled: 1-line block ×3, first 2 shown]
	v_add_co_u32_e32 v4, vcc, 0x3000, v2
	v_mad_u32_u24 v1, v0, s4, v54
	s_nop 0
	v_addc_co_u32_e32 v5, vcc, 0, v3, vcc
	v_add_co_u32_e32 v6, vcc, 0x4000, v2
	s_cmp_eq_u64 s[10:11], 0
	s_nop 0
	v_addc_co_u32_e32 v7, vcc, 0, v3, vcc
	v_add_co_u32_e32 v2, vcc, 0x5000, v2
	global_load_dword v20, v[4:5], off
	global_load_dword v21, v[4:5], off offset:1024
	global_load_dword v22, v[4:5], off offset:2048
	;; [unrolled: 1-line block ×3, first 2 shown]
	global_load_dword v24, v[6:7], off
	global_load_dword v25, v[6:7], off offset:1024
	global_load_dword v26, v[6:7], off offset:2048
	;; [unrolled: 1-line block ×3, first 2 shown]
	v_addc_co_u32_e32 v3, vcc, 0, v3, vcc
	global_load_dword v4, v[2:3], off
	global_load_dword v5, v[2:3], off offset:1024
	global_load_dword v6, v[2:3], off offset:2048
	s_waitcnt vmcnt(21)
	ds_write2st64_b32 v54, v8, v9 offset1:4
	s_waitcnt vmcnt(19)
	ds_write2st64_b32 v54, v10, v11 offset0:8 offset1:12
	s_waitcnt vmcnt(17)
	ds_write2st64_b32 v54, v12, v13 offset0:16 offset1:20
	;; [unrolled: 2-line block ×10, first 2 shown]
	s_waitcnt vmcnt(0)
	ds_write_b32 v54, v6 offset:22528
	s_waitcnt lgkmcnt(0)
	s_barrier
	ds_read2_b32 v[14:15], v1 offset1:1
	ds_read2_b32 v[18:19], v1 offset0:2 offset1:3
	ds_read2_b32 v[22:23], v1 offset0:4 offset1:5
	;; [unrolled: 1-line block ×10, first 2 shown]
	ds_read_b32 v2, v1 offset:88
	s_cbranch_scc1 .LBB34_104
; %bb.100:
	s_andn2_b64 vcc, exec, s[8:9]
	s_cbranch_vccnz .LBB34_222
; %bb.101:
	s_lshl_b64 s[4:5], s[10:11], 2
	s_add_u32 s4, s62, s4
	s_addc_u32 s5, s63, s5
	s_add_u32 s4, s4, -4
	s_addc_u32 s5, s5, -1
	s_cbranch_execnz .LBB34_103
.LBB34_102:
	s_add_u32 s4, s6, -4
	s_addc_u32 s5, s7, -1
.LBB34_103:
	s_mov_b64 s[6:7], s[4:5]
.LBB34_104:
	s_load_dword s4, s[6:7], 0x0
	s_movk_i32 s5, 0xffa8
	v_mad_i32_i24 v3, v0, s5, v1
	v_cmp_ne_u32_e32 vcc, 0, v0
	s_waitcnt lgkmcnt(0)
	ds_write_b32 v3, v2 offset:23552
	v_mov_b32_e32 v10, s4
	s_waitcnt lgkmcnt(0)
	s_barrier
	s_and_saveexec_b64 s[4:5], vcc
	s_cbranch_execz .LBB34_106
; %bb.105:
	v_mul_i32_i24_e32 v3, 0xffffffa8, v0
	v_add_u32_e32 v3, v1, v3
	ds_read_b32 v10, v3 offset:23548
.LBB34_106:
	s_or_b64 exec, exec, s[4:5]
	s_waitcnt lgkmcnt(0)
	v_cmp_ne_u32_e32 vcc, v10, v14
	v_cmp_ne_u32_e64 s[4:5], v5, v2
	v_mov_b32_e32 v2, s3
	v_cndmask_b32_e64 v11, 0, 1, vcc
	v_cmp_ne_u32_e32 vcc, v14, v15
	s_barrier
	s_nop 0
	v_cndmask_b32_e64 v13, 0, 1, vcc
	v_cmp_ne_u32_e32 vcc, v15, v18
	ds_write2st64_b32 v54, v2, v2 offset1:4
	ds_write2st64_b32 v54, v2, v2 offset0:8 offset1:12
	ds_write2st64_b32 v54, v2, v2 offset0:16 offset1:20
	;; [unrolled: 1-line block ×10, first 2 shown]
	ds_write_b32 v54, v2 offset:22528
	s_waitcnt lgkmcnt(0)
	s_barrier
	ds_read2_b32 v[16:17], v1 offset1:1
	ds_read2_b32 v[20:21], v1 offset0:2 offset1:3
	ds_read2_b32 v[24:25], v1 offset0:4 offset1:5
	;; [unrolled: 1-line block ×10, first 2 shown]
	ds_read_b32 v3, v1 offset:88
	v_cndmask_b32_e64 v15, 0, 1, vcc
	v_cmp_ne_u32_e32 vcc, v18, v19
	s_waitcnt lgkmcnt(11)
	v_mov_b32_e32 v12, v17
	v_mov_b32_e32 v10, v16
	v_cndmask_b32_e64 v17, 0, 1, vcc
	v_cmp_ne_u32_e32 vcc, v19, v22
	s_waitcnt lgkmcnt(10)
	v_mov_b32_e32 v16, v21
	v_mov_b32_e32 v14, v20
	;; [unrolled: 5-line block ×5, first 2 shown]
	v_cndmask_b32_e64 v25, 0, 1, vcc
	v_cmp_ne_u32_e32 vcc, v27, v30
	s_waitcnt lgkmcnt(6)
	v_mov_b32_e32 v32, v37
	s_waitcnt lgkmcnt(2)
	v_mov_b32_e32 v48, v51
	v_cndmask_b32_e64 v27, 0, 1, vcc
	v_cmp_ne_u32_e32 vcc, v30, v31
	v_mov_b32_e32 v30, v36
	v_mov_b32_e32 v36, v41
	v_cndmask_b32_e64 v29, 0, 1, vcc
	v_cmp_ne_u32_e32 vcc, v31, v34
	s_waitcnt lgkmcnt(1)
	v_mov_b32_e32 v52, v57
	s_mov_b64 s[16:17], -1
	v_cndmask_b32_e64 v31, 0, 1, vcc
	v_cmp_ne_u32_e32 vcc, v34, v35
	v_mov_b32_e32 v34, v40
	v_mov_b32_e32 v40, v45
	v_cndmask_b32_e64 v33, 0, 1, vcc
	v_cmp_ne_u32_e32 vcc, v35, v38
                                        ; implicit-def: $sgpr14_sgpr15
	s_nop 1
	v_cndmask_b32_e64 v35, 0, 1, vcc
	v_cmp_ne_u32_e32 vcc, v38, v39
	v_mov_b32_e32 v38, v44
	v_mov_b32_e32 v44, v47
	v_cndmask_b32_e64 v37, 0, 1, vcc
	v_cmp_ne_u32_e32 vcc, v39, v42
	s_nop 1
	v_cndmask_b32_e64 v39, 0, 1, vcc
	v_cmp_ne_u32_e32 vcc, v42, v43
	v_mov_b32_e32 v42, v46
	v_mov_b32_e32 v46, v50
	v_cndmask_b32_e64 v41, 0, 1, vcc
	v_cmp_ne_u32_e32 vcc, v43, v8
	v_mov_b32_e32 v50, v56
	s_nop 0
	v_cndmask_b32_e64 v43, 0, 1, vcc
	v_cmp_ne_u32_e32 vcc, v8, v9
	s_nop 1
	v_cndmask_b32_e64 v45, 0, 1, vcc
	v_cmp_ne_u32_e32 vcc, v9, v6
	;; [unrolled: 3-line block ×5, first 2 shown]
	s_nop 1
	v_cndmask_b32_e64 v53, 0, 1, vcc
.LBB34_107:
	v_mov_b64_e32 v[56:57], s[14:15]
	s_and_saveexec_b64 s[6:7], s[16:17]
	s_cbranch_execz .LBB34_109
; %bb.108:
	v_cndmask_b32_e64 v57, 0, 1, s[4:5]
	s_waitcnt lgkmcnt(0)
	v_mov_b32_e32 v56, v3
.LBB34_109:
	s_or_b64 exec, exec, s[6:7]
	s_mov_b32 s48, 0
	s_cmp_lg_u32 s2, 0
	v_or_b32_e32 v55, v57, v53
	v_lshrrev_b32_e32 v1, 5, v0
	v_cmp_gt_u32_e32 vcc, 64, v0
	s_waitcnt lgkmcnt(0)
	s_barrier
	s_cbranch_scc0 .LBB34_148
; %bb.110:
	s_mov_b32 s49, 1
	v_cmp_gt_u64_e64 s[4:5], s[48:49], v[12:13]
	v_cmp_gt_u64_e64 s[6:7], s[48:49], v[14:15]
	v_cmp_gt_u64_e64 s[8:9], s[48:49], v[16:17]
	v_cndmask_b32_e64 v2, 0, v10, s[4:5]
	v_add_u32_e32 v2, v2, v12
	v_cndmask_b32_e64 v2, 0, v2, s[6:7]
	v_add_u32_e32 v2, v2, v14
	v_cndmask_b32_e64 v2, 0, v2, s[8:9]
	v_add_u32_e32 v2, v2, v16
	v_cmp_gt_u64_e64 s[10:11], s[48:49], v[18:19]
	v_cmp_gt_u64_e64 s[12:13], s[48:49], v[20:21]
	v_cmp_gt_u64_e64 s[14:15], s[48:49], v[22:23]
	v_cndmask_b32_e64 v2, 0, v2, s[10:11]
	v_add_u32_e32 v2, v2, v18
	v_cndmask_b32_e64 v2, 0, v2, s[12:13]
	v_add_u32_e32 v2, v2, v20
	v_cndmask_b32_e64 v2, 0, v2, s[14:15]
	v_add_u32_e32 v2, v2, v22
	;; [unrolled: 9-line block ×7, first 2 shown]
	v_cmp_gt_u64_e64 s[48:49], s[48:49], v[56:57]
	s_nop 1
	v_cndmask_b32_e64 v2, 0, v2, s[48:49]
	v_add_u32_e32 v62, v2, v56
	v_or3_b32 v2, v55, v51, v49
	v_or3_b32 v2, v2, v47, v45
	v_or3_b32 v2, v2, v43, v41
	v_or3_b32 v2, v2, v39, v37
	v_or3_b32 v2, v2, v35, v33
	v_or3_b32 v2, v2, v31, v29
	v_or3_b32 v2, v2, v27, v25
	v_or3_b32 v2, v2, v23, v21
	v_or3_b32 v2, v2, v19, v17
	v_or3_b32 v2, v2, v15, v13
	v_and_b32_e32 v2, 1, v2
	v_cmp_eq_u32_e64 s[50:51], 1, v2
	v_add_lshl_u32 v2, v1, v0, 3
	s_nop 0
	v_cndmask_b32_e64 v63, v11, 1, s[50:51]
	ds_write_b32 v2, v62
	ds_write_b8 v2, v63 offset:4
	s_waitcnt lgkmcnt(0)
	s_barrier
	s_and_saveexec_b64 s[52:53], vcc
	s_cbranch_execz .LBB34_122
; %bb.111:
	v_lshrrev_b32_e32 v2, 3, v0
	v_add_lshl_u32 v4, v2, v54, 3
	ds_read2_b32 v[6:7], v4 offset0:2 offset1:4
	ds_read_b64 v[2:3], v4
	ds_read_u8 v8, v4 offset:12
	ds_read_u8 v9, v4 offset:20
	ds_read_b32 v58, v4 offset:24
	ds_read_u8 v59, v4 offset:28
	v_mov_b32_e32 v60, 0
	s_waitcnt lgkmcnt(3)
	v_cmp_eq_u16_sdwa s[50:51], v8, v60 src0_sel:BYTE_0 src1_sel:DWORD
	v_and_b32_e32 v5, 1, v3
	s_nop 0
	v_cndmask_b32_e64 v61, 0, v2, s[50:51]
	v_add_u32_e32 v6, v61, v6
	s_waitcnt lgkmcnt(2)
	v_cmp_eq_u16_sdwa s[50:51], v9, v60 src0_sel:BYTE_0 src1_sel:DWORD
	s_nop 1
	v_cndmask_b32_e64 v6, 0, v6, s[50:51]
	v_add_u32_e32 v6, v6, v7
	s_waitcnt lgkmcnt(0)
	v_cmp_eq_u16_e64 s[50:51], 0, v59
	s_nop 1
	v_cndmask_b32_e64 v6, 0, v6, s[50:51]
	v_add_u32_e32 v7, v6, v58
	v_or_b32_e32 v6, v59, v9
	v_or_b32_e32 v6, v6, v8
	v_and_b32_e32 v6, 1, v6
	v_cmp_eq_u32_e64 s[50:51], 1, v6
	v_mbcnt_lo_u32_b32 v8, -1, 0
	v_and_b32_e32 v6, 0xffffff00, v3
	v_cndmask_b32_e64 v9, v5, 1, s[50:51]
	v_mbcnt_hi_u32_b32 v8, -1, v8
	v_and_b32_e32 v59, 15, v8
	v_or_b32_sdwa v58, v6, v9 dst_sel:DWORD dst_unused:UNUSED_PAD src0_sel:DWORD src1_sel:WORD_0
	v_mov_b32_dpp v60, v7 row_shr:1 row_mask:0xf bank_mask:0xf
	v_cmp_ne_u32_e64 s[50:51], 0, v59
	v_mov_b32_dpp v61, v58 row_shr:1 row_mask:0xf bank_mask:0xf
	s_and_saveexec_b64 s[56:57], s[50:51]
; %bb.112:
	v_and_b32_e32 v58, 1, v9
	v_and_b32_e32 v61, 1, v61
	v_cmp_eq_u32_e64 s[50:51], 1, v58
	s_nop 1
	v_cndmask_b32_e64 v61, v61, 1, s[50:51]
	v_cmp_eq_u16_e64 s[50:51], 0, v9
	v_or_b32_sdwa v58, v6, v61 dst_sel:DWORD dst_unused:UNUSED_PAD src0_sel:DWORD src1_sel:WORD_0
	s_nop 0
	v_cndmask_b32_e64 v9, 0, v60, s[50:51]
	v_add_u32_e32 v7, v9, v7
	v_mov_b32_e32 v9, v61
; %bb.113:
	s_or_b64 exec, exec, s[56:57]
	v_mov_b32_dpp v60, v7 row_shr:2 row_mask:0xf bank_mask:0xf
	v_mov_b32_dpp v61, v58 row_shr:2 row_mask:0xf bank_mask:0xf
	v_cmp_lt_u32_e64 s[50:51], 1, v59
	s_and_saveexec_b64 s[56:57], s[50:51]
; %bb.114:
	v_and_b32_e32 v58, 1, v9
	v_and_b32_e32 v61, 1, v61
	v_cmp_eq_u32_e64 s[50:51], 1, v58
	s_nop 1
	v_cndmask_b32_e64 v61, v61, 1, s[50:51]
	v_cmp_eq_u16_e64 s[50:51], 0, v9
	v_or_b32_sdwa v58, v6, v61 dst_sel:DWORD dst_unused:UNUSED_PAD src0_sel:DWORD src1_sel:WORD_0
	s_nop 0
	v_cndmask_b32_e64 v9, 0, v60, s[50:51]
	v_add_u32_e32 v7, v9, v7
	v_mov_b32_e32 v9, v61
; %bb.115:
	s_or_b64 exec, exec, s[56:57]
	v_mov_b32_dpp v60, v7 row_shr:4 row_mask:0xf bank_mask:0xf
	v_mov_b32_dpp v61, v58 row_shr:4 row_mask:0xf bank_mask:0xf
	v_cmp_lt_u32_e64 s[50:51], 3, v59
	;; [unrolled: 18-line block ×3, first 2 shown]
	s_and_saveexec_b64 s[56:57], s[50:51]
; %bb.118:
	v_and_b32_e32 v58, 1, v9
	v_and_b32_e32 v59, 1, v61
	v_cmp_eq_u32_e64 s[50:51], 1, v58
	s_nop 1
	v_cndmask_b32_e64 v59, v59, 1, s[50:51]
	v_cmp_eq_u16_e64 s[50:51], 0, v9
	v_or_b32_sdwa v58, v6, v59 dst_sel:DWORD dst_unused:UNUSED_PAD src0_sel:DWORD src1_sel:WORD_0
	s_nop 0
	v_cndmask_b32_e64 v9, 0, v60, s[50:51]
	v_add_u32_e32 v7, v9, v7
	v_mov_b32_e32 v9, v59
; %bb.119:
	s_or_b64 exec, exec, s[56:57]
	v_and_b32_e32 v61, 16, v8
	v_mov_b32_dpp v59, v7 row_bcast:15 row_mask:0xf bank_mask:0xf
	v_mov_b32_dpp v60, v58 row_bcast:15 row_mask:0xf bank_mask:0xf
	v_cmp_ne_u32_e64 s[50:51], 0, v61
	s_and_saveexec_b64 s[56:57], s[50:51]
; %bb.120:
	v_and_b32_e32 v58, 1, v9
	v_and_b32_e32 v60, 1, v60
	v_cmp_eq_u32_e64 s[50:51], 1, v58
	s_nop 1
	v_cndmask_b32_e64 v60, v60, 1, s[50:51]
	v_cmp_eq_u16_e64 s[50:51], 0, v9
	v_or_b32_sdwa v58, v6, v60 dst_sel:DWORD dst_unused:UNUSED_PAD src0_sel:DWORD src1_sel:WORD_0
	s_nop 0
	v_cndmask_b32_e64 v9, 0, v59, s[50:51]
	v_add_u32_e32 v7, v9, v7
	v_mov_b32_e32 v9, v60
; %bb.121:
	s_or_b64 exec, exec, s[56:57]
	v_mov_b32_dpp v58, v58 row_bcast:31 row_mask:0xf bank_mask:0xf
	v_and_b32_e32 v60, 1, v9
	v_and_b32_e32 v58, 1, v58
	v_cmp_eq_u32_e64 s[50:51], 1, v60
	v_mov_b32_e32 v60, 0
	v_cmp_eq_u16_sdwa s[56:57], v9, v60 src0_sel:BYTE_0 src1_sel:DWORD
	v_cndmask_b32_e64 v58, v58, 1, s[50:51]
	v_cmp_lt_u32_e64 s[50:51], 31, v8
	v_mov_b32_dpp v59, v7 row_bcast:31 row_mask:0xf bank_mask:0xf
	s_movk_i32 s3, 0xff
	v_cndmask_b32_e64 v9, v9, v58, s[50:51]
	s_and_b64 s[50:51], s[50:51], s[56:57]
	v_cndmask_b32_e64 v58, 0, v59, s[50:51]
	v_add_u32_e32 v7, v58, v7
	v_add_u32_e32 v58, -1, v8
	v_and_b32_e32 v59, 64, v8
	v_cmp_lt_i32_e64 s[50:51], v58, v59
	v_and_or_b32 v6, v9, s3, v6
	s_nop 0
	v_cndmask_b32_e64 v8, v58, v8, s[50:51]
	v_lshlrev_b32_e32 v8, 2, v8
	ds_bpermute_b32 v7, v8, v7
	ds_bpermute_b32 v6, v8, v6
	v_cmp_eq_u16_sdwa s[50:51], v3, v60 src0_sel:BYTE_0 src1_sel:DWORD
	; wave barrier
	s_waitcnt lgkmcnt(1)
	s_nop 0
	v_cndmask_b32_e64 v3, 0, v7, s[50:51]
	v_add_u32_e32 v2, v3, v2
	s_waitcnt lgkmcnt(0)
	v_and_b32_e32 v3, 1, v6
	v_cmp_eq_u32_e64 s[50:51], 1, v5
	s_nop 1
	v_cndmask_b32_e64 v3, v3, 1, s[50:51]
	v_cmp_eq_u32_e64 s[50:51], 0, v0
	s_nop 1
	v_cndmask_b32_e64 v5, v2, v62, s[50:51]
	v_cndmask_b32_e64 v6, v3, v63, s[50:51]
	ds_write_b32 v4, v5
	ds_write_b8 v4, v6 offset:4
	; wave barrier
	ds_read_u8 v7, v4 offset:12
	ds_read2_b32 v[2:3], v4 offset0:2 offset1:4
	ds_read_u8 v8, v4 offset:20
	ds_read_b32 v9, v4 offset:24
	ds_read_u8 v58, v4 offset:28
	s_waitcnt lgkmcnt(4)
	v_cmp_eq_u16_e64 s[50:51], 0, v7
	s_nop 1
	v_cndmask_b32_e64 v5, 0, v5, s[50:51]
	s_waitcnt lgkmcnt(3)
	v_add_u32_e32 v2, v5, v2
	v_and_b32_e32 v5, 1, v7
	v_cmp_eq_u32_e64 s[50:51], 1, v5
	s_nop 1
	v_cndmask_b32_e64 v5, v6, 1, s[50:51]
	s_waitcnt lgkmcnt(2)
	v_cmp_eq_u16_e64 s[50:51], 0, v8
	ds_write_b8 v4, v5 offset:12
	s_nop 0
	v_cndmask_b32_e64 v6, 0, v2, s[50:51]
	v_add_u32_e32 v3, v6, v3
	v_and_b32_e32 v6, 1, v8
	v_cmp_eq_u32_e64 s[50:51], 1, v6
	s_nop 1
	v_cndmask_b32_e64 v5, v5, 1, s[50:51]
	s_waitcnt lgkmcnt(1)
	v_cmp_eq_u16_e64 s[50:51], 0, v58
	ds_write2_b32 v4, v2, v3 offset0:2 offset1:4
	ds_write_b8 v4, v5 offset:20
	v_cndmask_b32_e64 v2, 0, v3, s[50:51]
	v_and_b32_e32 v3, 1, v58
	v_add_u32_e32 v2, v2, v9
	v_cmp_eq_u32_e64 s[50:51], 1, v3
	s_nop 1
	v_cndmask_b32_e64 v3, v5, 1, s[50:51]
	ds_write_b32 v4, v2 offset:24
	ds_write_b8 v4, v3 offset:28
.LBB34_122:
	s_or_b64 exec, exec, s[52:53]
	v_cmp_eq_u32_e64 s[50:51], 0, v0
	v_cmp_ne_u32_e64 s[52:53], 0, v0
	s_waitcnt lgkmcnt(0)
	s_barrier
	s_and_saveexec_b64 s[56:57], s[52:53]
	s_cbranch_execz .LBB34_124
; %bb.123:
	v_add_u32_e32 v2, -1, v0
	v_lshrrev_b32_e32 v3, 5, v2
	v_add_lshl_u32 v2, v3, v2, 3
	ds_read_b32 v62, v2
	ds_read_u8 v63, v2 offset:4
.LBB34_124:
	s_or_b64 exec, exec, s[56:57]
	s_and_saveexec_b64 s[62:63], vcc
	s_cbranch_execz .LBB34_147
; %bb.125:
	v_mov_b32_e32 v5, 0
	ds_read_b64 v[2:3], v5 offset:2096
	v_mbcnt_lo_u32_b32 v4, -1, 0
	v_mbcnt_hi_u32_b32 v73, -1, v4
	s_mov_b32 s73, 0
	v_cmp_eq_u32_e64 s[52:53], 0, v73
	s_waitcnt lgkmcnt(0)
	v_readfirstlane_b32 s3, v3
	s_and_saveexec_b64 s[56:57], s[52:53]
	s_cbranch_execz .LBB34_127
; %bb.126:
	s_add_i32 s72, s2, 64
	s_lshl_b64 s[74:75], s[72:73], 4
	s_add_u32 s74, s64, s74
	s_addc_u32 s75, s65, s75
	s_and_b32 s77, s3, 0xff000000
	s_mov_b32 s76, s73
	s_and_b32 s79, s3, 0xff0000
	s_mov_b32 s78, s73
	s_or_b64 s[76:77], s[78:79], s[76:77]
	s_and_b32 s79, s3, 0xff00
	s_or_b64 s[76:77], s[76:77], s[78:79]
	s_and_b32 s79, s3, 0xff
	s_or_b64 s[72:73], s[76:77], s[78:79]
	v_mov_b32_e32 v3, s73
	v_mov_b32_e32 v4, 1
	v_mov_b64_e32 v[6:7], s[74:75]
	;;#ASMSTART
	global_store_dwordx4 v[6:7], v[2:5] off sc1	
s_waitcnt vmcnt(0)
	;;#ASMEND
.LBB34_127:
	s_or_b64 exec, exec, s[56:57]
	v_xad_u32 v58, v73, -1, s2
	v_add_u32_e32 v4, 64, v58
	v_lshl_add_u64 v[60:61], v[4:5], 4, s[64:65]
	;;#ASMSTART
	global_load_dwordx4 v[6:9], v[60:61] off sc1	
s_waitcnt vmcnt(0)
	;;#ASMEND
	s_nop 0
	v_and_b32_e32 v3, 0xff0000, v6
	v_and_b32_e32 v4, 0xff000000, v6
	;; [unrolled: 1-line block ×3, first 2 shown]
	v_or_b32_sdwa v3, v6, v3 dst_sel:DWORD dst_unused:UNUSED_PAD src0_sel:WORD_0 src1_sel:DWORD
	v_or3_b32 v7, 0, 0, v7
	v_or3_b32 v6, v3, v4, 0
	v_cmp_eq_u16_sdwa s[72:73], v8, v5 src0_sel:BYTE_0 src1_sel:DWORD
	s_and_saveexec_b64 s[56:57], s[72:73]
	s_cbranch_execz .LBB34_133
; %bb.128:
	s_mov_b32 s67, 1
	s_mov_b64 s[72:73], 0
	v_mov_b32_e32 v3, 0
.LBB34_129:                             ; =>This Loop Header: Depth=1
                                        ;     Child Loop BB34_130 Depth 2
	s_max_u32 s74, s67, 1
.LBB34_130:                             ;   Parent Loop BB34_129 Depth=1
                                        ; =>  This Inner Loop Header: Depth=2
	s_add_i32 s74, s74, -1
	s_cmp_eq_u32 s74, 0
	s_sleep 1
	s_cbranch_scc0 .LBB34_130
; %bb.131:                              ;   in Loop: Header=BB34_129 Depth=1
	s_cmp_lt_u32 s67, 32
	s_cselect_b64 s[74:75], -1, 0
	s_cmp_lg_u64 s[74:75], 0
	s_addc_u32 s67, s67, 0
	;;#ASMSTART
	global_load_dwordx4 v[6:9], v[60:61] off sc1	
s_waitcnt vmcnt(0)
	;;#ASMEND
	s_nop 0
	v_cmp_ne_u16_sdwa s[74:75], v8, v3 src0_sel:BYTE_0 src1_sel:DWORD
	s_or_b64 s[72:73], s[74:75], s[72:73]
	s_andn2_b64 exec, exec, s[72:73]
	s_cbranch_execnz .LBB34_129
; %bb.132:
	s_or_b64 exec, exec, s[72:73]
	v_and_b32_e32 v7, 0xff, v7
.LBB34_133:
	s_or_b64 exec, exec, s[56:57]
	v_mov_b32_e32 v3, 2
	v_cmp_eq_u16_sdwa s[56:57], v8, v3 src0_sel:BYTE_0 src1_sel:DWORD
	v_lshlrev_b64 v[4:5], v73, -1
	v_and_b32_e32 v64, 63, v73
	v_and_b32_e32 v9, s57, v5
	v_or_b32_e32 v9, 0x80000000, v9
	v_and_b32_e32 v59, s56, v4
	v_ffbl_b32_e32 v9, v9
	v_add_u32_e32 v9, 32, v9
	v_ffbl_b32_e32 v59, v59
	v_cmp_ne_u32_e32 vcc, 63, v64
	v_min_u32_e32 v9, v59, v9
	s_mov_b32 s72, 0
	v_addc_co_u32_e32 v59, vcc, 0, v73, vcc
	v_lshlrev_b32_e32 v65, 2, v59
	ds_bpermute_b32 v59, v65, v7
	ds_bpermute_b32 v60, v65, v6
	v_and_b32_e32 v61, 1, v7
	s_mov_b32 s73, 1
	v_cmp_eq_u32_e32 vcc, 1, v61
	s_waitcnt lgkmcnt(1)
	v_and_b32_e32 v59, 1, v59
	v_cmp_lt_u32_e64 s[56:57], v64, v9
	v_cndmask_b32_e64 v59, v59, 1, vcc
	v_cmp_gt_u64_e32 vcc, s[72:73], v[6:7]
	s_and_b64 vcc, s[56:57], vcc
	v_and_b32_e32 v61, 0xffff, v59
	v_cndmask_b32_e64 v68, v7, v59, s[56:57]
	s_waitcnt lgkmcnt(0)
	v_cndmask_b32_e32 v59, 0, v60, vcc
	v_cmp_gt_u32_e32 vcc, 62, v64
	v_cndmask_b32_e64 v7, v7, v61, s[56:57]
	v_add_u32_e32 v6, v59, v6
	v_cndmask_b32_e64 v60, 0, 1, vcc
	v_lshlrev_b32_e32 v60, 1, v60
	v_add_lshl_u32 v66, v60, v73, 2
	ds_bpermute_b32 v60, v66, v7
	ds_bpermute_b32 v61, v66, v6
	v_and_b32_e32 v59, 1, v68
	v_cmp_eq_u32_e32 vcc, 1, v59
	v_mov_b32_e32 v59, 0
	s_waitcnt lgkmcnt(1)
	v_and_b32_e32 v60, 1, v60
	v_add_u32_e32 v67, 2, v64
	v_cndmask_b32_e64 v60, v60, 1, vcc
	v_cmp_eq_u16_sdwa vcc, v68, v59 src0_sel:BYTE_0 src1_sel:DWORD
	v_and_b32_e32 v69, 0xffff, v60
	v_add_u32_e32 v77, 32, v64
	s_waitcnt lgkmcnt(0)
	v_cndmask_b32_e32 v61, 0, v61, vcc
	v_cmp_gt_u32_e32 vcc, v67, v9
	s_nop 1
	v_cndmask_b32_e32 v60, v60, v68, vcc
	v_cndmask_b32_e64 v61, v61, 0, vcc
	v_cndmask_b32_e32 v7, v69, v7, vcc
	v_cmp_gt_u32_e32 vcc, 60, v64
	v_add_u32_e32 v6, v61, v6
	v_and_b32_e32 v71, 1, v60
	v_cndmask_b32_e64 v68, 0, 1, vcc
	v_lshlrev_b32_e32 v68, 2, v68
	v_add_lshl_u32 v68, v68, v73, 2
	ds_bpermute_b32 v70, v68, v7
	ds_bpermute_b32 v61, v68, v6
	v_cmp_eq_u32_e32 vcc, 1, v71
	v_add_u32_e32 v69, 4, v64
	s_waitcnt lgkmcnt(1)
	v_and_b32_e32 v70, 1, v70
	v_cndmask_b32_e64 v70, v70, 1, vcc
	v_cmp_eq_u16_sdwa vcc, v60, v59 src0_sel:BYTE_0 src1_sel:DWORD
	v_and_b32_e32 v71, 0xffff, v70
	s_waitcnt lgkmcnt(0)
	v_cndmask_b32_e32 v61, 0, v61, vcc
	v_cmp_gt_u32_e32 vcc, v69, v9
	s_nop 1
	v_cndmask_b32_e32 v60, v70, v60, vcc
	v_cndmask_b32_e64 v61, v61, 0, vcc
	v_cndmask_b32_e32 v7, v71, v7, vcc
	v_cmp_gt_u32_e32 vcc, 56, v64
	v_add_u32_e32 v6, v61, v6
	v_and_b32_e32 v74, 1, v60
	v_cndmask_b32_e64 v70, 0, 1, vcc
	v_lshlrev_b32_e32 v70, 3, v70
	v_add_lshl_u32 v70, v70, v73, 2
	ds_bpermute_b32 v72, v70, v7
	ds_bpermute_b32 v61, v70, v6
	v_cmp_eq_u32_e32 vcc, 1, v74
	v_add_u32_e32 v71, 8, v64
	s_waitcnt lgkmcnt(1)
	v_and_b32_e32 v72, 1, v72
	v_cndmask_b32_e64 v72, v72, 1, vcc
	v_cmp_eq_u16_sdwa vcc, v60, v59 src0_sel:BYTE_0 src1_sel:DWORD
	v_and_b32_e32 v74, 0xffff, v72
	;; [unrolled: 22-line block ×3, first 2 shown]
	s_waitcnt lgkmcnt(0)
	v_cndmask_b32_e32 v61, 0, v61, vcc
	v_cmp_gt_u32_e32 vcc, v74, v9
	s_nop 1
	v_cndmask_b32_e32 v60, v75, v60, vcc
	v_cndmask_b32_e64 v61, v61, 0, vcc
	v_cndmask_b32_e32 v7, v76, v7, vcc
	v_cmp_gt_u32_e32 vcc, 32, v64
	v_add_u32_e32 v6, v61, v6
	s_nop 0
	v_cndmask_b32_e64 v75, 0, 1, vcc
	v_lshlrev_b32_e32 v75, 5, v75
	v_add_lshl_u32 v76, v75, v73, 2
	ds_bpermute_b32 v7, v76, v7
	ds_bpermute_b32 v61, v76, v6
	v_and_b32_e32 v73, 1, v60
	v_cmp_eq_u32_e32 vcc, 1, v73
	s_waitcnt lgkmcnt(1)
	v_and_b32_e32 v7, 1, v7
	v_cndmask_b32_e64 v7, v7, 1, vcc
	v_cmp_eq_u16_sdwa vcc, v60, v59 src0_sel:BYTE_0 src1_sel:DWORD
	s_waitcnt lgkmcnt(0)
	s_nop 0
	v_cndmask_b32_e32 v61, 0, v61, vcc
	v_cmp_gt_u32_e32 vcc, v77, v9
	s_nop 1
	v_cndmask_b32_e64 v9, v61, 0, vcc
	v_cndmask_b32_e32 v7, v7, v60, vcc
	v_add_u32_e32 v6, v9, v6
	s_branch .LBB34_135
.LBB34_134:                             ;   in Loop: Header=BB34_135 Depth=1
	s_or_b64 exec, exec, s[56:57]
	v_cmp_eq_u16_sdwa s[56:57], v8, v3 src0_sel:BYTE_0 src1_sel:DWORD
	ds_bpermute_b32 v61, v65, v7
	v_and_b32_e32 v78, 1, v7
	v_and_b32_e32 v9, s57, v5
	v_or_b32_e32 v9, 0x80000000, v9
	v_and_b32_e32 v60, s56, v4
	v_ffbl_b32_e32 v9, v9
	v_add_u32_e32 v9, 32, v9
	v_ffbl_b32_e32 v60, v60
	v_min_u32_e32 v9, v60, v9
	ds_bpermute_b32 v60, v65, v6
	s_waitcnt lgkmcnt(1)
	v_and_b32_e32 v61, 1, v61
	v_cmp_eq_u32_e32 vcc, 1, v78
	v_cmp_lt_u32_e64 s[56:57], v64, v9
	v_subrev_u32_e32 v58, 64, v58
	v_cndmask_b32_e64 v61, v61, 1, vcc
	v_cmp_gt_u64_e32 vcc, s[72:73], v[6:7]
	v_and_b32_e32 v78, 0xffff, v61
	v_cndmask_b32_e64 v61, v7, v61, s[56:57]
	v_cndmask_b32_e64 v7, v7, v78, s[56:57]
	s_and_b64 vcc, s[56:57], vcc
	ds_bpermute_b32 v78, v66, v7
	s_waitcnt lgkmcnt(1)
	v_cndmask_b32_e32 v60, 0, v60, vcc
	v_add_u32_e32 v6, v60, v6
	ds_bpermute_b32 v60, v66, v6
	v_and_b32_e32 v79, 1, v61
	s_waitcnt lgkmcnt(1)
	v_and_b32_e32 v78, 1, v78
	v_cmp_eq_u32_e32 vcc, 1, v79
	s_nop 1
	v_cndmask_b32_e64 v78, v78, 1, vcc
	v_cmp_eq_u16_sdwa vcc, v61, v59 src0_sel:BYTE_0 src1_sel:DWORD
	v_and_b32_e32 v79, 0xffff, v78
	s_waitcnt lgkmcnt(0)
	v_cndmask_b32_e32 v60, 0, v60, vcc
	v_cmp_gt_u32_e32 vcc, v67, v9
	s_nop 1
	v_cndmask_b32_e32 v7, v79, v7, vcc
	v_cndmask_b32_e32 v61, v78, v61, vcc
	ds_bpermute_b32 v78, v68, v7
	v_cndmask_b32_e64 v60, v60, 0, vcc
	v_add_u32_e32 v6, v60, v6
	ds_bpermute_b32 v60, v68, v6
	v_and_b32_e32 v79, 1, v61
	s_waitcnt lgkmcnt(1)
	v_and_b32_e32 v78, 1, v78
	v_cmp_eq_u32_e32 vcc, 1, v79
	s_nop 1
	v_cndmask_b32_e64 v78, v78, 1, vcc
	v_cmp_eq_u16_sdwa vcc, v61, v59 src0_sel:BYTE_0 src1_sel:DWORD
	v_and_b32_e32 v79, 0xffff, v78
	s_waitcnt lgkmcnt(0)
	v_cndmask_b32_e32 v60, 0, v60, vcc
	v_cmp_gt_u32_e32 vcc, v69, v9
	s_nop 1
	v_cndmask_b32_e32 v7, v79, v7, vcc
	v_cndmask_b32_e32 v61, v78, v61, vcc
	ds_bpermute_b32 v78, v70, v7
	v_cndmask_b32_e64 v60, v60, 0, vcc
	;; [unrolled: 18-line block ×3, first 2 shown]
	v_add_u32_e32 v6, v60, v6
	ds_bpermute_b32 v60, v72, v6
	v_and_b32_e32 v79, 1, v61
	s_waitcnt lgkmcnt(1)
	v_and_b32_e32 v78, 1, v78
	v_cmp_eq_u32_e32 vcc, 1, v79
	s_nop 1
	v_cndmask_b32_e64 v78, v78, 1, vcc
	v_cmp_eq_u16_sdwa vcc, v61, v59 src0_sel:BYTE_0 src1_sel:DWORD
	v_and_b32_e32 v79, 0xffff, v78
	s_waitcnt lgkmcnt(0)
	v_cndmask_b32_e32 v60, 0, v60, vcc
	v_cmp_gt_u32_e32 vcc, v74, v9
	s_nop 1
	v_cndmask_b32_e64 v60, v60, 0, vcc
	v_cndmask_b32_e32 v7, v79, v7, vcc
	ds_bpermute_b32 v7, v76, v7
	v_add_u32_e32 v6, v60, v6
	ds_bpermute_b32 v60, v76, v6
	v_cndmask_b32_e32 v61, v78, v61, vcc
	v_and_b32_e32 v78, 1, v61
	v_cmp_eq_u32_e32 vcc, 1, v78
	s_waitcnt lgkmcnt(1)
	s_nop 0
	v_cndmask_b32_e64 v7, v7, 1, vcc
	v_cmp_eq_u16_sdwa vcc, v61, v59 src0_sel:BYTE_0 src1_sel:DWORD
	s_waitcnt lgkmcnt(0)
	s_nop 0
	v_cndmask_b32_e32 v60, 0, v60, vcc
	v_cmp_gt_u32_e32 vcc, v77, v9
	s_nop 1
	v_cndmask_b32_e64 v9, v60, 0, vcc
	v_cndmask_b32_e32 v7, v7, v61, vcc
	v_add_u32_e32 v6, v9, v6
	v_cmp_eq_u16_sdwa vcc, v73, v59 src0_sel:BYTE_0 src1_sel:DWORD
	v_and_b32_e32 v9, 1, v73
	v_and_b32_e32 v7, 1, v7
	v_cndmask_b32_e32 v6, 0, v6, vcc
	v_cmp_eq_u32_e32 vcc, 1, v9
	v_add_u32_e32 v6, v6, v75
	s_nop 0
	v_cndmask_b32_e64 v7, v7, 1, vcc
.LBB34_135:                             ; =>This Loop Header: Depth=1
                                        ;     Child Loop BB34_138 Depth 2
                                        ;       Child Loop BB34_139 Depth 3
	v_cmp_ne_u16_sdwa s[56:57], v8, v3 src0_sel:BYTE_0 src1_sel:DWORD
	v_mov_b32_e32 v73, v7
	v_mov_b32_e32 v75, v6
	v_cndmask_b32_e64 v7, 0, 1, s[56:57]
	;;#ASMSTART
	;;#ASMEND
	s_nop 0
	v_cmp_ne_u32_e32 vcc, 0, v7
	s_cmp_lg_u64 vcc, exec
	s_cbranch_scc1 .LBB34_142
; %bb.136:                              ;   in Loop: Header=BB34_135 Depth=1
	v_lshl_add_u64 v[60:61], v[58:59], 4, s[64:65]
	;;#ASMSTART
	global_load_dwordx4 v[6:9], v[60:61] off sc1	
s_waitcnt vmcnt(0)
	;;#ASMEND
	s_nop 0
	v_and_b32_e32 v9, 0xff0000, v6
	v_and_b32_e32 v78, 0xff000000, v6
	;; [unrolled: 1-line block ×3, first 2 shown]
	v_or_b32_sdwa v6, v6, v9 dst_sel:DWORD dst_unused:UNUSED_PAD src0_sel:WORD_0 src1_sel:DWORD
	v_or3_b32 v7, 0, 0, v7
	v_or3_b32 v6, v6, v78, 0
	v_cmp_eq_u16_sdwa s[74:75], v8, v59 src0_sel:BYTE_0 src1_sel:DWORD
	s_and_saveexec_b64 s[56:57], s[74:75]
	s_cbranch_execz .LBB34_134
; %bb.137:                              ;   in Loop: Header=BB34_135 Depth=1
	s_mov_b32 s67, 1
	s_mov_b64 s[74:75], 0
.LBB34_138:                             ;   Parent Loop BB34_135 Depth=1
                                        ; =>  This Loop Header: Depth=2
                                        ;       Child Loop BB34_139 Depth 3
	s_max_u32 s76, s67, 1
.LBB34_139:                             ;   Parent Loop BB34_135 Depth=1
                                        ;     Parent Loop BB34_138 Depth=2
                                        ; =>    This Inner Loop Header: Depth=3
	s_add_i32 s76, s76, -1
	s_cmp_eq_u32 s76, 0
	s_sleep 1
	s_cbranch_scc0 .LBB34_139
; %bb.140:                              ;   in Loop: Header=BB34_138 Depth=2
	s_cmp_lt_u32 s67, 32
	s_cselect_b64 s[76:77], -1, 0
	s_cmp_lg_u64 s[76:77], 0
	s_addc_u32 s67, s67, 0
	;;#ASMSTART
	global_load_dwordx4 v[6:9], v[60:61] off sc1	
s_waitcnt vmcnt(0)
	;;#ASMEND
	s_nop 0
	v_cmp_ne_u16_sdwa s[76:77], v8, v59 src0_sel:BYTE_0 src1_sel:DWORD
	s_or_b64 s[74:75], s[76:77], s[74:75]
	s_andn2_b64 exec, exec, s[74:75]
	s_cbranch_execnz .LBB34_138
; %bb.141:                              ;   in Loop: Header=BB34_135 Depth=1
	s_or_b64 exec, exec, s[74:75]
	v_and_b32_e32 v7, 0xff, v7
	s_branch .LBB34_134
.LBB34_142:                             ;   in Loop: Header=BB34_135 Depth=1
                                        ; implicit-def: $vgpr7
                                        ; implicit-def: $vgpr6
                                        ; implicit-def: $vgpr8
	s_cbranch_execz .LBB34_135
; %bb.143:
	s_and_saveexec_b64 s[56:57], s[52:53]
	s_cbranch_execz .LBB34_145
; %bb.144:
	s_and_b32 s52, s3, 0xff
	s_cmp_eq_u32 s52, 0
	s_cselect_b64 vcc, -1, 0
	s_bitcmp1_b32 s3, 0
	s_mov_b32 s53, 0
	s_cselect_b64 s[72:73], -1, 0
	s_add_i32 s52, s2, 64
	s_lshl_b64 s[2:3], s[52:53], 4
	v_cndmask_b32_e32 v3, 0, v75, vcc
	s_add_u32 s2, s64, s2
	v_add_u32_e32 v2, v3, v2
	v_and_b32_e32 v3, 1, v73
	s_addc_u32 s3, s65, s3
	v_mov_b32_e32 v5, 0
	v_cndmask_b32_e64 v3, v3, 1, s[72:73]
	v_mov_b32_e32 v4, 2
	v_mov_b64_e32 v[6:7], s[2:3]
	;;#ASMSTART
	global_store_dwordx4 v[6:7], v[2:5] off sc1	
s_waitcnt vmcnt(0)
	;;#ASMEND
.LBB34_145:
	s_or_b64 exec, exec, s[56:57]
	s_and_b64 exec, exec, s[50:51]
	s_cbranch_execz .LBB34_147
; %bb.146:
	v_mov_b32_e32 v2, 0
	ds_write_b32 v2, v75
	ds_write_b8 v2, v73 offset:4
.LBB34_147:
	s_or_b64 exec, exec, s[62:63]
	s_mov_b32 s2, 0
	v_mov_b32_e32 v2, 0
	s_mov_b32 s3, 1
	s_waitcnt lgkmcnt(0)
	s_barrier
	ds_read_b32 v3, v2
	v_cmp_gt_u64_e32 vcc, s[2:3], v[10:11]
	v_and_b32_e32 v5, 1, v11
	v_and_b32_e32 v6, 1, v63
	v_cndmask_b32_e32 v4, 0, v62, vcc
	v_cmp_eq_u32_e32 vcc, 1, v5
	v_cndmask_b32_e64 v4, v4, 0, s[50:51]
	s_nop 0
	v_cndmask_b32_e64 v5, v6, 1, vcc
	v_cndmask_b32_e64 v5, v5, v11, s[50:51]
	v_cmp_eq_u16_sdwa vcc, v5, v2 src0_sel:BYTE_0 src1_sel:DWORD
	s_waitcnt lgkmcnt(0)
	s_nop 0
	v_cndmask_b32_e32 v2, 0, v3, vcc
	v_add3_u32 v80, v4, v10, v2
	v_cndmask_b32_e64 v2, 0, v80, s[4:5]
	v_add_u32_e32 v58, v2, v12
	v_cndmask_b32_e64 v2, 0, v58, s[6:7]
	v_add_u32_e32 v59, v2, v14
	;; [unrolled: 2-line block ×22, first 2 shown]
	s_load_dwordx2 s[50:51], s[0:1], 0x20
	s_branch .LBB34_168
.LBB34_148:
                                        ; implicit-def: $vgpr78
                                        ; implicit-def: $vgpr77
                                        ; implicit-def: $vgpr76
                                        ; implicit-def: $vgpr75
                                        ; implicit-def: $vgpr74
                                        ; implicit-def: $vgpr73
                                        ; implicit-def: $vgpr72
                                        ; implicit-def: $vgpr71
                                        ; implicit-def: $vgpr70
                                        ; implicit-def: $vgpr69
                                        ; implicit-def: $vgpr68
                                        ; implicit-def: $vgpr67
                                        ; implicit-def: $vgpr66
                                        ; implicit-def: $vgpr65
                                        ; implicit-def: $vgpr64
                                        ; implicit-def: $vgpr63
                                        ; implicit-def: $vgpr62
                                        ; implicit-def: $vgpr61
                                        ; implicit-def: $vgpr60
                                        ; implicit-def: $vgpr59
                                        ; implicit-def: $vgpr58
                                        ; implicit-def: $vgpr80
                                        ; implicit-def: $vgpr79
	s_load_dwordx2 s[50:51], s[0:1], 0x20
	s_cbranch_execz .LBB34_168
; %bb.149:
	s_cmp_lg_u64 s[70:71], 0
	s_cselect_b32 s3, s59, 0
	s_cselect_b32 s2, s58, 0
	s_cmp_lg_u64 s[2:3], 0
	s_cselect_b64 s[4:5], -1, 0
	v_cmp_eq_u32_e32 vcc, 0, v0
	s_mov_b32 s48, 0
	v_cmp_ne_u32_e64 s[0:1], 0, v0
	s_and_b64 s[6:7], vcc, s[4:5]
	s_and_saveexec_b64 s[4:5], s[6:7]
	s_cbranch_execz .LBB34_151
; %bb.150:
	v_mov_b32_e32 v2, 0
	global_load_dword v4, v2, s[2:3]
	global_load_ubyte v5, v2, s[2:3] offset:4
	s_mov_b32 s49, 1
	v_and_b32_e32 v3, 1, v11
	v_cmp_gt_u64_e64 s[2:3], s[48:49], v[10:11]
	s_waitcnt vmcnt(0)
	v_and_b32_e32 v5, 1, v5
	v_cndmask_b32_e64 v4, 0, v4, s[2:3]
	v_cmp_eq_u64_e64 s[2:3], 0, v[2:3]
	v_add_u32_e32 v10, v4, v10
	s_nop 0
	v_cndmask_b32_e64 v11, 1, v5, s[2:3]
.LBB34_151:
	s_or_b64 exec, exec, s[4:5]
	s_mov_b32 s49, 1
	v_cmp_gt_u64_e64 s[4:5], s[48:49], v[12:13]
	v_cmp_gt_u64_e64 s[6:7], s[48:49], v[14:15]
	v_cmp_gt_u64_e64 s[8:9], s[48:49], v[16:17]
	v_cndmask_b32_e64 v2, 0, v10, s[4:5]
	v_add_u32_e32 v58, v2, v12
	v_cndmask_b32_e64 v2, 0, v58, s[6:7]
	v_add_u32_e32 v59, v2, v14
	v_cndmask_b32_e64 v2, 0, v59, s[8:9]
	v_add_u32_e32 v60, v2, v16
	v_cmp_gt_u64_e64 s[10:11], s[48:49], v[18:19]
	v_cmp_gt_u64_e64 s[12:13], s[48:49], v[20:21]
	v_cmp_gt_u64_e64 s[14:15], s[48:49], v[22:23]
	v_cndmask_b32_e64 v2, 0, v60, s[10:11]
	v_add_u32_e32 v61, v2, v18
	v_cndmask_b32_e64 v2, 0, v61, s[12:13]
	v_add_u32_e32 v62, v2, v20
	v_cndmask_b32_e64 v2, 0, v62, s[14:15]
	v_add_u32_e32 v63, v2, v22
	;; [unrolled: 9-line block ×7, first 2 shown]
	v_cmp_gt_u64_e64 s[48:49], s[48:49], v[56:57]
	v_add_lshl_u32 v1, v1, v0, 3
	s_nop 0
	v_cndmask_b32_e64 v2, 0, v78, s[48:49]
	v_add_u32_e32 v79, v2, v56
	v_or3_b32 v2, v55, v51, v49
	v_or3_b32 v2, v2, v47, v45
	;; [unrolled: 1-line block ×10, first 2 shown]
	v_and_b32_e32 v2, 1, v2
	v_cmp_eq_u32_e64 s[2:3], 1, v2
	s_nop 1
	v_cndmask_b32_e64 v4, v11, 1, s[2:3]
	v_cmp_gt_u32_e64 s[2:3], 64, v0
	ds_write_b32 v1, v79
	ds_write_b8 v1, v4 offset:4
	s_waitcnt lgkmcnt(0)
	s_barrier
	s_and_saveexec_b64 s[52:53], s[2:3]
	s_cbranch_execz .LBB34_163
; %bb.152:
	v_lshrrev_b32_e32 v1, 3, v0
	v_add_lshl_u32 v1, v1, v54, 3
	ds_read2_b32 v[6:7], v1 offset0:2 offset1:4
	ds_read_b64 v[2:3], v1
	ds_read_u8 v8, v1 offset:12
	ds_read_u8 v9, v1 offset:20
	ds_read_b32 v13, v1 offset:24
	ds_read_u8 v15, v1 offset:28
	v_mov_b32_e32 v17, 0
	s_waitcnt lgkmcnt(3)
	v_cmp_eq_u16_sdwa s[2:3], v8, v17 src0_sel:BYTE_0 src1_sel:DWORD
	v_and_b32_e32 v5, 1, v3
	s_nop 0
	v_cndmask_b32_e64 v19, 0, v2, s[2:3]
	v_add_u32_e32 v6, v19, v6
	s_waitcnt lgkmcnt(2)
	v_cmp_eq_u16_sdwa s[2:3], v9, v17 src0_sel:BYTE_0 src1_sel:DWORD
	s_nop 1
	v_cndmask_b32_e64 v6, 0, v6, s[2:3]
	v_add_u32_e32 v6, v6, v7
	s_waitcnt lgkmcnt(0)
	v_cmp_eq_u16_e64 s[2:3], 0, v15
	s_nop 1
	v_cndmask_b32_e64 v6, 0, v6, s[2:3]
	v_add_u32_e32 v7, v6, v13
	v_or_b32_e32 v6, v15, v9
	v_or_b32_e32 v6, v6, v8
	v_and_b32_e32 v6, 1, v6
	v_cmp_eq_u32_e64 s[2:3], 1, v6
	v_mbcnt_lo_u32_b32 v8, -1, 0
	v_and_b32_e32 v6, 0xffffff00, v3
	v_cndmask_b32_e64 v9, v5, 1, s[2:3]
	v_mbcnt_hi_u32_b32 v8, -1, v8
	v_and_b32_e32 v15, 15, v8
	v_or_b32_sdwa v13, v6, v9 dst_sel:DWORD dst_unused:UNUSED_PAD src0_sel:DWORD src1_sel:WORD_0
	v_mov_b32_dpp v17, v7 row_shr:1 row_mask:0xf bank_mask:0xf
	v_cmp_ne_u32_e64 s[2:3], 0, v15
	v_mov_b32_dpp v19, v13 row_shr:1 row_mask:0xf bank_mask:0xf
	s_and_saveexec_b64 s[56:57], s[2:3]
; %bb.153:
	v_and_b32_e32 v13, 1, v9
	v_and_b32_e32 v19, 1, v19
	v_cmp_eq_u32_e64 s[2:3], 1, v13
	s_nop 1
	v_cndmask_b32_e64 v19, v19, 1, s[2:3]
	v_cmp_eq_u16_e64 s[2:3], 0, v9
	v_or_b32_sdwa v13, v6, v19 dst_sel:DWORD dst_unused:UNUSED_PAD src0_sel:DWORD src1_sel:WORD_0
	s_nop 0
	v_cndmask_b32_e64 v9, 0, v17, s[2:3]
	v_add_u32_e32 v7, v9, v7
	v_mov_b32_e32 v9, v19
; %bb.154:
	s_or_b64 exec, exec, s[56:57]
	v_mov_b32_dpp v17, v7 row_shr:2 row_mask:0xf bank_mask:0xf
	v_mov_b32_dpp v19, v13 row_shr:2 row_mask:0xf bank_mask:0xf
	v_cmp_lt_u32_e64 s[2:3], 1, v15
	s_and_saveexec_b64 s[56:57], s[2:3]
; %bb.155:
	v_and_b32_e32 v13, 1, v9
	v_and_b32_e32 v19, 1, v19
	v_cmp_eq_u32_e64 s[2:3], 1, v13
	s_nop 1
	v_cndmask_b32_e64 v19, v19, 1, s[2:3]
	v_cmp_eq_u16_e64 s[2:3], 0, v9
	v_or_b32_sdwa v13, v6, v19 dst_sel:DWORD dst_unused:UNUSED_PAD src0_sel:DWORD src1_sel:WORD_0
	s_nop 0
	v_cndmask_b32_e64 v9, 0, v17, s[2:3]
	v_add_u32_e32 v7, v9, v7
	v_mov_b32_e32 v9, v19
; %bb.156:
	s_or_b64 exec, exec, s[56:57]
	v_mov_b32_dpp v17, v7 row_shr:4 row_mask:0xf bank_mask:0xf
	v_mov_b32_dpp v19, v13 row_shr:4 row_mask:0xf bank_mask:0xf
	v_cmp_lt_u32_e64 s[2:3], 3, v15
	;; [unrolled: 18-line block ×3, first 2 shown]
	s_and_saveexec_b64 s[56:57], s[2:3]
; %bb.159:
	v_and_b32_e32 v13, 1, v9
	v_and_b32_e32 v15, 1, v19
	v_cmp_eq_u32_e64 s[2:3], 1, v13
	s_nop 1
	v_cndmask_b32_e64 v15, v15, 1, s[2:3]
	v_cmp_eq_u16_e64 s[2:3], 0, v9
	v_or_b32_sdwa v13, v6, v15 dst_sel:DWORD dst_unused:UNUSED_PAD src0_sel:DWORD src1_sel:WORD_0
	s_nop 0
	v_cndmask_b32_e64 v9, 0, v17, s[2:3]
	v_add_u32_e32 v7, v9, v7
	v_mov_b32_e32 v9, v15
; %bb.160:
	s_or_b64 exec, exec, s[56:57]
	v_and_b32_e32 v19, 16, v8
	v_mov_b32_dpp v15, v7 row_bcast:15 row_mask:0xf bank_mask:0xf
	v_mov_b32_dpp v17, v13 row_bcast:15 row_mask:0xf bank_mask:0xf
	v_cmp_ne_u32_e64 s[2:3], 0, v19
	s_and_saveexec_b64 s[56:57], s[2:3]
; %bb.161:
	v_and_b32_e32 v13, 1, v9
	v_and_b32_e32 v17, 1, v17
	v_cmp_eq_u32_e64 s[2:3], 1, v13
	s_nop 1
	v_cndmask_b32_e64 v17, v17, 1, s[2:3]
	v_cmp_eq_u16_e64 s[2:3], 0, v9
	v_or_b32_sdwa v13, v6, v17 dst_sel:DWORD dst_unused:UNUSED_PAD src0_sel:DWORD src1_sel:WORD_0
	s_nop 0
	v_cndmask_b32_e64 v9, 0, v15, s[2:3]
	v_add_u32_e32 v7, v9, v7
	v_mov_b32_e32 v9, v17
; %bb.162:
	s_or_b64 exec, exec, s[56:57]
	v_mov_b32_dpp v13, v13 row_bcast:31 row_mask:0xf bank_mask:0xf
	v_and_b32_e32 v17, 1, v9
	v_and_b32_e32 v13, 1, v13
	v_cmp_eq_u32_e64 s[2:3], 1, v17
	v_mov_b32_e32 v17, 0
	v_cmp_eq_u16_sdwa s[56:57], v9, v17 src0_sel:BYTE_0 src1_sel:DWORD
	v_cndmask_b32_e64 v13, v13, 1, s[2:3]
	v_cmp_lt_u32_e64 s[2:3], 31, v8
	v_mov_b32_dpp v15, v7 row_bcast:31 row_mask:0xf bank_mask:0xf
	s_movk_i32 s58, 0xff
	v_cndmask_b32_e64 v9, v9, v13, s[2:3]
	s_and_b64 s[2:3], s[2:3], s[56:57]
	v_cndmask_b32_e64 v13, 0, v15, s[2:3]
	v_add_u32_e32 v7, v13, v7
	v_add_u32_e32 v13, -1, v8
	v_and_b32_e32 v15, 64, v8
	v_cmp_lt_i32_e64 s[2:3], v13, v15
	v_and_or_b32 v6, v9, s58, v6
	s_nop 0
	v_cndmask_b32_e64 v8, v13, v8, s[2:3]
	v_lshlrev_b32_e32 v8, 2, v8
	ds_bpermute_b32 v7, v8, v7
	ds_bpermute_b32 v6, v8, v6
	v_cmp_eq_u16_sdwa s[2:3], v3, v17 src0_sel:BYTE_0 src1_sel:DWORD
	; wave barrier
	s_waitcnt lgkmcnt(1)
	s_nop 0
	v_cndmask_b32_e64 v3, 0, v7, s[2:3]
	v_add_u32_e32 v2, v3, v2
	s_waitcnt lgkmcnt(0)
	v_and_b32_e32 v3, 1, v6
	v_cmp_eq_u32_e64 s[2:3], 1, v5
	v_cndmask_b32_e32 v5, v2, v79, vcc
	s_nop 0
	v_cndmask_b32_e64 v3, v3, 1, s[2:3]
	v_cndmask_b32_e32 v4, v3, v4, vcc
	ds_write_b32 v1, v5
	ds_write_b8 v1, v4 offset:4
	; wave barrier
	ds_read_u8 v6, v1 offset:12
	ds_read2_b32 v[2:3], v1 offset0:2 offset1:4
	ds_read_u8 v7, v1 offset:20
	ds_read_b32 v8, v1 offset:24
	ds_read_u8 v9, v1 offset:28
	s_waitcnt lgkmcnt(4)
	v_cmp_eq_u16_e64 s[2:3], 0, v6
	s_nop 1
	v_cndmask_b32_e64 v5, 0, v5, s[2:3]
	s_waitcnt lgkmcnt(3)
	v_add_u32_e32 v2, v5, v2
	v_and_b32_e32 v5, 1, v6
	v_cmp_eq_u32_e64 s[2:3], 1, v5
	s_nop 1
	v_cndmask_b32_e64 v4, v4, 1, s[2:3]
	s_waitcnt lgkmcnt(2)
	v_cmp_eq_u16_e64 s[2:3], 0, v7
	ds_write_b8 v1, v4 offset:12
	s_nop 0
	v_cndmask_b32_e64 v5, 0, v2, s[2:3]
	v_add_u32_e32 v3, v5, v3
	v_and_b32_e32 v5, 1, v7
	v_cmp_eq_u32_e64 s[2:3], 1, v5
	s_nop 1
	v_cndmask_b32_e64 v4, v4, 1, s[2:3]
	s_waitcnt lgkmcnt(1)
	v_cmp_eq_u16_e64 s[2:3], 0, v9
	ds_write2_b32 v1, v2, v3 offset0:2 offset1:4
	ds_write_b8 v1, v4 offset:20
	v_cndmask_b32_e64 v2, 0, v3, s[2:3]
	v_and_b32_e32 v3, 1, v9
	v_add_u32_e32 v2, v2, v8
	v_cmp_eq_u32_e64 s[2:3], 1, v3
	s_nop 1
	v_cndmask_b32_e64 v3, v4, 1, s[2:3]
	ds_write_b32 v1, v2 offset:24
	ds_write_b8 v1, v3 offset:28
.LBB34_163:
	s_or_b64 exec, exec, s[52:53]
	v_mov_b32_e32 v1, v79
	s_waitcnt lgkmcnt(0)
	s_barrier
	s_and_saveexec_b64 s[2:3], s[0:1]
	s_cbranch_execnz .LBB34_219
; %bb.164:
	s_or_b64 exec, exec, s[2:3]
	s_and_saveexec_b64 s[2:3], s[0:1]
	s_cbranch_execnz .LBB34_220
.LBB34_165:
	s_or_b64 exec, exec, s[2:3]
	s_and_saveexec_b64 s[0:1], vcc
	s_cbranch_execz .LBB34_167
.LBB34_166:
	v_mov_b32_e32 v5, 0
	ds_read_b32 v2, v5 offset:2096
	ds_read_u8 v3, v5 offset:2100
	s_add_u32 s2, s64, 0x400
	s_addc_u32 s3, s65, 0
	v_mov_b32_e32 v4, 2
	v_mov_b64_e32 v[6:7], s[2:3]
	s_waitcnt lgkmcnt(0)
	;;#ASMSTART
	global_store_dwordx4 v[6:7], v[2:5] off sc1	
s_waitcnt vmcnt(0)
	;;#ASMEND
.LBB34_167:
	s_or_b64 exec, exec, s[0:1]
	v_mov_b32_e32 v80, v10
.LBB34_168:
	s_waitcnt lgkmcnt(0)
	s_add_u32 s0, s50, s68
	s_addc_u32 s1, s51, s69
	s_add_u32 s0, s0, s60
	s_addc_u32 s1, s1, s61
	s_and_b64 vcc, exec, s[54:55]
	s_cbranch_vccz .LBB34_214
; %bb.169:
	s_movk_i32 s2, 0x5c
	v_mul_i32_i24_e32 v26, 0xffffffa8, v0
	v_mul_u32_u24_e32 v1, 0x5c, v0
	v_mad_u32_u24 v2, v0, s2, v26
	s_barrier
	ds_write2_b32 v1, v80, v58 offset1:1
	ds_write2_b32 v1, v59, v60 offset0:2 offset1:3
	ds_write2_b32 v1, v61, v62 offset0:4 offset1:5
	;; [unrolled: 1-line block ×10, first 2 shown]
	ds_write_b32 v1, v79 offset:88
	s_waitcnt lgkmcnt(0)
	s_barrier
	ds_read2st64_b32 v[24:25], v2 offset0:4 offset1:8
	ds_read2st64_b32 v[22:23], v2 offset0:12 offset1:16
	ds_read2st64_b32 v[20:21], v2 offset0:20 offset1:24
	ds_read2st64_b32 v[18:19], v2 offset0:28 offset1:32
	ds_read2st64_b32 v[16:17], v2 offset0:36 offset1:40
	ds_read2st64_b32 v[14:15], v2 offset0:44 offset1:48
	ds_read2st64_b32 v[12:13], v2 offset0:52 offset1:56
	ds_read2st64_b32 v[10:11], v2 offset0:60 offset1:64
	ds_read2st64_b32 v[8:9], v2 offset0:68 offset1:72
	ds_read2st64_b32 v[6:7], v2 offset0:76 offset1:80
	ds_read2st64_b32 v[2:3], v2 offset0:84 offset1:88
	s_add_i32 s33, s33, s66
	v_mov_b32_e32 v55, 0
	v_lshl_add_u64 v[4:5], s[0:1], 0, v[54:55]
	v_cmp_gt_u32_e32 vcc, s33, v0
	s_and_saveexec_b64 s[2:3], vcc
	s_cbranch_execz .LBB34_171
; %bb.170:
	v_add_u32_e32 v1, v1, v26
	ds_read_b32 v1, v1
	s_waitcnt lgkmcnt(0)
	global_store_dword v[4:5], v1, off
.LBB34_171:
	s_or_b64 exec, exec, s[2:3]
	v_or_b32_e32 v1, 0x100, v0
	v_cmp_gt_u32_e32 vcc, s33, v1
	s_and_saveexec_b64 s[2:3], vcc
	s_cbranch_execz .LBB34_173
; %bb.172:
	s_waitcnt lgkmcnt(10)
	global_store_dword v[4:5], v24, off offset:1024
.LBB34_173:
	s_or_b64 exec, exec, s[2:3]
	v_or_b32_e32 v1, 0x200, v0
	v_cmp_gt_u32_e32 vcc, s33, v1
	s_and_saveexec_b64 s[2:3], vcc
	s_cbranch_execz .LBB34_175
; %bb.174:
	s_waitcnt lgkmcnt(10)
	global_store_dword v[4:5], v25, off offset:2048
.LBB34_175:
	;; [unrolled: 9-line block ×3, first 2 shown]
	s_or_b64 exec, exec, s[2:3]
	v_or_b32_e32 v1, 0x400, v0
	v_cmp_gt_u32_e32 vcc, s33, v1
	s_and_saveexec_b64 s[2:3], vcc
	s_cbranch_execz .LBB34_179
; %bb.178:
	s_waitcnt lgkmcnt(10)
	v_add_co_u32_e32 v24, vcc, 0x1000, v4
	s_nop 1
	v_addc_co_u32_e32 v25, vcc, 0, v5, vcc
	s_waitcnt lgkmcnt(9)
	global_store_dword v[24:25], v23, off
.LBB34_179:
	s_or_b64 exec, exec, s[2:3]
	v_or_b32_e32 v1, 0x500, v0
	v_cmp_gt_u32_e32 vcc, s33, v1
	s_and_saveexec_b64 s[2:3], vcc
	s_cbranch_execz .LBB34_181
; %bb.180:
	s_waitcnt lgkmcnt(9)
	v_add_co_u32_e32 v22, vcc, 0x1000, v4
	s_nop 1
	v_addc_co_u32_e32 v23, vcc, 0, v5, vcc
	s_waitcnt lgkmcnt(8)
	global_store_dword v[22:23], v20, off offset:1024
.LBB34_181:
	s_or_b64 exec, exec, s[2:3]
	v_or_b32_e32 v1, 0x600, v0
	v_cmp_gt_u32_e32 vcc, s33, v1
	s_and_saveexec_b64 s[2:3], vcc
	s_cbranch_execz .LBB34_183
; %bb.182:
	s_waitcnt lgkmcnt(9)
	v_add_co_u32_e32 v22, vcc, 0x1000, v4
	s_nop 1
	v_addc_co_u32_e32 v23, vcc, 0, v5, vcc
	s_waitcnt lgkmcnt(8)
	global_store_dword v[22:23], v21, off offset:2048
.LBB34_183:
	s_or_b64 exec, exec, s[2:3]
	v_or_b32_e32 v1, 0x700, v0
	v_cmp_gt_u32_e32 vcc, s33, v1
	s_and_saveexec_b64 s[2:3], vcc
	s_cbranch_execz .LBB34_185
; %bb.184:
	s_waitcnt lgkmcnt(8)
	v_add_co_u32_e32 v20, vcc, 0x1000, v4
	s_nop 1
	v_addc_co_u32_e32 v21, vcc, 0, v5, vcc
	s_waitcnt lgkmcnt(7)
	global_store_dword v[20:21], v18, off offset:3072
.LBB34_185:
	s_or_b64 exec, exec, s[2:3]
	v_or_b32_e32 v1, 0x800, v0
	v_cmp_gt_u32_e32 vcc, s33, v1
	s_and_saveexec_b64 s[2:3], vcc
	s_cbranch_execz .LBB34_187
; %bb.186:
	s_waitcnt lgkmcnt(8)
	v_add_co_u32_e32 v20, vcc, 0x2000, v4
	s_nop 1
	v_addc_co_u32_e32 v21, vcc, 0, v5, vcc
	s_waitcnt lgkmcnt(7)
	global_store_dword v[20:21], v19, off
.LBB34_187:
	s_or_b64 exec, exec, s[2:3]
	v_or_b32_e32 v1, 0x900, v0
	v_cmp_gt_u32_e32 vcc, s33, v1
	s_and_saveexec_b64 s[2:3], vcc
	s_cbranch_execz .LBB34_189
; %bb.188:
	s_waitcnt lgkmcnt(7)
	v_add_co_u32_e32 v18, vcc, 0x2000, v4
	s_nop 1
	v_addc_co_u32_e32 v19, vcc, 0, v5, vcc
	s_waitcnt lgkmcnt(6)
	global_store_dword v[18:19], v16, off offset:1024
.LBB34_189:
	s_or_b64 exec, exec, s[2:3]
	v_or_b32_e32 v1, 0xa00, v0
	v_cmp_gt_u32_e32 vcc, s33, v1
	s_and_saveexec_b64 s[2:3], vcc
	s_cbranch_execz .LBB34_191
; %bb.190:
	s_waitcnt lgkmcnt(7)
	v_add_co_u32_e32 v18, vcc, 0x2000, v4
	s_nop 1
	v_addc_co_u32_e32 v19, vcc, 0, v5, vcc
	s_waitcnt lgkmcnt(6)
	global_store_dword v[18:19], v17, off offset:2048
.LBB34_191:
	s_or_b64 exec, exec, s[2:3]
	v_or_b32_e32 v1, 0xb00, v0
	v_cmp_gt_u32_e32 vcc, s33, v1
	s_and_saveexec_b64 s[2:3], vcc
	s_cbranch_execz .LBB34_193
; %bb.192:
	s_waitcnt lgkmcnt(6)
	v_add_co_u32_e32 v16, vcc, 0x2000, v4
	s_nop 1
	v_addc_co_u32_e32 v17, vcc, 0, v5, vcc
	s_waitcnt lgkmcnt(5)
	global_store_dword v[16:17], v14, off offset:3072
.LBB34_193:
	;; [unrolled: 52-line block ×4, first 2 shown]
	s_or_b64 exec, exec, s[2:3]
	v_or_b32_e32 v1, 0x1400, v0
	v_cmp_gt_u32_e32 vcc, s33, v1
	s_and_saveexec_b64 s[2:3], vcc
	s_cbranch_execz .LBB34_211
; %bb.210:
	s_waitcnt lgkmcnt(2)
	v_add_co_u32_e32 v8, vcc, 0x5000, v4
	s_nop 1
	v_addc_co_u32_e32 v9, vcc, 0, v5, vcc
	s_waitcnt lgkmcnt(1)
	global_store_dword v[8:9], v7, off
.LBB34_211:
	s_or_b64 exec, exec, s[2:3]
	v_or_b32_e32 v1, 0x1500, v0
	v_cmp_gt_u32_e32 vcc, s33, v1
	s_and_saveexec_b64 s[2:3], vcc
	s_cbranch_execz .LBB34_213
; %bb.212:
	v_add_co_u32_e32 v4, vcc, 0x5000, v4
	s_nop 1
	v_addc_co_u32_e32 v5, vcc, 0, v5, vcc
	s_waitcnt lgkmcnt(0)
	global_store_dword v[4:5], v2, off offset:1024
.LBB34_213:
	s_or_b64 exec, exec, s[2:3]
	s_waitcnt lgkmcnt(0)
	v_or_b32_e32 v2, 0x1600, v0
	v_mov_b32_e32 v1, v55
	v_cmp_gt_u32_e64 s[2:3], s33, v2
	s_branch .LBB34_216
.LBB34_214:
	s_mov_b64 s[2:3], 0
                                        ; implicit-def: $vgpr3
	s_cbranch_execz .LBB34_216
; %bb.215:
	v_mul_u32_u24_e32 v1, 0x5c, v0
	s_barrier
	s_movk_i32 s4, 0x5c
	ds_write2_b32 v1, v80, v58 offset1:1
	ds_write2_b32 v1, v59, v60 offset0:2 offset1:3
	ds_write2_b32 v1, v61, v62 offset0:4 offset1:5
	;; [unrolled: 1-line block ×10, first 2 shown]
	ds_write_b32 v1, v79 offset:88
	v_mov_b32_e32 v1, 0
	v_mul_i32_i24_e32 v2, 0xffffffa8, v0
	v_mad_u32_u24 v2, v0, s4, v2
	v_mov_b32_e32 v55, v1
	s_waitcnt lgkmcnt(0)
	s_barrier
	ds_read2st64_b32 v[4:5], v2 offset1:4
	ds_read2st64_b32 v[6:7], v2 offset0:8 offset1:12
	ds_read2st64_b32 v[8:9], v2 offset0:16 offset1:20
	;; [unrolled: 1-line block ×10, first 2 shown]
	ds_read_b32 v3, v2 offset:22528
	v_lshl_add_u64 v[26:27], s[0:1], 0, v[54:55]
	s_movk_i32 s4, 0x1000
	s_waitcnt lgkmcnt(11)
	global_store_dword v54, v4, s[0:1]
	global_store_dword v54, v5, s[0:1] offset:1024
	s_waitcnt lgkmcnt(10)
	global_store_dword v54, v6, s[0:1] offset:2048
	global_store_dword v54, v7, s[0:1] offset:3072
	v_add_co_u32_e32 v4, vcc, s4, v26
	s_movk_i32 s4, 0x2000
	s_nop 0
	v_addc_co_u32_e32 v5, vcc, 0, v27, vcc
	v_add_co_u32_e32 v6, vcc, s4, v26
	s_movk_i32 s4, 0x3000
	s_nop 0
	v_addc_co_u32_e32 v7, vcc, 0, v27, vcc
	s_waitcnt lgkmcnt(9)
	global_store_dword v[6:7], v8, off offset:-4096
	global_store_dword v[4:5], v9, off offset:1024
	s_waitcnt lgkmcnt(8)
	global_store_dword v[4:5], v10, off offset:2048
	global_store_dword v[4:5], v11, off offset:3072
	s_waitcnt lgkmcnt(7)
	global_store_dword v[6:7], v12, off
	global_store_dword v[6:7], v13, off offset:1024
	s_waitcnt lgkmcnt(6)
	global_store_dword v[6:7], v14, off offset:2048
	global_store_dword v[6:7], v15, off offset:3072
	v_add_co_u32_e32 v4, vcc, s4, v26
	s_or_b64 s[2:3], s[2:3], exec
	s_nop 0
	v_addc_co_u32_e32 v5, vcc, 0, v27, vcc
	s_waitcnt lgkmcnt(5)
	global_store_dword v[4:5], v16, off
	global_store_dword v[4:5], v17, off offset:1024
	s_waitcnt lgkmcnt(4)
	global_store_dword v[4:5], v18, off offset:2048
	global_store_dword v[4:5], v19, off offset:3072
	v_add_co_u32_e32 v4, vcc, 0x4000, v26
	s_nop 1
	v_addc_co_u32_e32 v5, vcc, 0, v27, vcc
	s_waitcnt lgkmcnt(3)
	global_store_dword v[4:5], v20, off
	global_store_dword v[4:5], v21, off offset:1024
	s_waitcnt lgkmcnt(2)
	global_store_dword v[4:5], v22, off offset:2048
	global_store_dword v[4:5], v23, off offset:3072
	v_add_co_u32_e32 v4, vcc, 0x5000, v26
	s_nop 1
	v_addc_co_u32_e32 v5, vcc, 0, v27, vcc
	s_waitcnt lgkmcnt(1)
	global_store_dword v[4:5], v24, off
	global_store_dword v[4:5], v25, off offset:1024
.LBB34_216:
	s_and_saveexec_b64 s[4:5], s[2:3]
	s_cbranch_execnz .LBB34_218
; %bb.217:
	s_endpgm
.LBB34_218:
	v_lshl_add_u64 v[0:1], v[0:1], 2, s[0:1]
	v_add_co_u32_e32 v0, vcc, 0x5000, v0
	s_nop 1
	v_addc_co_u32_e32 v1, vcc, 0, v1, vcc
	s_waitcnt lgkmcnt(0)
	global_store_dword v[0:1], v3, off offset:2048
	s_endpgm
.LBB34_219:
	v_add_u32_e32 v1, -1, v0
	v_lshrrev_b32_e32 v2, 5, v1
	v_add_lshl_u32 v1, v2, v1, 3
	ds_read_b32 v1, v1
	s_or_b64 exec, exec, s[2:3]
	s_and_saveexec_b64 s[2:3], s[0:1]
	s_cbranch_execz .LBB34_165
.LBB34_220:
	v_and_b32_e32 v3, 0xff, v11
	v_mov_b32_e32 v2, 0
	v_cmp_eq_u64_e64 s[0:1], 0, v[2:3]
	;;#ASMSTART
	;;#ASMEND
	s_waitcnt lgkmcnt(0)
	s_nop 0
	v_cndmask_b32_e64 v1, 0, v1, s[0:1]
	v_add_u32_e32 v10, v1, v10
	v_cndmask_b32_e64 v1, 0, v10, s[4:5]
	v_add_u32_e32 v58, v1, v12
	;; [unrolled: 2-line block ×23, first 2 shown]
	s_or_b64 exec, exec, s[2:3]
	s_and_saveexec_b64 s[0:1], vcc
	s_cbranch_execnz .LBB34_166
	s_branch .LBB34_167
.LBB34_221:
                                        ; implicit-def: $sgpr4_sgpr5
	s_branch .LBB34_50
.LBB34_222:
                                        ; implicit-def: $sgpr4_sgpr5
	s_branch .LBB34_102
	.section	.rodata,"a",@progbits
	.p2align	6, 0x0
	.amdhsa_kernel _ZN7rocprim17ROCPRIM_400000_NS6detail17trampoline_kernelINS0_14default_configENS1_27scan_by_key_config_selectorIiiEEZZNS1_16scan_by_key_implILNS1_25lookback_scan_determinismE0ELb0ES3_PKiN6hipcub16HIPCUB_304000_NS21ConstantInputIteratorIilEEPiiNSB_3SumENSB_8EqualityEiEE10hipError_tPvRmT2_T3_T4_T5_mT6_T7_P12ihipStream_tbENKUlT_T0_E_clISt17integral_constantIbLb1EESW_IbLb0EEEEDaSS_ST_EUlSS_E_NS1_11comp_targetILNS1_3genE5ELNS1_11target_archE942ELNS1_3gpuE9ELNS1_3repE0EEENS1_30default_config_static_selectorELNS0_4arch9wavefront6targetE1EEEvT1_
		.amdhsa_group_segment_fixed_size 25600
		.amdhsa_private_segment_fixed_size 0
		.amdhsa_kernarg_size 120
		.amdhsa_user_sgpr_count 2
		.amdhsa_user_sgpr_dispatch_ptr 0
		.amdhsa_user_sgpr_queue_ptr 0
		.amdhsa_user_sgpr_kernarg_segment_ptr 1
		.amdhsa_user_sgpr_dispatch_id 0
		.amdhsa_user_sgpr_kernarg_preload_length 0
		.amdhsa_user_sgpr_kernarg_preload_offset 0
		.amdhsa_user_sgpr_private_segment_size 0
		.amdhsa_uses_dynamic_stack 0
		.amdhsa_enable_private_segment 0
		.amdhsa_system_sgpr_workgroup_id_x 1
		.amdhsa_system_sgpr_workgroup_id_y 0
		.amdhsa_system_sgpr_workgroup_id_z 0
		.amdhsa_system_sgpr_workgroup_info 0
		.amdhsa_system_vgpr_workitem_id 0
		.amdhsa_next_free_vgpr 81
		.amdhsa_next_free_sgpr 80
		.amdhsa_accum_offset 84
		.amdhsa_reserve_vcc 1
		.amdhsa_float_round_mode_32 0
		.amdhsa_float_round_mode_16_64 0
		.amdhsa_float_denorm_mode_32 3
		.amdhsa_float_denorm_mode_16_64 3
		.amdhsa_dx10_clamp 1
		.amdhsa_ieee_mode 1
		.amdhsa_fp16_overflow 0
		.amdhsa_tg_split 0
		.amdhsa_exception_fp_ieee_invalid_op 0
		.amdhsa_exception_fp_denorm_src 0
		.amdhsa_exception_fp_ieee_div_zero 0
		.amdhsa_exception_fp_ieee_overflow 0
		.amdhsa_exception_fp_ieee_underflow 0
		.amdhsa_exception_fp_ieee_inexact 0
		.amdhsa_exception_int_div_zero 0
	.end_amdhsa_kernel
	.section	.text._ZN7rocprim17ROCPRIM_400000_NS6detail17trampoline_kernelINS0_14default_configENS1_27scan_by_key_config_selectorIiiEEZZNS1_16scan_by_key_implILNS1_25lookback_scan_determinismE0ELb0ES3_PKiN6hipcub16HIPCUB_304000_NS21ConstantInputIteratorIilEEPiiNSB_3SumENSB_8EqualityEiEE10hipError_tPvRmT2_T3_T4_T5_mT6_T7_P12ihipStream_tbENKUlT_T0_E_clISt17integral_constantIbLb1EESW_IbLb0EEEEDaSS_ST_EUlSS_E_NS1_11comp_targetILNS1_3genE5ELNS1_11target_archE942ELNS1_3gpuE9ELNS1_3repE0EEENS1_30default_config_static_selectorELNS0_4arch9wavefront6targetE1EEEvT1_,"axG",@progbits,_ZN7rocprim17ROCPRIM_400000_NS6detail17trampoline_kernelINS0_14default_configENS1_27scan_by_key_config_selectorIiiEEZZNS1_16scan_by_key_implILNS1_25lookback_scan_determinismE0ELb0ES3_PKiN6hipcub16HIPCUB_304000_NS21ConstantInputIteratorIilEEPiiNSB_3SumENSB_8EqualityEiEE10hipError_tPvRmT2_T3_T4_T5_mT6_T7_P12ihipStream_tbENKUlT_T0_E_clISt17integral_constantIbLb1EESW_IbLb0EEEEDaSS_ST_EUlSS_E_NS1_11comp_targetILNS1_3genE5ELNS1_11target_archE942ELNS1_3gpuE9ELNS1_3repE0EEENS1_30default_config_static_selectorELNS0_4arch9wavefront6targetE1EEEvT1_,comdat
.Lfunc_end34:
	.size	_ZN7rocprim17ROCPRIM_400000_NS6detail17trampoline_kernelINS0_14default_configENS1_27scan_by_key_config_selectorIiiEEZZNS1_16scan_by_key_implILNS1_25lookback_scan_determinismE0ELb0ES3_PKiN6hipcub16HIPCUB_304000_NS21ConstantInputIteratorIilEEPiiNSB_3SumENSB_8EqualityEiEE10hipError_tPvRmT2_T3_T4_T5_mT6_T7_P12ihipStream_tbENKUlT_T0_E_clISt17integral_constantIbLb1EESW_IbLb0EEEEDaSS_ST_EUlSS_E_NS1_11comp_targetILNS1_3genE5ELNS1_11target_archE942ELNS1_3gpuE9ELNS1_3repE0EEENS1_30default_config_static_selectorELNS0_4arch9wavefront6targetE1EEEvT1_, .Lfunc_end34-_ZN7rocprim17ROCPRIM_400000_NS6detail17trampoline_kernelINS0_14default_configENS1_27scan_by_key_config_selectorIiiEEZZNS1_16scan_by_key_implILNS1_25lookback_scan_determinismE0ELb0ES3_PKiN6hipcub16HIPCUB_304000_NS21ConstantInputIteratorIilEEPiiNSB_3SumENSB_8EqualityEiEE10hipError_tPvRmT2_T3_T4_T5_mT6_T7_P12ihipStream_tbENKUlT_T0_E_clISt17integral_constantIbLb1EESW_IbLb0EEEEDaSS_ST_EUlSS_E_NS1_11comp_targetILNS1_3genE5ELNS1_11target_archE942ELNS1_3gpuE9ELNS1_3repE0EEENS1_30default_config_static_selectorELNS0_4arch9wavefront6targetE1EEEvT1_
                                        ; -- End function
	.section	.AMDGPU.csdata,"",@progbits
; Kernel info:
; codeLenInByte = 13992
; NumSgprs: 86
; NumVgprs: 81
; NumAgprs: 0
; TotalNumVgprs: 81
; ScratchSize: 0
; MemoryBound: 0
; FloatMode: 240
; IeeeMode: 1
; LDSByteSize: 25600 bytes/workgroup (compile time only)
; SGPRBlocks: 10
; VGPRBlocks: 10
; NumSGPRsForWavesPerEU: 86
; NumVGPRsForWavesPerEU: 81
; AccumOffset: 84
; Occupancy: 2
; WaveLimiterHint : 1
; COMPUTE_PGM_RSRC2:SCRATCH_EN: 0
; COMPUTE_PGM_RSRC2:USER_SGPR: 2
; COMPUTE_PGM_RSRC2:TRAP_HANDLER: 0
; COMPUTE_PGM_RSRC2:TGID_X_EN: 1
; COMPUTE_PGM_RSRC2:TGID_Y_EN: 0
; COMPUTE_PGM_RSRC2:TGID_Z_EN: 0
; COMPUTE_PGM_RSRC2:TIDIG_COMP_CNT: 0
; COMPUTE_PGM_RSRC3_GFX90A:ACCUM_OFFSET: 20
; COMPUTE_PGM_RSRC3_GFX90A:TG_SPLIT: 0
	.section	.text._ZN7rocprim17ROCPRIM_400000_NS6detail17trampoline_kernelINS0_14default_configENS1_27scan_by_key_config_selectorIiiEEZZNS1_16scan_by_key_implILNS1_25lookback_scan_determinismE0ELb0ES3_PKiN6hipcub16HIPCUB_304000_NS21ConstantInputIteratorIilEEPiiNSB_3SumENSB_8EqualityEiEE10hipError_tPvRmT2_T3_T4_T5_mT6_T7_P12ihipStream_tbENKUlT_T0_E_clISt17integral_constantIbLb1EESW_IbLb0EEEEDaSS_ST_EUlSS_E_NS1_11comp_targetILNS1_3genE4ELNS1_11target_archE910ELNS1_3gpuE8ELNS1_3repE0EEENS1_30default_config_static_selectorELNS0_4arch9wavefront6targetE1EEEvT1_,"axG",@progbits,_ZN7rocprim17ROCPRIM_400000_NS6detail17trampoline_kernelINS0_14default_configENS1_27scan_by_key_config_selectorIiiEEZZNS1_16scan_by_key_implILNS1_25lookback_scan_determinismE0ELb0ES3_PKiN6hipcub16HIPCUB_304000_NS21ConstantInputIteratorIilEEPiiNSB_3SumENSB_8EqualityEiEE10hipError_tPvRmT2_T3_T4_T5_mT6_T7_P12ihipStream_tbENKUlT_T0_E_clISt17integral_constantIbLb1EESW_IbLb0EEEEDaSS_ST_EUlSS_E_NS1_11comp_targetILNS1_3genE4ELNS1_11target_archE910ELNS1_3gpuE8ELNS1_3repE0EEENS1_30default_config_static_selectorELNS0_4arch9wavefront6targetE1EEEvT1_,comdat
	.protected	_ZN7rocprim17ROCPRIM_400000_NS6detail17trampoline_kernelINS0_14default_configENS1_27scan_by_key_config_selectorIiiEEZZNS1_16scan_by_key_implILNS1_25lookback_scan_determinismE0ELb0ES3_PKiN6hipcub16HIPCUB_304000_NS21ConstantInputIteratorIilEEPiiNSB_3SumENSB_8EqualityEiEE10hipError_tPvRmT2_T3_T4_T5_mT6_T7_P12ihipStream_tbENKUlT_T0_E_clISt17integral_constantIbLb1EESW_IbLb0EEEEDaSS_ST_EUlSS_E_NS1_11comp_targetILNS1_3genE4ELNS1_11target_archE910ELNS1_3gpuE8ELNS1_3repE0EEENS1_30default_config_static_selectorELNS0_4arch9wavefront6targetE1EEEvT1_ ; -- Begin function _ZN7rocprim17ROCPRIM_400000_NS6detail17trampoline_kernelINS0_14default_configENS1_27scan_by_key_config_selectorIiiEEZZNS1_16scan_by_key_implILNS1_25lookback_scan_determinismE0ELb0ES3_PKiN6hipcub16HIPCUB_304000_NS21ConstantInputIteratorIilEEPiiNSB_3SumENSB_8EqualityEiEE10hipError_tPvRmT2_T3_T4_T5_mT6_T7_P12ihipStream_tbENKUlT_T0_E_clISt17integral_constantIbLb1EESW_IbLb0EEEEDaSS_ST_EUlSS_E_NS1_11comp_targetILNS1_3genE4ELNS1_11target_archE910ELNS1_3gpuE8ELNS1_3repE0EEENS1_30default_config_static_selectorELNS0_4arch9wavefront6targetE1EEEvT1_
	.globl	_ZN7rocprim17ROCPRIM_400000_NS6detail17trampoline_kernelINS0_14default_configENS1_27scan_by_key_config_selectorIiiEEZZNS1_16scan_by_key_implILNS1_25lookback_scan_determinismE0ELb0ES3_PKiN6hipcub16HIPCUB_304000_NS21ConstantInputIteratorIilEEPiiNSB_3SumENSB_8EqualityEiEE10hipError_tPvRmT2_T3_T4_T5_mT6_T7_P12ihipStream_tbENKUlT_T0_E_clISt17integral_constantIbLb1EESW_IbLb0EEEEDaSS_ST_EUlSS_E_NS1_11comp_targetILNS1_3genE4ELNS1_11target_archE910ELNS1_3gpuE8ELNS1_3repE0EEENS1_30default_config_static_selectorELNS0_4arch9wavefront6targetE1EEEvT1_
	.p2align	8
	.type	_ZN7rocprim17ROCPRIM_400000_NS6detail17trampoline_kernelINS0_14default_configENS1_27scan_by_key_config_selectorIiiEEZZNS1_16scan_by_key_implILNS1_25lookback_scan_determinismE0ELb0ES3_PKiN6hipcub16HIPCUB_304000_NS21ConstantInputIteratorIilEEPiiNSB_3SumENSB_8EqualityEiEE10hipError_tPvRmT2_T3_T4_T5_mT6_T7_P12ihipStream_tbENKUlT_T0_E_clISt17integral_constantIbLb1EESW_IbLb0EEEEDaSS_ST_EUlSS_E_NS1_11comp_targetILNS1_3genE4ELNS1_11target_archE910ELNS1_3gpuE8ELNS1_3repE0EEENS1_30default_config_static_selectorELNS0_4arch9wavefront6targetE1EEEvT1_,@function
_ZN7rocprim17ROCPRIM_400000_NS6detail17trampoline_kernelINS0_14default_configENS1_27scan_by_key_config_selectorIiiEEZZNS1_16scan_by_key_implILNS1_25lookback_scan_determinismE0ELb0ES3_PKiN6hipcub16HIPCUB_304000_NS21ConstantInputIteratorIilEEPiiNSB_3SumENSB_8EqualityEiEE10hipError_tPvRmT2_T3_T4_T5_mT6_T7_P12ihipStream_tbENKUlT_T0_E_clISt17integral_constantIbLb1EESW_IbLb0EEEEDaSS_ST_EUlSS_E_NS1_11comp_targetILNS1_3genE4ELNS1_11target_archE910ELNS1_3gpuE8ELNS1_3repE0EEENS1_30default_config_static_selectorELNS0_4arch9wavefront6targetE1EEEvT1_: ; @_ZN7rocprim17ROCPRIM_400000_NS6detail17trampoline_kernelINS0_14default_configENS1_27scan_by_key_config_selectorIiiEEZZNS1_16scan_by_key_implILNS1_25lookback_scan_determinismE0ELb0ES3_PKiN6hipcub16HIPCUB_304000_NS21ConstantInputIteratorIilEEPiiNSB_3SumENSB_8EqualityEiEE10hipError_tPvRmT2_T3_T4_T5_mT6_T7_P12ihipStream_tbENKUlT_T0_E_clISt17integral_constantIbLb1EESW_IbLb0EEEEDaSS_ST_EUlSS_E_NS1_11comp_targetILNS1_3genE4ELNS1_11target_archE910ELNS1_3gpuE8ELNS1_3repE0EEENS1_30default_config_static_selectorELNS0_4arch9wavefront6targetE1EEEvT1_
; %bb.0:
	.section	.rodata,"a",@progbits
	.p2align	6, 0x0
	.amdhsa_kernel _ZN7rocprim17ROCPRIM_400000_NS6detail17trampoline_kernelINS0_14default_configENS1_27scan_by_key_config_selectorIiiEEZZNS1_16scan_by_key_implILNS1_25lookback_scan_determinismE0ELb0ES3_PKiN6hipcub16HIPCUB_304000_NS21ConstantInputIteratorIilEEPiiNSB_3SumENSB_8EqualityEiEE10hipError_tPvRmT2_T3_T4_T5_mT6_T7_P12ihipStream_tbENKUlT_T0_E_clISt17integral_constantIbLb1EESW_IbLb0EEEEDaSS_ST_EUlSS_E_NS1_11comp_targetILNS1_3genE4ELNS1_11target_archE910ELNS1_3gpuE8ELNS1_3repE0EEENS1_30default_config_static_selectorELNS0_4arch9wavefront6targetE1EEEvT1_
		.amdhsa_group_segment_fixed_size 0
		.amdhsa_private_segment_fixed_size 0
		.amdhsa_kernarg_size 120
		.amdhsa_user_sgpr_count 2
		.amdhsa_user_sgpr_dispatch_ptr 0
		.amdhsa_user_sgpr_queue_ptr 0
		.amdhsa_user_sgpr_kernarg_segment_ptr 1
		.amdhsa_user_sgpr_dispatch_id 0
		.amdhsa_user_sgpr_kernarg_preload_length 0
		.amdhsa_user_sgpr_kernarg_preload_offset 0
		.amdhsa_user_sgpr_private_segment_size 0
		.amdhsa_uses_dynamic_stack 0
		.amdhsa_enable_private_segment 0
		.amdhsa_system_sgpr_workgroup_id_x 1
		.amdhsa_system_sgpr_workgroup_id_y 0
		.amdhsa_system_sgpr_workgroup_id_z 0
		.amdhsa_system_sgpr_workgroup_info 0
		.amdhsa_system_vgpr_workitem_id 0
		.amdhsa_next_free_vgpr 1
		.amdhsa_next_free_sgpr 0
		.amdhsa_accum_offset 4
		.amdhsa_reserve_vcc 0
		.amdhsa_float_round_mode_32 0
		.amdhsa_float_round_mode_16_64 0
		.amdhsa_float_denorm_mode_32 3
		.amdhsa_float_denorm_mode_16_64 3
		.amdhsa_dx10_clamp 1
		.amdhsa_ieee_mode 1
		.amdhsa_fp16_overflow 0
		.amdhsa_tg_split 0
		.amdhsa_exception_fp_ieee_invalid_op 0
		.amdhsa_exception_fp_denorm_src 0
		.amdhsa_exception_fp_ieee_div_zero 0
		.amdhsa_exception_fp_ieee_overflow 0
		.amdhsa_exception_fp_ieee_underflow 0
		.amdhsa_exception_fp_ieee_inexact 0
		.amdhsa_exception_int_div_zero 0
	.end_amdhsa_kernel
	.section	.text._ZN7rocprim17ROCPRIM_400000_NS6detail17trampoline_kernelINS0_14default_configENS1_27scan_by_key_config_selectorIiiEEZZNS1_16scan_by_key_implILNS1_25lookback_scan_determinismE0ELb0ES3_PKiN6hipcub16HIPCUB_304000_NS21ConstantInputIteratorIilEEPiiNSB_3SumENSB_8EqualityEiEE10hipError_tPvRmT2_T3_T4_T5_mT6_T7_P12ihipStream_tbENKUlT_T0_E_clISt17integral_constantIbLb1EESW_IbLb0EEEEDaSS_ST_EUlSS_E_NS1_11comp_targetILNS1_3genE4ELNS1_11target_archE910ELNS1_3gpuE8ELNS1_3repE0EEENS1_30default_config_static_selectorELNS0_4arch9wavefront6targetE1EEEvT1_,"axG",@progbits,_ZN7rocprim17ROCPRIM_400000_NS6detail17trampoline_kernelINS0_14default_configENS1_27scan_by_key_config_selectorIiiEEZZNS1_16scan_by_key_implILNS1_25lookback_scan_determinismE0ELb0ES3_PKiN6hipcub16HIPCUB_304000_NS21ConstantInputIteratorIilEEPiiNSB_3SumENSB_8EqualityEiEE10hipError_tPvRmT2_T3_T4_T5_mT6_T7_P12ihipStream_tbENKUlT_T0_E_clISt17integral_constantIbLb1EESW_IbLb0EEEEDaSS_ST_EUlSS_E_NS1_11comp_targetILNS1_3genE4ELNS1_11target_archE910ELNS1_3gpuE8ELNS1_3repE0EEENS1_30default_config_static_selectorELNS0_4arch9wavefront6targetE1EEEvT1_,comdat
.Lfunc_end35:
	.size	_ZN7rocprim17ROCPRIM_400000_NS6detail17trampoline_kernelINS0_14default_configENS1_27scan_by_key_config_selectorIiiEEZZNS1_16scan_by_key_implILNS1_25lookback_scan_determinismE0ELb0ES3_PKiN6hipcub16HIPCUB_304000_NS21ConstantInputIteratorIilEEPiiNSB_3SumENSB_8EqualityEiEE10hipError_tPvRmT2_T3_T4_T5_mT6_T7_P12ihipStream_tbENKUlT_T0_E_clISt17integral_constantIbLb1EESW_IbLb0EEEEDaSS_ST_EUlSS_E_NS1_11comp_targetILNS1_3genE4ELNS1_11target_archE910ELNS1_3gpuE8ELNS1_3repE0EEENS1_30default_config_static_selectorELNS0_4arch9wavefront6targetE1EEEvT1_, .Lfunc_end35-_ZN7rocprim17ROCPRIM_400000_NS6detail17trampoline_kernelINS0_14default_configENS1_27scan_by_key_config_selectorIiiEEZZNS1_16scan_by_key_implILNS1_25lookback_scan_determinismE0ELb0ES3_PKiN6hipcub16HIPCUB_304000_NS21ConstantInputIteratorIilEEPiiNSB_3SumENSB_8EqualityEiEE10hipError_tPvRmT2_T3_T4_T5_mT6_T7_P12ihipStream_tbENKUlT_T0_E_clISt17integral_constantIbLb1EESW_IbLb0EEEEDaSS_ST_EUlSS_E_NS1_11comp_targetILNS1_3genE4ELNS1_11target_archE910ELNS1_3gpuE8ELNS1_3repE0EEENS1_30default_config_static_selectorELNS0_4arch9wavefront6targetE1EEEvT1_
                                        ; -- End function
	.section	.AMDGPU.csdata,"",@progbits
; Kernel info:
; codeLenInByte = 0
; NumSgprs: 6
; NumVgprs: 0
; NumAgprs: 0
; TotalNumVgprs: 0
; ScratchSize: 0
; MemoryBound: 0
; FloatMode: 240
; IeeeMode: 1
; LDSByteSize: 0 bytes/workgroup (compile time only)
; SGPRBlocks: 0
; VGPRBlocks: 0
; NumSGPRsForWavesPerEU: 6
; NumVGPRsForWavesPerEU: 1
; AccumOffset: 4
; Occupancy: 8
; WaveLimiterHint : 0
; COMPUTE_PGM_RSRC2:SCRATCH_EN: 0
; COMPUTE_PGM_RSRC2:USER_SGPR: 2
; COMPUTE_PGM_RSRC2:TRAP_HANDLER: 0
; COMPUTE_PGM_RSRC2:TGID_X_EN: 1
; COMPUTE_PGM_RSRC2:TGID_Y_EN: 0
; COMPUTE_PGM_RSRC2:TGID_Z_EN: 0
; COMPUTE_PGM_RSRC2:TIDIG_COMP_CNT: 0
; COMPUTE_PGM_RSRC3_GFX90A:ACCUM_OFFSET: 0
; COMPUTE_PGM_RSRC3_GFX90A:TG_SPLIT: 0
	.section	.text._ZN7rocprim17ROCPRIM_400000_NS6detail17trampoline_kernelINS0_14default_configENS1_27scan_by_key_config_selectorIiiEEZZNS1_16scan_by_key_implILNS1_25lookback_scan_determinismE0ELb0ES3_PKiN6hipcub16HIPCUB_304000_NS21ConstantInputIteratorIilEEPiiNSB_3SumENSB_8EqualityEiEE10hipError_tPvRmT2_T3_T4_T5_mT6_T7_P12ihipStream_tbENKUlT_T0_E_clISt17integral_constantIbLb1EESW_IbLb0EEEEDaSS_ST_EUlSS_E_NS1_11comp_targetILNS1_3genE3ELNS1_11target_archE908ELNS1_3gpuE7ELNS1_3repE0EEENS1_30default_config_static_selectorELNS0_4arch9wavefront6targetE1EEEvT1_,"axG",@progbits,_ZN7rocprim17ROCPRIM_400000_NS6detail17trampoline_kernelINS0_14default_configENS1_27scan_by_key_config_selectorIiiEEZZNS1_16scan_by_key_implILNS1_25lookback_scan_determinismE0ELb0ES3_PKiN6hipcub16HIPCUB_304000_NS21ConstantInputIteratorIilEEPiiNSB_3SumENSB_8EqualityEiEE10hipError_tPvRmT2_T3_T4_T5_mT6_T7_P12ihipStream_tbENKUlT_T0_E_clISt17integral_constantIbLb1EESW_IbLb0EEEEDaSS_ST_EUlSS_E_NS1_11comp_targetILNS1_3genE3ELNS1_11target_archE908ELNS1_3gpuE7ELNS1_3repE0EEENS1_30default_config_static_selectorELNS0_4arch9wavefront6targetE1EEEvT1_,comdat
	.protected	_ZN7rocprim17ROCPRIM_400000_NS6detail17trampoline_kernelINS0_14default_configENS1_27scan_by_key_config_selectorIiiEEZZNS1_16scan_by_key_implILNS1_25lookback_scan_determinismE0ELb0ES3_PKiN6hipcub16HIPCUB_304000_NS21ConstantInputIteratorIilEEPiiNSB_3SumENSB_8EqualityEiEE10hipError_tPvRmT2_T3_T4_T5_mT6_T7_P12ihipStream_tbENKUlT_T0_E_clISt17integral_constantIbLb1EESW_IbLb0EEEEDaSS_ST_EUlSS_E_NS1_11comp_targetILNS1_3genE3ELNS1_11target_archE908ELNS1_3gpuE7ELNS1_3repE0EEENS1_30default_config_static_selectorELNS0_4arch9wavefront6targetE1EEEvT1_ ; -- Begin function _ZN7rocprim17ROCPRIM_400000_NS6detail17trampoline_kernelINS0_14default_configENS1_27scan_by_key_config_selectorIiiEEZZNS1_16scan_by_key_implILNS1_25lookback_scan_determinismE0ELb0ES3_PKiN6hipcub16HIPCUB_304000_NS21ConstantInputIteratorIilEEPiiNSB_3SumENSB_8EqualityEiEE10hipError_tPvRmT2_T3_T4_T5_mT6_T7_P12ihipStream_tbENKUlT_T0_E_clISt17integral_constantIbLb1EESW_IbLb0EEEEDaSS_ST_EUlSS_E_NS1_11comp_targetILNS1_3genE3ELNS1_11target_archE908ELNS1_3gpuE7ELNS1_3repE0EEENS1_30default_config_static_selectorELNS0_4arch9wavefront6targetE1EEEvT1_
	.globl	_ZN7rocprim17ROCPRIM_400000_NS6detail17trampoline_kernelINS0_14default_configENS1_27scan_by_key_config_selectorIiiEEZZNS1_16scan_by_key_implILNS1_25lookback_scan_determinismE0ELb0ES3_PKiN6hipcub16HIPCUB_304000_NS21ConstantInputIteratorIilEEPiiNSB_3SumENSB_8EqualityEiEE10hipError_tPvRmT2_T3_T4_T5_mT6_T7_P12ihipStream_tbENKUlT_T0_E_clISt17integral_constantIbLb1EESW_IbLb0EEEEDaSS_ST_EUlSS_E_NS1_11comp_targetILNS1_3genE3ELNS1_11target_archE908ELNS1_3gpuE7ELNS1_3repE0EEENS1_30default_config_static_selectorELNS0_4arch9wavefront6targetE1EEEvT1_
	.p2align	8
	.type	_ZN7rocprim17ROCPRIM_400000_NS6detail17trampoline_kernelINS0_14default_configENS1_27scan_by_key_config_selectorIiiEEZZNS1_16scan_by_key_implILNS1_25lookback_scan_determinismE0ELb0ES3_PKiN6hipcub16HIPCUB_304000_NS21ConstantInputIteratorIilEEPiiNSB_3SumENSB_8EqualityEiEE10hipError_tPvRmT2_T3_T4_T5_mT6_T7_P12ihipStream_tbENKUlT_T0_E_clISt17integral_constantIbLb1EESW_IbLb0EEEEDaSS_ST_EUlSS_E_NS1_11comp_targetILNS1_3genE3ELNS1_11target_archE908ELNS1_3gpuE7ELNS1_3repE0EEENS1_30default_config_static_selectorELNS0_4arch9wavefront6targetE1EEEvT1_,@function
_ZN7rocprim17ROCPRIM_400000_NS6detail17trampoline_kernelINS0_14default_configENS1_27scan_by_key_config_selectorIiiEEZZNS1_16scan_by_key_implILNS1_25lookback_scan_determinismE0ELb0ES3_PKiN6hipcub16HIPCUB_304000_NS21ConstantInputIteratorIilEEPiiNSB_3SumENSB_8EqualityEiEE10hipError_tPvRmT2_T3_T4_T5_mT6_T7_P12ihipStream_tbENKUlT_T0_E_clISt17integral_constantIbLb1EESW_IbLb0EEEEDaSS_ST_EUlSS_E_NS1_11comp_targetILNS1_3genE3ELNS1_11target_archE908ELNS1_3gpuE7ELNS1_3repE0EEENS1_30default_config_static_selectorELNS0_4arch9wavefront6targetE1EEEvT1_: ; @_ZN7rocprim17ROCPRIM_400000_NS6detail17trampoline_kernelINS0_14default_configENS1_27scan_by_key_config_selectorIiiEEZZNS1_16scan_by_key_implILNS1_25lookback_scan_determinismE0ELb0ES3_PKiN6hipcub16HIPCUB_304000_NS21ConstantInputIteratorIilEEPiiNSB_3SumENSB_8EqualityEiEE10hipError_tPvRmT2_T3_T4_T5_mT6_T7_P12ihipStream_tbENKUlT_T0_E_clISt17integral_constantIbLb1EESW_IbLb0EEEEDaSS_ST_EUlSS_E_NS1_11comp_targetILNS1_3genE3ELNS1_11target_archE908ELNS1_3gpuE7ELNS1_3repE0EEENS1_30default_config_static_selectorELNS0_4arch9wavefront6targetE1EEEvT1_
; %bb.0:
	.section	.rodata,"a",@progbits
	.p2align	6, 0x0
	.amdhsa_kernel _ZN7rocprim17ROCPRIM_400000_NS6detail17trampoline_kernelINS0_14default_configENS1_27scan_by_key_config_selectorIiiEEZZNS1_16scan_by_key_implILNS1_25lookback_scan_determinismE0ELb0ES3_PKiN6hipcub16HIPCUB_304000_NS21ConstantInputIteratorIilEEPiiNSB_3SumENSB_8EqualityEiEE10hipError_tPvRmT2_T3_T4_T5_mT6_T7_P12ihipStream_tbENKUlT_T0_E_clISt17integral_constantIbLb1EESW_IbLb0EEEEDaSS_ST_EUlSS_E_NS1_11comp_targetILNS1_3genE3ELNS1_11target_archE908ELNS1_3gpuE7ELNS1_3repE0EEENS1_30default_config_static_selectorELNS0_4arch9wavefront6targetE1EEEvT1_
		.amdhsa_group_segment_fixed_size 0
		.amdhsa_private_segment_fixed_size 0
		.amdhsa_kernarg_size 120
		.amdhsa_user_sgpr_count 2
		.amdhsa_user_sgpr_dispatch_ptr 0
		.amdhsa_user_sgpr_queue_ptr 0
		.amdhsa_user_sgpr_kernarg_segment_ptr 1
		.amdhsa_user_sgpr_dispatch_id 0
		.amdhsa_user_sgpr_kernarg_preload_length 0
		.amdhsa_user_sgpr_kernarg_preload_offset 0
		.amdhsa_user_sgpr_private_segment_size 0
		.amdhsa_uses_dynamic_stack 0
		.amdhsa_enable_private_segment 0
		.amdhsa_system_sgpr_workgroup_id_x 1
		.amdhsa_system_sgpr_workgroup_id_y 0
		.amdhsa_system_sgpr_workgroup_id_z 0
		.amdhsa_system_sgpr_workgroup_info 0
		.amdhsa_system_vgpr_workitem_id 0
		.amdhsa_next_free_vgpr 1
		.amdhsa_next_free_sgpr 0
		.amdhsa_accum_offset 4
		.amdhsa_reserve_vcc 0
		.amdhsa_float_round_mode_32 0
		.amdhsa_float_round_mode_16_64 0
		.amdhsa_float_denorm_mode_32 3
		.amdhsa_float_denorm_mode_16_64 3
		.amdhsa_dx10_clamp 1
		.amdhsa_ieee_mode 1
		.amdhsa_fp16_overflow 0
		.amdhsa_tg_split 0
		.amdhsa_exception_fp_ieee_invalid_op 0
		.amdhsa_exception_fp_denorm_src 0
		.amdhsa_exception_fp_ieee_div_zero 0
		.amdhsa_exception_fp_ieee_overflow 0
		.amdhsa_exception_fp_ieee_underflow 0
		.amdhsa_exception_fp_ieee_inexact 0
		.amdhsa_exception_int_div_zero 0
	.end_amdhsa_kernel
	.section	.text._ZN7rocprim17ROCPRIM_400000_NS6detail17trampoline_kernelINS0_14default_configENS1_27scan_by_key_config_selectorIiiEEZZNS1_16scan_by_key_implILNS1_25lookback_scan_determinismE0ELb0ES3_PKiN6hipcub16HIPCUB_304000_NS21ConstantInputIteratorIilEEPiiNSB_3SumENSB_8EqualityEiEE10hipError_tPvRmT2_T3_T4_T5_mT6_T7_P12ihipStream_tbENKUlT_T0_E_clISt17integral_constantIbLb1EESW_IbLb0EEEEDaSS_ST_EUlSS_E_NS1_11comp_targetILNS1_3genE3ELNS1_11target_archE908ELNS1_3gpuE7ELNS1_3repE0EEENS1_30default_config_static_selectorELNS0_4arch9wavefront6targetE1EEEvT1_,"axG",@progbits,_ZN7rocprim17ROCPRIM_400000_NS6detail17trampoline_kernelINS0_14default_configENS1_27scan_by_key_config_selectorIiiEEZZNS1_16scan_by_key_implILNS1_25lookback_scan_determinismE0ELb0ES3_PKiN6hipcub16HIPCUB_304000_NS21ConstantInputIteratorIilEEPiiNSB_3SumENSB_8EqualityEiEE10hipError_tPvRmT2_T3_T4_T5_mT6_T7_P12ihipStream_tbENKUlT_T0_E_clISt17integral_constantIbLb1EESW_IbLb0EEEEDaSS_ST_EUlSS_E_NS1_11comp_targetILNS1_3genE3ELNS1_11target_archE908ELNS1_3gpuE7ELNS1_3repE0EEENS1_30default_config_static_selectorELNS0_4arch9wavefront6targetE1EEEvT1_,comdat
.Lfunc_end36:
	.size	_ZN7rocprim17ROCPRIM_400000_NS6detail17trampoline_kernelINS0_14default_configENS1_27scan_by_key_config_selectorIiiEEZZNS1_16scan_by_key_implILNS1_25lookback_scan_determinismE0ELb0ES3_PKiN6hipcub16HIPCUB_304000_NS21ConstantInputIteratorIilEEPiiNSB_3SumENSB_8EqualityEiEE10hipError_tPvRmT2_T3_T4_T5_mT6_T7_P12ihipStream_tbENKUlT_T0_E_clISt17integral_constantIbLb1EESW_IbLb0EEEEDaSS_ST_EUlSS_E_NS1_11comp_targetILNS1_3genE3ELNS1_11target_archE908ELNS1_3gpuE7ELNS1_3repE0EEENS1_30default_config_static_selectorELNS0_4arch9wavefront6targetE1EEEvT1_, .Lfunc_end36-_ZN7rocprim17ROCPRIM_400000_NS6detail17trampoline_kernelINS0_14default_configENS1_27scan_by_key_config_selectorIiiEEZZNS1_16scan_by_key_implILNS1_25lookback_scan_determinismE0ELb0ES3_PKiN6hipcub16HIPCUB_304000_NS21ConstantInputIteratorIilEEPiiNSB_3SumENSB_8EqualityEiEE10hipError_tPvRmT2_T3_T4_T5_mT6_T7_P12ihipStream_tbENKUlT_T0_E_clISt17integral_constantIbLb1EESW_IbLb0EEEEDaSS_ST_EUlSS_E_NS1_11comp_targetILNS1_3genE3ELNS1_11target_archE908ELNS1_3gpuE7ELNS1_3repE0EEENS1_30default_config_static_selectorELNS0_4arch9wavefront6targetE1EEEvT1_
                                        ; -- End function
	.section	.AMDGPU.csdata,"",@progbits
; Kernel info:
; codeLenInByte = 0
; NumSgprs: 6
; NumVgprs: 0
; NumAgprs: 0
; TotalNumVgprs: 0
; ScratchSize: 0
; MemoryBound: 0
; FloatMode: 240
; IeeeMode: 1
; LDSByteSize: 0 bytes/workgroup (compile time only)
; SGPRBlocks: 0
; VGPRBlocks: 0
; NumSGPRsForWavesPerEU: 6
; NumVGPRsForWavesPerEU: 1
; AccumOffset: 4
; Occupancy: 8
; WaveLimiterHint : 0
; COMPUTE_PGM_RSRC2:SCRATCH_EN: 0
; COMPUTE_PGM_RSRC2:USER_SGPR: 2
; COMPUTE_PGM_RSRC2:TRAP_HANDLER: 0
; COMPUTE_PGM_RSRC2:TGID_X_EN: 1
; COMPUTE_PGM_RSRC2:TGID_Y_EN: 0
; COMPUTE_PGM_RSRC2:TGID_Z_EN: 0
; COMPUTE_PGM_RSRC2:TIDIG_COMP_CNT: 0
; COMPUTE_PGM_RSRC3_GFX90A:ACCUM_OFFSET: 0
; COMPUTE_PGM_RSRC3_GFX90A:TG_SPLIT: 0
	.section	.text._ZN7rocprim17ROCPRIM_400000_NS6detail17trampoline_kernelINS0_14default_configENS1_27scan_by_key_config_selectorIiiEEZZNS1_16scan_by_key_implILNS1_25lookback_scan_determinismE0ELb0ES3_PKiN6hipcub16HIPCUB_304000_NS21ConstantInputIteratorIilEEPiiNSB_3SumENSB_8EqualityEiEE10hipError_tPvRmT2_T3_T4_T5_mT6_T7_P12ihipStream_tbENKUlT_T0_E_clISt17integral_constantIbLb1EESW_IbLb0EEEEDaSS_ST_EUlSS_E_NS1_11comp_targetILNS1_3genE2ELNS1_11target_archE906ELNS1_3gpuE6ELNS1_3repE0EEENS1_30default_config_static_selectorELNS0_4arch9wavefront6targetE1EEEvT1_,"axG",@progbits,_ZN7rocprim17ROCPRIM_400000_NS6detail17trampoline_kernelINS0_14default_configENS1_27scan_by_key_config_selectorIiiEEZZNS1_16scan_by_key_implILNS1_25lookback_scan_determinismE0ELb0ES3_PKiN6hipcub16HIPCUB_304000_NS21ConstantInputIteratorIilEEPiiNSB_3SumENSB_8EqualityEiEE10hipError_tPvRmT2_T3_T4_T5_mT6_T7_P12ihipStream_tbENKUlT_T0_E_clISt17integral_constantIbLb1EESW_IbLb0EEEEDaSS_ST_EUlSS_E_NS1_11comp_targetILNS1_3genE2ELNS1_11target_archE906ELNS1_3gpuE6ELNS1_3repE0EEENS1_30default_config_static_selectorELNS0_4arch9wavefront6targetE1EEEvT1_,comdat
	.protected	_ZN7rocprim17ROCPRIM_400000_NS6detail17trampoline_kernelINS0_14default_configENS1_27scan_by_key_config_selectorIiiEEZZNS1_16scan_by_key_implILNS1_25lookback_scan_determinismE0ELb0ES3_PKiN6hipcub16HIPCUB_304000_NS21ConstantInputIteratorIilEEPiiNSB_3SumENSB_8EqualityEiEE10hipError_tPvRmT2_T3_T4_T5_mT6_T7_P12ihipStream_tbENKUlT_T0_E_clISt17integral_constantIbLb1EESW_IbLb0EEEEDaSS_ST_EUlSS_E_NS1_11comp_targetILNS1_3genE2ELNS1_11target_archE906ELNS1_3gpuE6ELNS1_3repE0EEENS1_30default_config_static_selectorELNS0_4arch9wavefront6targetE1EEEvT1_ ; -- Begin function _ZN7rocprim17ROCPRIM_400000_NS6detail17trampoline_kernelINS0_14default_configENS1_27scan_by_key_config_selectorIiiEEZZNS1_16scan_by_key_implILNS1_25lookback_scan_determinismE0ELb0ES3_PKiN6hipcub16HIPCUB_304000_NS21ConstantInputIteratorIilEEPiiNSB_3SumENSB_8EqualityEiEE10hipError_tPvRmT2_T3_T4_T5_mT6_T7_P12ihipStream_tbENKUlT_T0_E_clISt17integral_constantIbLb1EESW_IbLb0EEEEDaSS_ST_EUlSS_E_NS1_11comp_targetILNS1_3genE2ELNS1_11target_archE906ELNS1_3gpuE6ELNS1_3repE0EEENS1_30default_config_static_selectorELNS0_4arch9wavefront6targetE1EEEvT1_
	.globl	_ZN7rocprim17ROCPRIM_400000_NS6detail17trampoline_kernelINS0_14default_configENS1_27scan_by_key_config_selectorIiiEEZZNS1_16scan_by_key_implILNS1_25lookback_scan_determinismE0ELb0ES3_PKiN6hipcub16HIPCUB_304000_NS21ConstantInputIteratorIilEEPiiNSB_3SumENSB_8EqualityEiEE10hipError_tPvRmT2_T3_T4_T5_mT6_T7_P12ihipStream_tbENKUlT_T0_E_clISt17integral_constantIbLb1EESW_IbLb0EEEEDaSS_ST_EUlSS_E_NS1_11comp_targetILNS1_3genE2ELNS1_11target_archE906ELNS1_3gpuE6ELNS1_3repE0EEENS1_30default_config_static_selectorELNS0_4arch9wavefront6targetE1EEEvT1_
	.p2align	8
	.type	_ZN7rocprim17ROCPRIM_400000_NS6detail17trampoline_kernelINS0_14default_configENS1_27scan_by_key_config_selectorIiiEEZZNS1_16scan_by_key_implILNS1_25lookback_scan_determinismE0ELb0ES3_PKiN6hipcub16HIPCUB_304000_NS21ConstantInputIteratorIilEEPiiNSB_3SumENSB_8EqualityEiEE10hipError_tPvRmT2_T3_T4_T5_mT6_T7_P12ihipStream_tbENKUlT_T0_E_clISt17integral_constantIbLb1EESW_IbLb0EEEEDaSS_ST_EUlSS_E_NS1_11comp_targetILNS1_3genE2ELNS1_11target_archE906ELNS1_3gpuE6ELNS1_3repE0EEENS1_30default_config_static_selectorELNS0_4arch9wavefront6targetE1EEEvT1_,@function
_ZN7rocprim17ROCPRIM_400000_NS6detail17trampoline_kernelINS0_14default_configENS1_27scan_by_key_config_selectorIiiEEZZNS1_16scan_by_key_implILNS1_25lookback_scan_determinismE0ELb0ES3_PKiN6hipcub16HIPCUB_304000_NS21ConstantInputIteratorIilEEPiiNSB_3SumENSB_8EqualityEiEE10hipError_tPvRmT2_T3_T4_T5_mT6_T7_P12ihipStream_tbENKUlT_T0_E_clISt17integral_constantIbLb1EESW_IbLb0EEEEDaSS_ST_EUlSS_E_NS1_11comp_targetILNS1_3genE2ELNS1_11target_archE906ELNS1_3gpuE6ELNS1_3repE0EEENS1_30default_config_static_selectorELNS0_4arch9wavefront6targetE1EEEvT1_: ; @_ZN7rocprim17ROCPRIM_400000_NS6detail17trampoline_kernelINS0_14default_configENS1_27scan_by_key_config_selectorIiiEEZZNS1_16scan_by_key_implILNS1_25lookback_scan_determinismE0ELb0ES3_PKiN6hipcub16HIPCUB_304000_NS21ConstantInputIteratorIilEEPiiNSB_3SumENSB_8EqualityEiEE10hipError_tPvRmT2_T3_T4_T5_mT6_T7_P12ihipStream_tbENKUlT_T0_E_clISt17integral_constantIbLb1EESW_IbLb0EEEEDaSS_ST_EUlSS_E_NS1_11comp_targetILNS1_3genE2ELNS1_11target_archE906ELNS1_3gpuE6ELNS1_3repE0EEENS1_30default_config_static_selectorELNS0_4arch9wavefront6targetE1EEEvT1_
; %bb.0:
	.section	.rodata,"a",@progbits
	.p2align	6, 0x0
	.amdhsa_kernel _ZN7rocprim17ROCPRIM_400000_NS6detail17trampoline_kernelINS0_14default_configENS1_27scan_by_key_config_selectorIiiEEZZNS1_16scan_by_key_implILNS1_25lookback_scan_determinismE0ELb0ES3_PKiN6hipcub16HIPCUB_304000_NS21ConstantInputIteratorIilEEPiiNSB_3SumENSB_8EqualityEiEE10hipError_tPvRmT2_T3_T4_T5_mT6_T7_P12ihipStream_tbENKUlT_T0_E_clISt17integral_constantIbLb1EESW_IbLb0EEEEDaSS_ST_EUlSS_E_NS1_11comp_targetILNS1_3genE2ELNS1_11target_archE906ELNS1_3gpuE6ELNS1_3repE0EEENS1_30default_config_static_selectorELNS0_4arch9wavefront6targetE1EEEvT1_
		.amdhsa_group_segment_fixed_size 0
		.amdhsa_private_segment_fixed_size 0
		.amdhsa_kernarg_size 120
		.amdhsa_user_sgpr_count 2
		.amdhsa_user_sgpr_dispatch_ptr 0
		.amdhsa_user_sgpr_queue_ptr 0
		.amdhsa_user_sgpr_kernarg_segment_ptr 1
		.amdhsa_user_sgpr_dispatch_id 0
		.amdhsa_user_sgpr_kernarg_preload_length 0
		.amdhsa_user_sgpr_kernarg_preload_offset 0
		.amdhsa_user_sgpr_private_segment_size 0
		.amdhsa_uses_dynamic_stack 0
		.amdhsa_enable_private_segment 0
		.amdhsa_system_sgpr_workgroup_id_x 1
		.amdhsa_system_sgpr_workgroup_id_y 0
		.amdhsa_system_sgpr_workgroup_id_z 0
		.amdhsa_system_sgpr_workgroup_info 0
		.amdhsa_system_vgpr_workitem_id 0
		.amdhsa_next_free_vgpr 1
		.amdhsa_next_free_sgpr 0
		.amdhsa_accum_offset 4
		.amdhsa_reserve_vcc 0
		.amdhsa_float_round_mode_32 0
		.amdhsa_float_round_mode_16_64 0
		.amdhsa_float_denorm_mode_32 3
		.amdhsa_float_denorm_mode_16_64 3
		.amdhsa_dx10_clamp 1
		.amdhsa_ieee_mode 1
		.amdhsa_fp16_overflow 0
		.amdhsa_tg_split 0
		.amdhsa_exception_fp_ieee_invalid_op 0
		.amdhsa_exception_fp_denorm_src 0
		.amdhsa_exception_fp_ieee_div_zero 0
		.amdhsa_exception_fp_ieee_overflow 0
		.amdhsa_exception_fp_ieee_underflow 0
		.amdhsa_exception_fp_ieee_inexact 0
		.amdhsa_exception_int_div_zero 0
	.end_amdhsa_kernel
	.section	.text._ZN7rocprim17ROCPRIM_400000_NS6detail17trampoline_kernelINS0_14default_configENS1_27scan_by_key_config_selectorIiiEEZZNS1_16scan_by_key_implILNS1_25lookback_scan_determinismE0ELb0ES3_PKiN6hipcub16HIPCUB_304000_NS21ConstantInputIteratorIilEEPiiNSB_3SumENSB_8EqualityEiEE10hipError_tPvRmT2_T3_T4_T5_mT6_T7_P12ihipStream_tbENKUlT_T0_E_clISt17integral_constantIbLb1EESW_IbLb0EEEEDaSS_ST_EUlSS_E_NS1_11comp_targetILNS1_3genE2ELNS1_11target_archE906ELNS1_3gpuE6ELNS1_3repE0EEENS1_30default_config_static_selectorELNS0_4arch9wavefront6targetE1EEEvT1_,"axG",@progbits,_ZN7rocprim17ROCPRIM_400000_NS6detail17trampoline_kernelINS0_14default_configENS1_27scan_by_key_config_selectorIiiEEZZNS1_16scan_by_key_implILNS1_25lookback_scan_determinismE0ELb0ES3_PKiN6hipcub16HIPCUB_304000_NS21ConstantInputIteratorIilEEPiiNSB_3SumENSB_8EqualityEiEE10hipError_tPvRmT2_T3_T4_T5_mT6_T7_P12ihipStream_tbENKUlT_T0_E_clISt17integral_constantIbLb1EESW_IbLb0EEEEDaSS_ST_EUlSS_E_NS1_11comp_targetILNS1_3genE2ELNS1_11target_archE906ELNS1_3gpuE6ELNS1_3repE0EEENS1_30default_config_static_selectorELNS0_4arch9wavefront6targetE1EEEvT1_,comdat
.Lfunc_end37:
	.size	_ZN7rocprim17ROCPRIM_400000_NS6detail17trampoline_kernelINS0_14default_configENS1_27scan_by_key_config_selectorIiiEEZZNS1_16scan_by_key_implILNS1_25lookback_scan_determinismE0ELb0ES3_PKiN6hipcub16HIPCUB_304000_NS21ConstantInputIteratorIilEEPiiNSB_3SumENSB_8EqualityEiEE10hipError_tPvRmT2_T3_T4_T5_mT6_T7_P12ihipStream_tbENKUlT_T0_E_clISt17integral_constantIbLb1EESW_IbLb0EEEEDaSS_ST_EUlSS_E_NS1_11comp_targetILNS1_3genE2ELNS1_11target_archE906ELNS1_3gpuE6ELNS1_3repE0EEENS1_30default_config_static_selectorELNS0_4arch9wavefront6targetE1EEEvT1_, .Lfunc_end37-_ZN7rocprim17ROCPRIM_400000_NS6detail17trampoline_kernelINS0_14default_configENS1_27scan_by_key_config_selectorIiiEEZZNS1_16scan_by_key_implILNS1_25lookback_scan_determinismE0ELb0ES3_PKiN6hipcub16HIPCUB_304000_NS21ConstantInputIteratorIilEEPiiNSB_3SumENSB_8EqualityEiEE10hipError_tPvRmT2_T3_T4_T5_mT6_T7_P12ihipStream_tbENKUlT_T0_E_clISt17integral_constantIbLb1EESW_IbLb0EEEEDaSS_ST_EUlSS_E_NS1_11comp_targetILNS1_3genE2ELNS1_11target_archE906ELNS1_3gpuE6ELNS1_3repE0EEENS1_30default_config_static_selectorELNS0_4arch9wavefront6targetE1EEEvT1_
                                        ; -- End function
	.section	.AMDGPU.csdata,"",@progbits
; Kernel info:
; codeLenInByte = 0
; NumSgprs: 6
; NumVgprs: 0
; NumAgprs: 0
; TotalNumVgprs: 0
; ScratchSize: 0
; MemoryBound: 0
; FloatMode: 240
; IeeeMode: 1
; LDSByteSize: 0 bytes/workgroup (compile time only)
; SGPRBlocks: 0
; VGPRBlocks: 0
; NumSGPRsForWavesPerEU: 6
; NumVGPRsForWavesPerEU: 1
; AccumOffset: 4
; Occupancy: 8
; WaveLimiterHint : 0
; COMPUTE_PGM_RSRC2:SCRATCH_EN: 0
; COMPUTE_PGM_RSRC2:USER_SGPR: 2
; COMPUTE_PGM_RSRC2:TRAP_HANDLER: 0
; COMPUTE_PGM_RSRC2:TGID_X_EN: 1
; COMPUTE_PGM_RSRC2:TGID_Y_EN: 0
; COMPUTE_PGM_RSRC2:TGID_Z_EN: 0
; COMPUTE_PGM_RSRC2:TIDIG_COMP_CNT: 0
; COMPUTE_PGM_RSRC3_GFX90A:ACCUM_OFFSET: 0
; COMPUTE_PGM_RSRC3_GFX90A:TG_SPLIT: 0
	.section	.text._ZN7rocprim17ROCPRIM_400000_NS6detail17trampoline_kernelINS0_14default_configENS1_27scan_by_key_config_selectorIiiEEZZNS1_16scan_by_key_implILNS1_25lookback_scan_determinismE0ELb0ES3_PKiN6hipcub16HIPCUB_304000_NS21ConstantInputIteratorIilEEPiiNSB_3SumENSB_8EqualityEiEE10hipError_tPvRmT2_T3_T4_T5_mT6_T7_P12ihipStream_tbENKUlT_T0_E_clISt17integral_constantIbLb1EESW_IbLb0EEEEDaSS_ST_EUlSS_E_NS1_11comp_targetILNS1_3genE10ELNS1_11target_archE1200ELNS1_3gpuE4ELNS1_3repE0EEENS1_30default_config_static_selectorELNS0_4arch9wavefront6targetE1EEEvT1_,"axG",@progbits,_ZN7rocprim17ROCPRIM_400000_NS6detail17trampoline_kernelINS0_14default_configENS1_27scan_by_key_config_selectorIiiEEZZNS1_16scan_by_key_implILNS1_25lookback_scan_determinismE0ELb0ES3_PKiN6hipcub16HIPCUB_304000_NS21ConstantInputIteratorIilEEPiiNSB_3SumENSB_8EqualityEiEE10hipError_tPvRmT2_T3_T4_T5_mT6_T7_P12ihipStream_tbENKUlT_T0_E_clISt17integral_constantIbLb1EESW_IbLb0EEEEDaSS_ST_EUlSS_E_NS1_11comp_targetILNS1_3genE10ELNS1_11target_archE1200ELNS1_3gpuE4ELNS1_3repE0EEENS1_30default_config_static_selectorELNS0_4arch9wavefront6targetE1EEEvT1_,comdat
	.protected	_ZN7rocprim17ROCPRIM_400000_NS6detail17trampoline_kernelINS0_14default_configENS1_27scan_by_key_config_selectorIiiEEZZNS1_16scan_by_key_implILNS1_25lookback_scan_determinismE0ELb0ES3_PKiN6hipcub16HIPCUB_304000_NS21ConstantInputIteratorIilEEPiiNSB_3SumENSB_8EqualityEiEE10hipError_tPvRmT2_T3_T4_T5_mT6_T7_P12ihipStream_tbENKUlT_T0_E_clISt17integral_constantIbLb1EESW_IbLb0EEEEDaSS_ST_EUlSS_E_NS1_11comp_targetILNS1_3genE10ELNS1_11target_archE1200ELNS1_3gpuE4ELNS1_3repE0EEENS1_30default_config_static_selectorELNS0_4arch9wavefront6targetE1EEEvT1_ ; -- Begin function _ZN7rocprim17ROCPRIM_400000_NS6detail17trampoline_kernelINS0_14default_configENS1_27scan_by_key_config_selectorIiiEEZZNS1_16scan_by_key_implILNS1_25lookback_scan_determinismE0ELb0ES3_PKiN6hipcub16HIPCUB_304000_NS21ConstantInputIteratorIilEEPiiNSB_3SumENSB_8EqualityEiEE10hipError_tPvRmT2_T3_T4_T5_mT6_T7_P12ihipStream_tbENKUlT_T0_E_clISt17integral_constantIbLb1EESW_IbLb0EEEEDaSS_ST_EUlSS_E_NS1_11comp_targetILNS1_3genE10ELNS1_11target_archE1200ELNS1_3gpuE4ELNS1_3repE0EEENS1_30default_config_static_selectorELNS0_4arch9wavefront6targetE1EEEvT1_
	.globl	_ZN7rocprim17ROCPRIM_400000_NS6detail17trampoline_kernelINS0_14default_configENS1_27scan_by_key_config_selectorIiiEEZZNS1_16scan_by_key_implILNS1_25lookback_scan_determinismE0ELb0ES3_PKiN6hipcub16HIPCUB_304000_NS21ConstantInputIteratorIilEEPiiNSB_3SumENSB_8EqualityEiEE10hipError_tPvRmT2_T3_T4_T5_mT6_T7_P12ihipStream_tbENKUlT_T0_E_clISt17integral_constantIbLb1EESW_IbLb0EEEEDaSS_ST_EUlSS_E_NS1_11comp_targetILNS1_3genE10ELNS1_11target_archE1200ELNS1_3gpuE4ELNS1_3repE0EEENS1_30default_config_static_selectorELNS0_4arch9wavefront6targetE1EEEvT1_
	.p2align	8
	.type	_ZN7rocprim17ROCPRIM_400000_NS6detail17trampoline_kernelINS0_14default_configENS1_27scan_by_key_config_selectorIiiEEZZNS1_16scan_by_key_implILNS1_25lookback_scan_determinismE0ELb0ES3_PKiN6hipcub16HIPCUB_304000_NS21ConstantInputIteratorIilEEPiiNSB_3SumENSB_8EqualityEiEE10hipError_tPvRmT2_T3_T4_T5_mT6_T7_P12ihipStream_tbENKUlT_T0_E_clISt17integral_constantIbLb1EESW_IbLb0EEEEDaSS_ST_EUlSS_E_NS1_11comp_targetILNS1_3genE10ELNS1_11target_archE1200ELNS1_3gpuE4ELNS1_3repE0EEENS1_30default_config_static_selectorELNS0_4arch9wavefront6targetE1EEEvT1_,@function
_ZN7rocprim17ROCPRIM_400000_NS6detail17trampoline_kernelINS0_14default_configENS1_27scan_by_key_config_selectorIiiEEZZNS1_16scan_by_key_implILNS1_25lookback_scan_determinismE0ELb0ES3_PKiN6hipcub16HIPCUB_304000_NS21ConstantInputIteratorIilEEPiiNSB_3SumENSB_8EqualityEiEE10hipError_tPvRmT2_T3_T4_T5_mT6_T7_P12ihipStream_tbENKUlT_T0_E_clISt17integral_constantIbLb1EESW_IbLb0EEEEDaSS_ST_EUlSS_E_NS1_11comp_targetILNS1_3genE10ELNS1_11target_archE1200ELNS1_3gpuE4ELNS1_3repE0EEENS1_30default_config_static_selectorELNS0_4arch9wavefront6targetE1EEEvT1_: ; @_ZN7rocprim17ROCPRIM_400000_NS6detail17trampoline_kernelINS0_14default_configENS1_27scan_by_key_config_selectorIiiEEZZNS1_16scan_by_key_implILNS1_25lookback_scan_determinismE0ELb0ES3_PKiN6hipcub16HIPCUB_304000_NS21ConstantInputIteratorIilEEPiiNSB_3SumENSB_8EqualityEiEE10hipError_tPvRmT2_T3_T4_T5_mT6_T7_P12ihipStream_tbENKUlT_T0_E_clISt17integral_constantIbLb1EESW_IbLb0EEEEDaSS_ST_EUlSS_E_NS1_11comp_targetILNS1_3genE10ELNS1_11target_archE1200ELNS1_3gpuE4ELNS1_3repE0EEENS1_30default_config_static_selectorELNS0_4arch9wavefront6targetE1EEEvT1_
; %bb.0:
	.section	.rodata,"a",@progbits
	.p2align	6, 0x0
	.amdhsa_kernel _ZN7rocprim17ROCPRIM_400000_NS6detail17trampoline_kernelINS0_14default_configENS1_27scan_by_key_config_selectorIiiEEZZNS1_16scan_by_key_implILNS1_25lookback_scan_determinismE0ELb0ES3_PKiN6hipcub16HIPCUB_304000_NS21ConstantInputIteratorIilEEPiiNSB_3SumENSB_8EqualityEiEE10hipError_tPvRmT2_T3_T4_T5_mT6_T7_P12ihipStream_tbENKUlT_T0_E_clISt17integral_constantIbLb1EESW_IbLb0EEEEDaSS_ST_EUlSS_E_NS1_11comp_targetILNS1_3genE10ELNS1_11target_archE1200ELNS1_3gpuE4ELNS1_3repE0EEENS1_30default_config_static_selectorELNS0_4arch9wavefront6targetE1EEEvT1_
		.amdhsa_group_segment_fixed_size 0
		.amdhsa_private_segment_fixed_size 0
		.amdhsa_kernarg_size 120
		.amdhsa_user_sgpr_count 2
		.amdhsa_user_sgpr_dispatch_ptr 0
		.amdhsa_user_sgpr_queue_ptr 0
		.amdhsa_user_sgpr_kernarg_segment_ptr 1
		.amdhsa_user_sgpr_dispatch_id 0
		.amdhsa_user_sgpr_kernarg_preload_length 0
		.amdhsa_user_sgpr_kernarg_preload_offset 0
		.amdhsa_user_sgpr_private_segment_size 0
		.amdhsa_uses_dynamic_stack 0
		.amdhsa_enable_private_segment 0
		.amdhsa_system_sgpr_workgroup_id_x 1
		.amdhsa_system_sgpr_workgroup_id_y 0
		.amdhsa_system_sgpr_workgroup_id_z 0
		.amdhsa_system_sgpr_workgroup_info 0
		.amdhsa_system_vgpr_workitem_id 0
		.amdhsa_next_free_vgpr 1
		.amdhsa_next_free_sgpr 0
		.amdhsa_accum_offset 4
		.amdhsa_reserve_vcc 0
		.amdhsa_float_round_mode_32 0
		.amdhsa_float_round_mode_16_64 0
		.amdhsa_float_denorm_mode_32 3
		.amdhsa_float_denorm_mode_16_64 3
		.amdhsa_dx10_clamp 1
		.amdhsa_ieee_mode 1
		.amdhsa_fp16_overflow 0
		.amdhsa_tg_split 0
		.amdhsa_exception_fp_ieee_invalid_op 0
		.amdhsa_exception_fp_denorm_src 0
		.amdhsa_exception_fp_ieee_div_zero 0
		.amdhsa_exception_fp_ieee_overflow 0
		.amdhsa_exception_fp_ieee_underflow 0
		.amdhsa_exception_fp_ieee_inexact 0
		.amdhsa_exception_int_div_zero 0
	.end_amdhsa_kernel
	.section	.text._ZN7rocprim17ROCPRIM_400000_NS6detail17trampoline_kernelINS0_14default_configENS1_27scan_by_key_config_selectorIiiEEZZNS1_16scan_by_key_implILNS1_25lookback_scan_determinismE0ELb0ES3_PKiN6hipcub16HIPCUB_304000_NS21ConstantInputIteratorIilEEPiiNSB_3SumENSB_8EqualityEiEE10hipError_tPvRmT2_T3_T4_T5_mT6_T7_P12ihipStream_tbENKUlT_T0_E_clISt17integral_constantIbLb1EESW_IbLb0EEEEDaSS_ST_EUlSS_E_NS1_11comp_targetILNS1_3genE10ELNS1_11target_archE1200ELNS1_3gpuE4ELNS1_3repE0EEENS1_30default_config_static_selectorELNS0_4arch9wavefront6targetE1EEEvT1_,"axG",@progbits,_ZN7rocprim17ROCPRIM_400000_NS6detail17trampoline_kernelINS0_14default_configENS1_27scan_by_key_config_selectorIiiEEZZNS1_16scan_by_key_implILNS1_25lookback_scan_determinismE0ELb0ES3_PKiN6hipcub16HIPCUB_304000_NS21ConstantInputIteratorIilEEPiiNSB_3SumENSB_8EqualityEiEE10hipError_tPvRmT2_T3_T4_T5_mT6_T7_P12ihipStream_tbENKUlT_T0_E_clISt17integral_constantIbLb1EESW_IbLb0EEEEDaSS_ST_EUlSS_E_NS1_11comp_targetILNS1_3genE10ELNS1_11target_archE1200ELNS1_3gpuE4ELNS1_3repE0EEENS1_30default_config_static_selectorELNS0_4arch9wavefront6targetE1EEEvT1_,comdat
.Lfunc_end38:
	.size	_ZN7rocprim17ROCPRIM_400000_NS6detail17trampoline_kernelINS0_14default_configENS1_27scan_by_key_config_selectorIiiEEZZNS1_16scan_by_key_implILNS1_25lookback_scan_determinismE0ELb0ES3_PKiN6hipcub16HIPCUB_304000_NS21ConstantInputIteratorIilEEPiiNSB_3SumENSB_8EqualityEiEE10hipError_tPvRmT2_T3_T4_T5_mT6_T7_P12ihipStream_tbENKUlT_T0_E_clISt17integral_constantIbLb1EESW_IbLb0EEEEDaSS_ST_EUlSS_E_NS1_11comp_targetILNS1_3genE10ELNS1_11target_archE1200ELNS1_3gpuE4ELNS1_3repE0EEENS1_30default_config_static_selectorELNS0_4arch9wavefront6targetE1EEEvT1_, .Lfunc_end38-_ZN7rocprim17ROCPRIM_400000_NS6detail17trampoline_kernelINS0_14default_configENS1_27scan_by_key_config_selectorIiiEEZZNS1_16scan_by_key_implILNS1_25lookback_scan_determinismE0ELb0ES3_PKiN6hipcub16HIPCUB_304000_NS21ConstantInputIteratorIilEEPiiNSB_3SumENSB_8EqualityEiEE10hipError_tPvRmT2_T3_T4_T5_mT6_T7_P12ihipStream_tbENKUlT_T0_E_clISt17integral_constantIbLb1EESW_IbLb0EEEEDaSS_ST_EUlSS_E_NS1_11comp_targetILNS1_3genE10ELNS1_11target_archE1200ELNS1_3gpuE4ELNS1_3repE0EEENS1_30default_config_static_selectorELNS0_4arch9wavefront6targetE1EEEvT1_
                                        ; -- End function
	.section	.AMDGPU.csdata,"",@progbits
; Kernel info:
; codeLenInByte = 0
; NumSgprs: 6
; NumVgprs: 0
; NumAgprs: 0
; TotalNumVgprs: 0
; ScratchSize: 0
; MemoryBound: 0
; FloatMode: 240
; IeeeMode: 1
; LDSByteSize: 0 bytes/workgroup (compile time only)
; SGPRBlocks: 0
; VGPRBlocks: 0
; NumSGPRsForWavesPerEU: 6
; NumVGPRsForWavesPerEU: 1
; AccumOffset: 4
; Occupancy: 8
; WaveLimiterHint : 0
; COMPUTE_PGM_RSRC2:SCRATCH_EN: 0
; COMPUTE_PGM_RSRC2:USER_SGPR: 2
; COMPUTE_PGM_RSRC2:TRAP_HANDLER: 0
; COMPUTE_PGM_RSRC2:TGID_X_EN: 1
; COMPUTE_PGM_RSRC2:TGID_Y_EN: 0
; COMPUTE_PGM_RSRC2:TGID_Z_EN: 0
; COMPUTE_PGM_RSRC2:TIDIG_COMP_CNT: 0
; COMPUTE_PGM_RSRC3_GFX90A:ACCUM_OFFSET: 0
; COMPUTE_PGM_RSRC3_GFX90A:TG_SPLIT: 0
	.section	.text._ZN7rocprim17ROCPRIM_400000_NS6detail17trampoline_kernelINS0_14default_configENS1_27scan_by_key_config_selectorIiiEEZZNS1_16scan_by_key_implILNS1_25lookback_scan_determinismE0ELb0ES3_PKiN6hipcub16HIPCUB_304000_NS21ConstantInputIteratorIilEEPiiNSB_3SumENSB_8EqualityEiEE10hipError_tPvRmT2_T3_T4_T5_mT6_T7_P12ihipStream_tbENKUlT_T0_E_clISt17integral_constantIbLb1EESW_IbLb0EEEEDaSS_ST_EUlSS_E_NS1_11comp_targetILNS1_3genE9ELNS1_11target_archE1100ELNS1_3gpuE3ELNS1_3repE0EEENS1_30default_config_static_selectorELNS0_4arch9wavefront6targetE1EEEvT1_,"axG",@progbits,_ZN7rocprim17ROCPRIM_400000_NS6detail17trampoline_kernelINS0_14default_configENS1_27scan_by_key_config_selectorIiiEEZZNS1_16scan_by_key_implILNS1_25lookback_scan_determinismE0ELb0ES3_PKiN6hipcub16HIPCUB_304000_NS21ConstantInputIteratorIilEEPiiNSB_3SumENSB_8EqualityEiEE10hipError_tPvRmT2_T3_T4_T5_mT6_T7_P12ihipStream_tbENKUlT_T0_E_clISt17integral_constantIbLb1EESW_IbLb0EEEEDaSS_ST_EUlSS_E_NS1_11comp_targetILNS1_3genE9ELNS1_11target_archE1100ELNS1_3gpuE3ELNS1_3repE0EEENS1_30default_config_static_selectorELNS0_4arch9wavefront6targetE1EEEvT1_,comdat
	.protected	_ZN7rocprim17ROCPRIM_400000_NS6detail17trampoline_kernelINS0_14default_configENS1_27scan_by_key_config_selectorIiiEEZZNS1_16scan_by_key_implILNS1_25lookback_scan_determinismE0ELb0ES3_PKiN6hipcub16HIPCUB_304000_NS21ConstantInputIteratorIilEEPiiNSB_3SumENSB_8EqualityEiEE10hipError_tPvRmT2_T3_T4_T5_mT6_T7_P12ihipStream_tbENKUlT_T0_E_clISt17integral_constantIbLb1EESW_IbLb0EEEEDaSS_ST_EUlSS_E_NS1_11comp_targetILNS1_3genE9ELNS1_11target_archE1100ELNS1_3gpuE3ELNS1_3repE0EEENS1_30default_config_static_selectorELNS0_4arch9wavefront6targetE1EEEvT1_ ; -- Begin function _ZN7rocprim17ROCPRIM_400000_NS6detail17trampoline_kernelINS0_14default_configENS1_27scan_by_key_config_selectorIiiEEZZNS1_16scan_by_key_implILNS1_25lookback_scan_determinismE0ELb0ES3_PKiN6hipcub16HIPCUB_304000_NS21ConstantInputIteratorIilEEPiiNSB_3SumENSB_8EqualityEiEE10hipError_tPvRmT2_T3_T4_T5_mT6_T7_P12ihipStream_tbENKUlT_T0_E_clISt17integral_constantIbLb1EESW_IbLb0EEEEDaSS_ST_EUlSS_E_NS1_11comp_targetILNS1_3genE9ELNS1_11target_archE1100ELNS1_3gpuE3ELNS1_3repE0EEENS1_30default_config_static_selectorELNS0_4arch9wavefront6targetE1EEEvT1_
	.globl	_ZN7rocprim17ROCPRIM_400000_NS6detail17trampoline_kernelINS0_14default_configENS1_27scan_by_key_config_selectorIiiEEZZNS1_16scan_by_key_implILNS1_25lookback_scan_determinismE0ELb0ES3_PKiN6hipcub16HIPCUB_304000_NS21ConstantInputIteratorIilEEPiiNSB_3SumENSB_8EqualityEiEE10hipError_tPvRmT2_T3_T4_T5_mT6_T7_P12ihipStream_tbENKUlT_T0_E_clISt17integral_constantIbLb1EESW_IbLb0EEEEDaSS_ST_EUlSS_E_NS1_11comp_targetILNS1_3genE9ELNS1_11target_archE1100ELNS1_3gpuE3ELNS1_3repE0EEENS1_30default_config_static_selectorELNS0_4arch9wavefront6targetE1EEEvT1_
	.p2align	8
	.type	_ZN7rocprim17ROCPRIM_400000_NS6detail17trampoline_kernelINS0_14default_configENS1_27scan_by_key_config_selectorIiiEEZZNS1_16scan_by_key_implILNS1_25lookback_scan_determinismE0ELb0ES3_PKiN6hipcub16HIPCUB_304000_NS21ConstantInputIteratorIilEEPiiNSB_3SumENSB_8EqualityEiEE10hipError_tPvRmT2_T3_T4_T5_mT6_T7_P12ihipStream_tbENKUlT_T0_E_clISt17integral_constantIbLb1EESW_IbLb0EEEEDaSS_ST_EUlSS_E_NS1_11comp_targetILNS1_3genE9ELNS1_11target_archE1100ELNS1_3gpuE3ELNS1_3repE0EEENS1_30default_config_static_selectorELNS0_4arch9wavefront6targetE1EEEvT1_,@function
_ZN7rocprim17ROCPRIM_400000_NS6detail17trampoline_kernelINS0_14default_configENS1_27scan_by_key_config_selectorIiiEEZZNS1_16scan_by_key_implILNS1_25lookback_scan_determinismE0ELb0ES3_PKiN6hipcub16HIPCUB_304000_NS21ConstantInputIteratorIilEEPiiNSB_3SumENSB_8EqualityEiEE10hipError_tPvRmT2_T3_T4_T5_mT6_T7_P12ihipStream_tbENKUlT_T0_E_clISt17integral_constantIbLb1EESW_IbLb0EEEEDaSS_ST_EUlSS_E_NS1_11comp_targetILNS1_3genE9ELNS1_11target_archE1100ELNS1_3gpuE3ELNS1_3repE0EEENS1_30default_config_static_selectorELNS0_4arch9wavefront6targetE1EEEvT1_: ; @_ZN7rocprim17ROCPRIM_400000_NS6detail17trampoline_kernelINS0_14default_configENS1_27scan_by_key_config_selectorIiiEEZZNS1_16scan_by_key_implILNS1_25lookback_scan_determinismE0ELb0ES3_PKiN6hipcub16HIPCUB_304000_NS21ConstantInputIteratorIilEEPiiNSB_3SumENSB_8EqualityEiEE10hipError_tPvRmT2_T3_T4_T5_mT6_T7_P12ihipStream_tbENKUlT_T0_E_clISt17integral_constantIbLb1EESW_IbLb0EEEEDaSS_ST_EUlSS_E_NS1_11comp_targetILNS1_3genE9ELNS1_11target_archE1100ELNS1_3gpuE3ELNS1_3repE0EEENS1_30default_config_static_selectorELNS0_4arch9wavefront6targetE1EEEvT1_
; %bb.0:
	.section	.rodata,"a",@progbits
	.p2align	6, 0x0
	.amdhsa_kernel _ZN7rocprim17ROCPRIM_400000_NS6detail17trampoline_kernelINS0_14default_configENS1_27scan_by_key_config_selectorIiiEEZZNS1_16scan_by_key_implILNS1_25lookback_scan_determinismE0ELb0ES3_PKiN6hipcub16HIPCUB_304000_NS21ConstantInputIteratorIilEEPiiNSB_3SumENSB_8EqualityEiEE10hipError_tPvRmT2_T3_T4_T5_mT6_T7_P12ihipStream_tbENKUlT_T0_E_clISt17integral_constantIbLb1EESW_IbLb0EEEEDaSS_ST_EUlSS_E_NS1_11comp_targetILNS1_3genE9ELNS1_11target_archE1100ELNS1_3gpuE3ELNS1_3repE0EEENS1_30default_config_static_selectorELNS0_4arch9wavefront6targetE1EEEvT1_
		.amdhsa_group_segment_fixed_size 0
		.amdhsa_private_segment_fixed_size 0
		.amdhsa_kernarg_size 120
		.amdhsa_user_sgpr_count 2
		.amdhsa_user_sgpr_dispatch_ptr 0
		.amdhsa_user_sgpr_queue_ptr 0
		.amdhsa_user_sgpr_kernarg_segment_ptr 1
		.amdhsa_user_sgpr_dispatch_id 0
		.amdhsa_user_sgpr_kernarg_preload_length 0
		.amdhsa_user_sgpr_kernarg_preload_offset 0
		.amdhsa_user_sgpr_private_segment_size 0
		.amdhsa_uses_dynamic_stack 0
		.amdhsa_enable_private_segment 0
		.amdhsa_system_sgpr_workgroup_id_x 1
		.amdhsa_system_sgpr_workgroup_id_y 0
		.amdhsa_system_sgpr_workgroup_id_z 0
		.amdhsa_system_sgpr_workgroup_info 0
		.amdhsa_system_vgpr_workitem_id 0
		.amdhsa_next_free_vgpr 1
		.amdhsa_next_free_sgpr 0
		.amdhsa_accum_offset 4
		.amdhsa_reserve_vcc 0
		.amdhsa_float_round_mode_32 0
		.amdhsa_float_round_mode_16_64 0
		.amdhsa_float_denorm_mode_32 3
		.amdhsa_float_denorm_mode_16_64 3
		.amdhsa_dx10_clamp 1
		.amdhsa_ieee_mode 1
		.amdhsa_fp16_overflow 0
		.amdhsa_tg_split 0
		.amdhsa_exception_fp_ieee_invalid_op 0
		.amdhsa_exception_fp_denorm_src 0
		.amdhsa_exception_fp_ieee_div_zero 0
		.amdhsa_exception_fp_ieee_overflow 0
		.amdhsa_exception_fp_ieee_underflow 0
		.amdhsa_exception_fp_ieee_inexact 0
		.amdhsa_exception_int_div_zero 0
	.end_amdhsa_kernel
	.section	.text._ZN7rocprim17ROCPRIM_400000_NS6detail17trampoline_kernelINS0_14default_configENS1_27scan_by_key_config_selectorIiiEEZZNS1_16scan_by_key_implILNS1_25lookback_scan_determinismE0ELb0ES3_PKiN6hipcub16HIPCUB_304000_NS21ConstantInputIteratorIilEEPiiNSB_3SumENSB_8EqualityEiEE10hipError_tPvRmT2_T3_T4_T5_mT6_T7_P12ihipStream_tbENKUlT_T0_E_clISt17integral_constantIbLb1EESW_IbLb0EEEEDaSS_ST_EUlSS_E_NS1_11comp_targetILNS1_3genE9ELNS1_11target_archE1100ELNS1_3gpuE3ELNS1_3repE0EEENS1_30default_config_static_selectorELNS0_4arch9wavefront6targetE1EEEvT1_,"axG",@progbits,_ZN7rocprim17ROCPRIM_400000_NS6detail17trampoline_kernelINS0_14default_configENS1_27scan_by_key_config_selectorIiiEEZZNS1_16scan_by_key_implILNS1_25lookback_scan_determinismE0ELb0ES3_PKiN6hipcub16HIPCUB_304000_NS21ConstantInputIteratorIilEEPiiNSB_3SumENSB_8EqualityEiEE10hipError_tPvRmT2_T3_T4_T5_mT6_T7_P12ihipStream_tbENKUlT_T0_E_clISt17integral_constantIbLb1EESW_IbLb0EEEEDaSS_ST_EUlSS_E_NS1_11comp_targetILNS1_3genE9ELNS1_11target_archE1100ELNS1_3gpuE3ELNS1_3repE0EEENS1_30default_config_static_selectorELNS0_4arch9wavefront6targetE1EEEvT1_,comdat
.Lfunc_end39:
	.size	_ZN7rocprim17ROCPRIM_400000_NS6detail17trampoline_kernelINS0_14default_configENS1_27scan_by_key_config_selectorIiiEEZZNS1_16scan_by_key_implILNS1_25lookback_scan_determinismE0ELb0ES3_PKiN6hipcub16HIPCUB_304000_NS21ConstantInputIteratorIilEEPiiNSB_3SumENSB_8EqualityEiEE10hipError_tPvRmT2_T3_T4_T5_mT6_T7_P12ihipStream_tbENKUlT_T0_E_clISt17integral_constantIbLb1EESW_IbLb0EEEEDaSS_ST_EUlSS_E_NS1_11comp_targetILNS1_3genE9ELNS1_11target_archE1100ELNS1_3gpuE3ELNS1_3repE0EEENS1_30default_config_static_selectorELNS0_4arch9wavefront6targetE1EEEvT1_, .Lfunc_end39-_ZN7rocprim17ROCPRIM_400000_NS6detail17trampoline_kernelINS0_14default_configENS1_27scan_by_key_config_selectorIiiEEZZNS1_16scan_by_key_implILNS1_25lookback_scan_determinismE0ELb0ES3_PKiN6hipcub16HIPCUB_304000_NS21ConstantInputIteratorIilEEPiiNSB_3SumENSB_8EqualityEiEE10hipError_tPvRmT2_T3_T4_T5_mT6_T7_P12ihipStream_tbENKUlT_T0_E_clISt17integral_constantIbLb1EESW_IbLb0EEEEDaSS_ST_EUlSS_E_NS1_11comp_targetILNS1_3genE9ELNS1_11target_archE1100ELNS1_3gpuE3ELNS1_3repE0EEENS1_30default_config_static_selectorELNS0_4arch9wavefront6targetE1EEEvT1_
                                        ; -- End function
	.section	.AMDGPU.csdata,"",@progbits
; Kernel info:
; codeLenInByte = 0
; NumSgprs: 6
; NumVgprs: 0
; NumAgprs: 0
; TotalNumVgprs: 0
; ScratchSize: 0
; MemoryBound: 0
; FloatMode: 240
; IeeeMode: 1
; LDSByteSize: 0 bytes/workgroup (compile time only)
; SGPRBlocks: 0
; VGPRBlocks: 0
; NumSGPRsForWavesPerEU: 6
; NumVGPRsForWavesPerEU: 1
; AccumOffset: 4
; Occupancy: 8
; WaveLimiterHint : 0
; COMPUTE_PGM_RSRC2:SCRATCH_EN: 0
; COMPUTE_PGM_RSRC2:USER_SGPR: 2
; COMPUTE_PGM_RSRC2:TRAP_HANDLER: 0
; COMPUTE_PGM_RSRC2:TGID_X_EN: 1
; COMPUTE_PGM_RSRC2:TGID_Y_EN: 0
; COMPUTE_PGM_RSRC2:TGID_Z_EN: 0
; COMPUTE_PGM_RSRC2:TIDIG_COMP_CNT: 0
; COMPUTE_PGM_RSRC3_GFX90A:ACCUM_OFFSET: 0
; COMPUTE_PGM_RSRC3_GFX90A:TG_SPLIT: 0
	.section	.text._ZN7rocprim17ROCPRIM_400000_NS6detail17trampoline_kernelINS0_14default_configENS1_27scan_by_key_config_selectorIiiEEZZNS1_16scan_by_key_implILNS1_25lookback_scan_determinismE0ELb0ES3_PKiN6hipcub16HIPCUB_304000_NS21ConstantInputIteratorIilEEPiiNSB_3SumENSB_8EqualityEiEE10hipError_tPvRmT2_T3_T4_T5_mT6_T7_P12ihipStream_tbENKUlT_T0_E_clISt17integral_constantIbLb1EESW_IbLb0EEEEDaSS_ST_EUlSS_E_NS1_11comp_targetILNS1_3genE8ELNS1_11target_archE1030ELNS1_3gpuE2ELNS1_3repE0EEENS1_30default_config_static_selectorELNS0_4arch9wavefront6targetE1EEEvT1_,"axG",@progbits,_ZN7rocprim17ROCPRIM_400000_NS6detail17trampoline_kernelINS0_14default_configENS1_27scan_by_key_config_selectorIiiEEZZNS1_16scan_by_key_implILNS1_25lookback_scan_determinismE0ELb0ES3_PKiN6hipcub16HIPCUB_304000_NS21ConstantInputIteratorIilEEPiiNSB_3SumENSB_8EqualityEiEE10hipError_tPvRmT2_T3_T4_T5_mT6_T7_P12ihipStream_tbENKUlT_T0_E_clISt17integral_constantIbLb1EESW_IbLb0EEEEDaSS_ST_EUlSS_E_NS1_11comp_targetILNS1_3genE8ELNS1_11target_archE1030ELNS1_3gpuE2ELNS1_3repE0EEENS1_30default_config_static_selectorELNS0_4arch9wavefront6targetE1EEEvT1_,comdat
	.protected	_ZN7rocprim17ROCPRIM_400000_NS6detail17trampoline_kernelINS0_14default_configENS1_27scan_by_key_config_selectorIiiEEZZNS1_16scan_by_key_implILNS1_25lookback_scan_determinismE0ELb0ES3_PKiN6hipcub16HIPCUB_304000_NS21ConstantInputIteratorIilEEPiiNSB_3SumENSB_8EqualityEiEE10hipError_tPvRmT2_T3_T4_T5_mT6_T7_P12ihipStream_tbENKUlT_T0_E_clISt17integral_constantIbLb1EESW_IbLb0EEEEDaSS_ST_EUlSS_E_NS1_11comp_targetILNS1_3genE8ELNS1_11target_archE1030ELNS1_3gpuE2ELNS1_3repE0EEENS1_30default_config_static_selectorELNS0_4arch9wavefront6targetE1EEEvT1_ ; -- Begin function _ZN7rocprim17ROCPRIM_400000_NS6detail17trampoline_kernelINS0_14default_configENS1_27scan_by_key_config_selectorIiiEEZZNS1_16scan_by_key_implILNS1_25lookback_scan_determinismE0ELb0ES3_PKiN6hipcub16HIPCUB_304000_NS21ConstantInputIteratorIilEEPiiNSB_3SumENSB_8EqualityEiEE10hipError_tPvRmT2_T3_T4_T5_mT6_T7_P12ihipStream_tbENKUlT_T0_E_clISt17integral_constantIbLb1EESW_IbLb0EEEEDaSS_ST_EUlSS_E_NS1_11comp_targetILNS1_3genE8ELNS1_11target_archE1030ELNS1_3gpuE2ELNS1_3repE0EEENS1_30default_config_static_selectorELNS0_4arch9wavefront6targetE1EEEvT1_
	.globl	_ZN7rocprim17ROCPRIM_400000_NS6detail17trampoline_kernelINS0_14default_configENS1_27scan_by_key_config_selectorIiiEEZZNS1_16scan_by_key_implILNS1_25lookback_scan_determinismE0ELb0ES3_PKiN6hipcub16HIPCUB_304000_NS21ConstantInputIteratorIilEEPiiNSB_3SumENSB_8EqualityEiEE10hipError_tPvRmT2_T3_T4_T5_mT6_T7_P12ihipStream_tbENKUlT_T0_E_clISt17integral_constantIbLb1EESW_IbLb0EEEEDaSS_ST_EUlSS_E_NS1_11comp_targetILNS1_3genE8ELNS1_11target_archE1030ELNS1_3gpuE2ELNS1_3repE0EEENS1_30default_config_static_selectorELNS0_4arch9wavefront6targetE1EEEvT1_
	.p2align	8
	.type	_ZN7rocprim17ROCPRIM_400000_NS6detail17trampoline_kernelINS0_14default_configENS1_27scan_by_key_config_selectorIiiEEZZNS1_16scan_by_key_implILNS1_25lookback_scan_determinismE0ELb0ES3_PKiN6hipcub16HIPCUB_304000_NS21ConstantInputIteratorIilEEPiiNSB_3SumENSB_8EqualityEiEE10hipError_tPvRmT2_T3_T4_T5_mT6_T7_P12ihipStream_tbENKUlT_T0_E_clISt17integral_constantIbLb1EESW_IbLb0EEEEDaSS_ST_EUlSS_E_NS1_11comp_targetILNS1_3genE8ELNS1_11target_archE1030ELNS1_3gpuE2ELNS1_3repE0EEENS1_30default_config_static_selectorELNS0_4arch9wavefront6targetE1EEEvT1_,@function
_ZN7rocprim17ROCPRIM_400000_NS6detail17trampoline_kernelINS0_14default_configENS1_27scan_by_key_config_selectorIiiEEZZNS1_16scan_by_key_implILNS1_25lookback_scan_determinismE0ELb0ES3_PKiN6hipcub16HIPCUB_304000_NS21ConstantInputIteratorIilEEPiiNSB_3SumENSB_8EqualityEiEE10hipError_tPvRmT2_T3_T4_T5_mT6_T7_P12ihipStream_tbENKUlT_T0_E_clISt17integral_constantIbLb1EESW_IbLb0EEEEDaSS_ST_EUlSS_E_NS1_11comp_targetILNS1_3genE8ELNS1_11target_archE1030ELNS1_3gpuE2ELNS1_3repE0EEENS1_30default_config_static_selectorELNS0_4arch9wavefront6targetE1EEEvT1_: ; @_ZN7rocprim17ROCPRIM_400000_NS6detail17trampoline_kernelINS0_14default_configENS1_27scan_by_key_config_selectorIiiEEZZNS1_16scan_by_key_implILNS1_25lookback_scan_determinismE0ELb0ES3_PKiN6hipcub16HIPCUB_304000_NS21ConstantInputIteratorIilEEPiiNSB_3SumENSB_8EqualityEiEE10hipError_tPvRmT2_T3_T4_T5_mT6_T7_P12ihipStream_tbENKUlT_T0_E_clISt17integral_constantIbLb1EESW_IbLb0EEEEDaSS_ST_EUlSS_E_NS1_11comp_targetILNS1_3genE8ELNS1_11target_archE1030ELNS1_3gpuE2ELNS1_3repE0EEENS1_30default_config_static_selectorELNS0_4arch9wavefront6targetE1EEEvT1_
; %bb.0:
	.section	.rodata,"a",@progbits
	.p2align	6, 0x0
	.amdhsa_kernel _ZN7rocprim17ROCPRIM_400000_NS6detail17trampoline_kernelINS0_14default_configENS1_27scan_by_key_config_selectorIiiEEZZNS1_16scan_by_key_implILNS1_25lookback_scan_determinismE0ELb0ES3_PKiN6hipcub16HIPCUB_304000_NS21ConstantInputIteratorIilEEPiiNSB_3SumENSB_8EqualityEiEE10hipError_tPvRmT2_T3_T4_T5_mT6_T7_P12ihipStream_tbENKUlT_T0_E_clISt17integral_constantIbLb1EESW_IbLb0EEEEDaSS_ST_EUlSS_E_NS1_11comp_targetILNS1_3genE8ELNS1_11target_archE1030ELNS1_3gpuE2ELNS1_3repE0EEENS1_30default_config_static_selectorELNS0_4arch9wavefront6targetE1EEEvT1_
		.amdhsa_group_segment_fixed_size 0
		.amdhsa_private_segment_fixed_size 0
		.amdhsa_kernarg_size 120
		.amdhsa_user_sgpr_count 2
		.amdhsa_user_sgpr_dispatch_ptr 0
		.amdhsa_user_sgpr_queue_ptr 0
		.amdhsa_user_sgpr_kernarg_segment_ptr 1
		.amdhsa_user_sgpr_dispatch_id 0
		.amdhsa_user_sgpr_kernarg_preload_length 0
		.amdhsa_user_sgpr_kernarg_preload_offset 0
		.amdhsa_user_sgpr_private_segment_size 0
		.amdhsa_uses_dynamic_stack 0
		.amdhsa_enable_private_segment 0
		.amdhsa_system_sgpr_workgroup_id_x 1
		.amdhsa_system_sgpr_workgroup_id_y 0
		.amdhsa_system_sgpr_workgroup_id_z 0
		.amdhsa_system_sgpr_workgroup_info 0
		.amdhsa_system_vgpr_workitem_id 0
		.amdhsa_next_free_vgpr 1
		.amdhsa_next_free_sgpr 0
		.amdhsa_accum_offset 4
		.amdhsa_reserve_vcc 0
		.amdhsa_float_round_mode_32 0
		.amdhsa_float_round_mode_16_64 0
		.amdhsa_float_denorm_mode_32 3
		.amdhsa_float_denorm_mode_16_64 3
		.amdhsa_dx10_clamp 1
		.amdhsa_ieee_mode 1
		.amdhsa_fp16_overflow 0
		.amdhsa_tg_split 0
		.amdhsa_exception_fp_ieee_invalid_op 0
		.amdhsa_exception_fp_denorm_src 0
		.amdhsa_exception_fp_ieee_div_zero 0
		.amdhsa_exception_fp_ieee_overflow 0
		.amdhsa_exception_fp_ieee_underflow 0
		.amdhsa_exception_fp_ieee_inexact 0
		.amdhsa_exception_int_div_zero 0
	.end_amdhsa_kernel
	.section	.text._ZN7rocprim17ROCPRIM_400000_NS6detail17trampoline_kernelINS0_14default_configENS1_27scan_by_key_config_selectorIiiEEZZNS1_16scan_by_key_implILNS1_25lookback_scan_determinismE0ELb0ES3_PKiN6hipcub16HIPCUB_304000_NS21ConstantInputIteratorIilEEPiiNSB_3SumENSB_8EqualityEiEE10hipError_tPvRmT2_T3_T4_T5_mT6_T7_P12ihipStream_tbENKUlT_T0_E_clISt17integral_constantIbLb1EESW_IbLb0EEEEDaSS_ST_EUlSS_E_NS1_11comp_targetILNS1_3genE8ELNS1_11target_archE1030ELNS1_3gpuE2ELNS1_3repE0EEENS1_30default_config_static_selectorELNS0_4arch9wavefront6targetE1EEEvT1_,"axG",@progbits,_ZN7rocprim17ROCPRIM_400000_NS6detail17trampoline_kernelINS0_14default_configENS1_27scan_by_key_config_selectorIiiEEZZNS1_16scan_by_key_implILNS1_25lookback_scan_determinismE0ELb0ES3_PKiN6hipcub16HIPCUB_304000_NS21ConstantInputIteratorIilEEPiiNSB_3SumENSB_8EqualityEiEE10hipError_tPvRmT2_T3_T4_T5_mT6_T7_P12ihipStream_tbENKUlT_T0_E_clISt17integral_constantIbLb1EESW_IbLb0EEEEDaSS_ST_EUlSS_E_NS1_11comp_targetILNS1_3genE8ELNS1_11target_archE1030ELNS1_3gpuE2ELNS1_3repE0EEENS1_30default_config_static_selectorELNS0_4arch9wavefront6targetE1EEEvT1_,comdat
.Lfunc_end40:
	.size	_ZN7rocprim17ROCPRIM_400000_NS6detail17trampoline_kernelINS0_14default_configENS1_27scan_by_key_config_selectorIiiEEZZNS1_16scan_by_key_implILNS1_25lookback_scan_determinismE0ELb0ES3_PKiN6hipcub16HIPCUB_304000_NS21ConstantInputIteratorIilEEPiiNSB_3SumENSB_8EqualityEiEE10hipError_tPvRmT2_T3_T4_T5_mT6_T7_P12ihipStream_tbENKUlT_T0_E_clISt17integral_constantIbLb1EESW_IbLb0EEEEDaSS_ST_EUlSS_E_NS1_11comp_targetILNS1_3genE8ELNS1_11target_archE1030ELNS1_3gpuE2ELNS1_3repE0EEENS1_30default_config_static_selectorELNS0_4arch9wavefront6targetE1EEEvT1_, .Lfunc_end40-_ZN7rocprim17ROCPRIM_400000_NS6detail17trampoline_kernelINS0_14default_configENS1_27scan_by_key_config_selectorIiiEEZZNS1_16scan_by_key_implILNS1_25lookback_scan_determinismE0ELb0ES3_PKiN6hipcub16HIPCUB_304000_NS21ConstantInputIteratorIilEEPiiNSB_3SumENSB_8EqualityEiEE10hipError_tPvRmT2_T3_T4_T5_mT6_T7_P12ihipStream_tbENKUlT_T0_E_clISt17integral_constantIbLb1EESW_IbLb0EEEEDaSS_ST_EUlSS_E_NS1_11comp_targetILNS1_3genE8ELNS1_11target_archE1030ELNS1_3gpuE2ELNS1_3repE0EEENS1_30default_config_static_selectorELNS0_4arch9wavefront6targetE1EEEvT1_
                                        ; -- End function
	.section	.AMDGPU.csdata,"",@progbits
; Kernel info:
; codeLenInByte = 0
; NumSgprs: 6
; NumVgprs: 0
; NumAgprs: 0
; TotalNumVgprs: 0
; ScratchSize: 0
; MemoryBound: 0
; FloatMode: 240
; IeeeMode: 1
; LDSByteSize: 0 bytes/workgroup (compile time only)
; SGPRBlocks: 0
; VGPRBlocks: 0
; NumSGPRsForWavesPerEU: 6
; NumVGPRsForWavesPerEU: 1
; AccumOffset: 4
; Occupancy: 8
; WaveLimiterHint : 0
; COMPUTE_PGM_RSRC2:SCRATCH_EN: 0
; COMPUTE_PGM_RSRC2:USER_SGPR: 2
; COMPUTE_PGM_RSRC2:TRAP_HANDLER: 0
; COMPUTE_PGM_RSRC2:TGID_X_EN: 1
; COMPUTE_PGM_RSRC2:TGID_Y_EN: 0
; COMPUTE_PGM_RSRC2:TGID_Z_EN: 0
; COMPUTE_PGM_RSRC2:TIDIG_COMP_CNT: 0
; COMPUTE_PGM_RSRC3_GFX90A:ACCUM_OFFSET: 0
; COMPUTE_PGM_RSRC3_GFX90A:TG_SPLIT: 0
	.section	.text._ZN7rocprim17ROCPRIM_400000_NS6detail30init_device_scan_by_key_kernelINS1_19lookback_scan_stateINS0_5tupleIJibEEELb0ELb1EEEPKijNS1_16block_id_wrapperIjLb1EEEEEvT_jjPNSB_10value_typeET0_PNSt15iterator_traitsISE_E10value_typeEmT1_T2_,"axG",@progbits,_ZN7rocprim17ROCPRIM_400000_NS6detail30init_device_scan_by_key_kernelINS1_19lookback_scan_stateINS0_5tupleIJibEEELb0ELb1EEEPKijNS1_16block_id_wrapperIjLb1EEEEEvT_jjPNSB_10value_typeET0_PNSt15iterator_traitsISE_E10value_typeEmT1_T2_,comdat
	.protected	_ZN7rocprim17ROCPRIM_400000_NS6detail30init_device_scan_by_key_kernelINS1_19lookback_scan_stateINS0_5tupleIJibEEELb0ELb1EEEPKijNS1_16block_id_wrapperIjLb1EEEEEvT_jjPNSB_10value_typeET0_PNSt15iterator_traitsISE_E10value_typeEmT1_T2_ ; -- Begin function _ZN7rocprim17ROCPRIM_400000_NS6detail30init_device_scan_by_key_kernelINS1_19lookback_scan_stateINS0_5tupleIJibEEELb0ELb1EEEPKijNS1_16block_id_wrapperIjLb1EEEEEvT_jjPNSB_10value_typeET0_PNSt15iterator_traitsISE_E10value_typeEmT1_T2_
	.globl	_ZN7rocprim17ROCPRIM_400000_NS6detail30init_device_scan_by_key_kernelINS1_19lookback_scan_stateINS0_5tupleIJibEEELb0ELb1EEEPKijNS1_16block_id_wrapperIjLb1EEEEEvT_jjPNSB_10value_typeET0_PNSt15iterator_traitsISE_E10value_typeEmT1_T2_
	.p2align	8
	.type	_ZN7rocprim17ROCPRIM_400000_NS6detail30init_device_scan_by_key_kernelINS1_19lookback_scan_stateINS0_5tupleIJibEEELb0ELb1EEEPKijNS1_16block_id_wrapperIjLb1EEEEEvT_jjPNSB_10value_typeET0_PNSt15iterator_traitsISE_E10value_typeEmT1_T2_,@function
_ZN7rocprim17ROCPRIM_400000_NS6detail30init_device_scan_by_key_kernelINS1_19lookback_scan_stateINS0_5tupleIJibEEELb0ELb1EEEPKijNS1_16block_id_wrapperIjLb1EEEEEvT_jjPNSB_10value_typeET0_PNSt15iterator_traitsISE_E10value_typeEmT1_T2_: ; @_ZN7rocprim17ROCPRIM_400000_NS6detail30init_device_scan_by_key_kernelINS1_19lookback_scan_stateINS0_5tupleIJibEEELb0ELb1EEEPKijNS1_16block_id_wrapperIjLb1EEEEEvT_jjPNSB_10value_typeET0_PNSt15iterator_traitsISE_E10value_typeEmT1_T2_
; %bb.0:
	s_load_dword s3, s[0:1], 0x4c
	s_load_dwordx8 s[4:11], s[0:1], 0x0
	s_load_dword s18, s[0:1], 0x40
	s_waitcnt lgkmcnt(0)
	s_and_b32 s19, s3, 0xffff
	s_mul_i32 s2, s2, s19
	s_cmp_eq_u64 s[8:9], 0
	v_add_u32_e32 v4, s2, v0
	s_cbranch_scc1 .LBB41_8
; %bb.1:
	s_cmp_lt_u32 s7, s6
	s_cselect_b32 s2, s7, 0
	s_mov_b32 s13, 0
	v_cmp_eq_u32_e32 vcc, s2, v4
	s_and_saveexec_b64 s[2:3], vcc
	s_cbranch_execz .LBB41_7
; %bb.2:
	s_add_i32 s12, s7, 64
	s_lshl_b64 s[12:13], s[12:13], 4
	s_add_u32 s16, s4, s12
	s_addc_u32 s17, s5, s13
	v_mov_b64_e32 v[0:1], s[16:17]
	;;#ASMSTART
	global_load_dwordx4 v[0:3], v[0:1] off sc1	
s_waitcnt vmcnt(0)
	;;#ASMEND
	v_mov_b32_e32 v7, 0
	v_and_b32_e32 v6, 0xff, v2
	s_mov_b64 s[14:15], 0
	v_cmp_eq_u64_e32 vcc, 0, v[6:7]
	s_and_saveexec_b64 s[12:13], vcc
	s_cbranch_execz .LBB41_6
; %bb.3:
	v_mov_b64_e32 v[8:9], s[16:17]
.LBB41_4:                               ; =>This Inner Loop Header: Depth=1
	;;#ASMSTART
	global_load_dwordx4 v[0:3], v[8:9] off sc1	
s_waitcnt vmcnt(0)
	;;#ASMEND
	s_nop 0
	v_and_b32_e32 v6, 0xff, v2
	v_cmp_ne_u64_e32 vcc, 0, v[6:7]
	s_or_b64 s[14:15], vcc, s[14:15]
	s_andn2_b64 exec, exec, s[14:15]
	s_cbranch_execnz .LBB41_4
; %bb.5:
	s_or_b64 exec, exec, s[14:15]
.LBB41_6:
	s_or_b64 exec, exec, s[12:13]
	v_mov_b32_e32 v2, 0
	global_store_dword v2, v0, s[8:9]
	global_store_byte v2, v1, s[8:9] offset:4
.LBB41_7:
	s_or_b64 exec, exec, s[2:3]
.LBB41_8:
	v_cmp_eq_u32_e32 vcc, 0, v4
	s_and_saveexec_b64 s[2:3], vcc
	s_cbranch_execz .LBB41_10
; %bb.9:
	s_load_dwordx2 s[8:9], s[0:1], 0x38
	v_mov_b32_e32 v0, 0
	s_waitcnt lgkmcnt(0)
	global_store_dword v0, v0, s[8:9]
.LBB41_10:
	s_or_b64 exec, exec, s[2:3]
	v_cmp_gt_u32_e32 vcc, s6, v4
	s_and_saveexec_b64 s[2:3], vcc
	s_cbranch_execz .LBB41_12
; %bb.11:
	v_add_u32_e32 v0, 64, v4
	v_mov_b32_e32 v1, 0
	v_lshl_add_u64 v[6:7], v[0:1], 4, s[4:5]
	v_mov_b32_e32 v0, v1
	v_mov_b32_e32 v2, v1
	;; [unrolled: 1-line block ×3, first 2 shown]
	global_store_dwordx4 v[6:7], v[0:3], off
.LBB41_12:
	s_or_b64 exec, exec, s[2:3]
	v_cmp_gt_u32_e32 vcc, 64, v4
	v_mov_b32_e32 v5, 0
	s_and_saveexec_b64 s[2:3], vcc
	s_cbranch_execz .LBB41_14
; %bb.13:
	v_lshl_add_u64 v[6:7], v[4:5], 4, s[4:5]
	v_mov_b32_e32 v2, 0xff
	v_mov_b32_e32 v0, v5
	;; [unrolled: 1-line block ×4, first 2 shown]
	global_store_dwordx4 v[6:7], v[0:3], off
.LBB41_14:
	s_or_b64 exec, exec, s[2:3]
	s_load_dwordx2 s[2:3], s[0:1], 0x28
	s_waitcnt lgkmcnt(0)
	v_cmp_gt_u64_e32 vcc, s[2:3], v[4:5]
	s_and_saveexec_b64 s[4:5], vcc
	s_cbranch_execz .LBB41_17
; %bb.15:
	s_load_dword s12, s[0:1], 0x30
	s_load_dwordx2 s[6:7], s[0:1], 0x20
	s_mov_b32 s5, 0
	s_mov_b32 s1, s5
	s_mul_i32 s0, s18, s19
	s_waitcnt lgkmcnt(0)
	s_add_i32 s4, s12, -1
	s_lshl_b64 s[4:5], s[4:5], 2
	s_add_u32 s4, s10, s4
	v_mad_u64_u32 v[0:1], s[8:9], s12, v4, 0
	s_addc_u32 s5, s11, s5
	v_lshl_add_u64 v[0:1], v[0:1], 2, s[4:5]
	s_mul_hi_u32 s5, s12, s0
	s_mul_i32 s4, s12, s0
	s_lshl_b64 s[4:5], s[4:5], 2
	v_lshl_add_u64 v[2:3], v[4:5], 2, s[6:7]
	s_lshl_b64 s[6:7], s[0:1], 2
	s_mov_b64 s[8:9], 0
.LBB41_16:                              ; =>This Inner Loop Header: Depth=1
	global_load_dword v6, v[0:1], off
	v_lshl_add_u64 v[4:5], v[4:5], 0, s[0:1]
	v_cmp_le_u64_e32 vcc, s[2:3], v[4:5]
	v_lshl_add_u64 v[0:1], v[0:1], 0, s[4:5]
	s_or_b64 s[8:9], vcc, s[8:9]
	s_waitcnt vmcnt(0)
	global_store_dword v[2:3], v6, off
	v_lshl_add_u64 v[2:3], v[2:3], 0, s[6:7]
	s_andn2_b64 exec, exec, s[8:9]
	s_cbranch_execnz .LBB41_16
.LBB41_17:
	s_endpgm
	.section	.rodata,"a",@progbits
	.p2align	6, 0x0
	.amdhsa_kernel _ZN7rocprim17ROCPRIM_400000_NS6detail30init_device_scan_by_key_kernelINS1_19lookback_scan_stateINS0_5tupleIJibEEELb0ELb1EEEPKijNS1_16block_id_wrapperIjLb1EEEEEvT_jjPNSB_10value_typeET0_PNSt15iterator_traitsISE_E10value_typeEmT1_T2_
		.amdhsa_group_segment_fixed_size 0
		.amdhsa_private_segment_fixed_size 0
		.amdhsa_kernarg_size 320
		.amdhsa_user_sgpr_count 2
		.amdhsa_user_sgpr_dispatch_ptr 0
		.amdhsa_user_sgpr_queue_ptr 0
		.amdhsa_user_sgpr_kernarg_segment_ptr 1
		.amdhsa_user_sgpr_dispatch_id 0
		.amdhsa_user_sgpr_kernarg_preload_length 0
		.amdhsa_user_sgpr_kernarg_preload_offset 0
		.amdhsa_user_sgpr_private_segment_size 0
		.amdhsa_uses_dynamic_stack 0
		.amdhsa_enable_private_segment 0
		.amdhsa_system_sgpr_workgroup_id_x 1
		.amdhsa_system_sgpr_workgroup_id_y 0
		.amdhsa_system_sgpr_workgroup_id_z 0
		.amdhsa_system_sgpr_workgroup_info 0
		.amdhsa_system_vgpr_workitem_id 0
		.amdhsa_next_free_vgpr 10
		.amdhsa_next_free_sgpr 20
		.amdhsa_accum_offset 12
		.amdhsa_reserve_vcc 1
		.amdhsa_float_round_mode_32 0
		.amdhsa_float_round_mode_16_64 0
		.amdhsa_float_denorm_mode_32 3
		.amdhsa_float_denorm_mode_16_64 3
		.amdhsa_dx10_clamp 1
		.amdhsa_ieee_mode 1
		.amdhsa_fp16_overflow 0
		.amdhsa_tg_split 0
		.amdhsa_exception_fp_ieee_invalid_op 0
		.amdhsa_exception_fp_denorm_src 0
		.amdhsa_exception_fp_ieee_div_zero 0
		.amdhsa_exception_fp_ieee_overflow 0
		.amdhsa_exception_fp_ieee_underflow 0
		.amdhsa_exception_fp_ieee_inexact 0
		.amdhsa_exception_int_div_zero 0
	.end_amdhsa_kernel
	.section	.text._ZN7rocprim17ROCPRIM_400000_NS6detail30init_device_scan_by_key_kernelINS1_19lookback_scan_stateINS0_5tupleIJibEEELb0ELb1EEEPKijNS1_16block_id_wrapperIjLb1EEEEEvT_jjPNSB_10value_typeET0_PNSt15iterator_traitsISE_E10value_typeEmT1_T2_,"axG",@progbits,_ZN7rocprim17ROCPRIM_400000_NS6detail30init_device_scan_by_key_kernelINS1_19lookback_scan_stateINS0_5tupleIJibEEELb0ELb1EEEPKijNS1_16block_id_wrapperIjLb1EEEEEvT_jjPNSB_10value_typeET0_PNSt15iterator_traitsISE_E10value_typeEmT1_T2_,comdat
.Lfunc_end41:
	.size	_ZN7rocprim17ROCPRIM_400000_NS6detail30init_device_scan_by_key_kernelINS1_19lookback_scan_stateINS0_5tupleIJibEEELb0ELb1EEEPKijNS1_16block_id_wrapperIjLb1EEEEEvT_jjPNSB_10value_typeET0_PNSt15iterator_traitsISE_E10value_typeEmT1_T2_, .Lfunc_end41-_ZN7rocprim17ROCPRIM_400000_NS6detail30init_device_scan_by_key_kernelINS1_19lookback_scan_stateINS0_5tupleIJibEEELb0ELb1EEEPKijNS1_16block_id_wrapperIjLb1EEEEEvT_jjPNSB_10value_typeET0_PNSt15iterator_traitsISE_E10value_typeEmT1_T2_
                                        ; -- End function
	.section	.AMDGPU.csdata,"",@progbits
; Kernel info:
; codeLenInByte = 548
; NumSgprs: 26
; NumVgprs: 10
; NumAgprs: 0
; TotalNumVgprs: 10
; ScratchSize: 0
; MemoryBound: 0
; FloatMode: 240
; IeeeMode: 1
; LDSByteSize: 0 bytes/workgroup (compile time only)
; SGPRBlocks: 3
; VGPRBlocks: 1
; NumSGPRsForWavesPerEU: 26
; NumVGPRsForWavesPerEU: 10
; AccumOffset: 12
; Occupancy: 8
; WaveLimiterHint : 0
; COMPUTE_PGM_RSRC2:SCRATCH_EN: 0
; COMPUTE_PGM_RSRC2:USER_SGPR: 2
; COMPUTE_PGM_RSRC2:TRAP_HANDLER: 0
; COMPUTE_PGM_RSRC2:TGID_X_EN: 1
; COMPUTE_PGM_RSRC2:TGID_Y_EN: 0
; COMPUTE_PGM_RSRC2:TGID_Z_EN: 0
; COMPUTE_PGM_RSRC2:TIDIG_COMP_CNT: 0
; COMPUTE_PGM_RSRC3_GFX90A:ACCUM_OFFSET: 2
; COMPUTE_PGM_RSRC3_GFX90A:TG_SPLIT: 0
	.section	.text._ZN7rocprim17ROCPRIM_400000_NS6detail30init_device_scan_by_key_kernelINS1_19lookback_scan_stateINS0_5tupleIJibEEELb0ELb1EEENS1_16block_id_wrapperIjLb1EEEEEvT_jjPNS9_10value_typeET0_,"axG",@progbits,_ZN7rocprim17ROCPRIM_400000_NS6detail30init_device_scan_by_key_kernelINS1_19lookback_scan_stateINS0_5tupleIJibEEELb0ELb1EEENS1_16block_id_wrapperIjLb1EEEEEvT_jjPNS9_10value_typeET0_,comdat
	.protected	_ZN7rocprim17ROCPRIM_400000_NS6detail30init_device_scan_by_key_kernelINS1_19lookback_scan_stateINS0_5tupleIJibEEELb0ELb1EEENS1_16block_id_wrapperIjLb1EEEEEvT_jjPNS9_10value_typeET0_ ; -- Begin function _ZN7rocprim17ROCPRIM_400000_NS6detail30init_device_scan_by_key_kernelINS1_19lookback_scan_stateINS0_5tupleIJibEEELb0ELb1EEENS1_16block_id_wrapperIjLb1EEEEEvT_jjPNS9_10value_typeET0_
	.globl	_ZN7rocprim17ROCPRIM_400000_NS6detail30init_device_scan_by_key_kernelINS1_19lookback_scan_stateINS0_5tupleIJibEEELb0ELb1EEENS1_16block_id_wrapperIjLb1EEEEEvT_jjPNS9_10value_typeET0_
	.p2align	8
	.type	_ZN7rocprim17ROCPRIM_400000_NS6detail30init_device_scan_by_key_kernelINS1_19lookback_scan_stateINS0_5tupleIJibEEELb0ELb1EEENS1_16block_id_wrapperIjLb1EEEEEvT_jjPNS9_10value_typeET0_,@function
_ZN7rocprim17ROCPRIM_400000_NS6detail30init_device_scan_by_key_kernelINS1_19lookback_scan_stateINS0_5tupleIJibEEELb0ELb1EEENS1_16block_id_wrapperIjLb1EEEEEvT_jjPNS9_10value_typeET0_: ; @_ZN7rocprim17ROCPRIM_400000_NS6detail30init_device_scan_by_key_kernelINS1_19lookback_scan_stateINS0_5tupleIJibEEELb0ELb1EEENS1_16block_id_wrapperIjLb1EEEEEvT_jjPNS9_10value_typeET0_
; %bb.0:
	s_load_dword s3, s[0:1], 0x2c
	s_load_dwordx8 s[4:11], s[0:1], 0x0
	s_waitcnt lgkmcnt(0)
	s_and_b32 s0, s3, 0xffff
	s_mul_i32 s2, s2, s0
	s_cmp_eq_u64 s[8:9], 0
	v_add_u32_e32 v0, s2, v0
	s_cbranch_scc1 .LBB42_8
; %bb.1:
	s_cmp_lt_u32 s7, s6
	s_cselect_b32 s0, s7, 0
	s_mov_b32 s3, 0
	v_cmp_eq_u32_e32 vcc, s0, v0
	s_and_saveexec_b64 s[0:1], vcc
	s_cbranch_execz .LBB42_7
; %bb.2:
	s_add_i32 s2, s7, 64
	s_lshl_b64 s[2:3], s[2:3], 4
	s_add_u32 s14, s4, s2
	s_addc_u32 s15, s5, s3
	v_mov_b64_e32 v[2:3], s[14:15]
	;;#ASMSTART
	global_load_dwordx4 v[2:5], v[2:3] off sc1	
s_waitcnt vmcnt(0)
	;;#ASMEND
	v_mov_b32_e32 v7, 0
	v_and_b32_e32 v6, 0xff, v4
	s_mov_b64 s[12:13], 0
	v_cmp_eq_u64_e32 vcc, 0, v[6:7]
	s_and_saveexec_b64 s[2:3], vcc
	s_cbranch_execz .LBB42_6
; %bb.3:
	v_mov_b64_e32 v[8:9], s[14:15]
.LBB42_4:                               ; =>This Inner Loop Header: Depth=1
	;;#ASMSTART
	global_load_dwordx4 v[2:5], v[8:9] off sc1	
s_waitcnt vmcnt(0)
	;;#ASMEND
	s_nop 0
	v_and_b32_e32 v6, 0xff, v4
	v_cmp_ne_u64_e32 vcc, 0, v[6:7]
	s_or_b64 s[12:13], vcc, s[12:13]
	s_andn2_b64 exec, exec, s[12:13]
	s_cbranch_execnz .LBB42_4
; %bb.5:
	s_or_b64 exec, exec, s[12:13]
.LBB42_6:
	s_or_b64 exec, exec, s[2:3]
	v_mov_b32_e32 v1, 0
	global_store_dword v1, v2, s[8:9]
	global_store_byte v1, v3, s[8:9] offset:4
.LBB42_7:
	s_or_b64 exec, exec, s[0:1]
.LBB42_8:
	v_cmp_eq_u32_e32 vcc, 0, v0
	s_and_saveexec_b64 s[0:1], vcc
	s_cbranch_execnz .LBB42_12
; %bb.9:
	s_or_b64 exec, exec, s[0:1]
	v_cmp_gt_u32_e32 vcc, s6, v0
	s_and_saveexec_b64 s[0:1], vcc
	s_cbranch_execnz .LBB42_13
.LBB42_10:
	s_or_b64 exec, exec, s[0:1]
	v_cmp_gt_u32_e32 vcc, 64, v0
	s_and_saveexec_b64 s[0:1], vcc
	s_cbranch_execnz .LBB42_14
.LBB42_11:
	s_endpgm
.LBB42_12:
	v_mov_b32_e32 v1, 0
	global_store_dword v1, v1, s[10:11]
	s_or_b64 exec, exec, s[0:1]
	v_cmp_gt_u32_e32 vcc, s6, v0
	s_and_saveexec_b64 s[0:1], vcc
	s_cbranch_execz .LBB42_10
.LBB42_13:
	v_add_u32_e32 v2, 64, v0
	v_mov_b32_e32 v3, 0
	v_lshl_add_u64 v[6:7], v[2:3], 4, s[4:5]
	v_mov_b32_e32 v2, v3
	v_mov_b32_e32 v4, v3
	;; [unrolled: 1-line block ×3, first 2 shown]
	global_store_dwordx4 v[6:7], v[2:5], off
	s_or_b64 exec, exec, s[0:1]
	v_cmp_gt_u32_e32 vcc, 64, v0
	s_and_saveexec_b64 s[0:1], vcc
	s_cbranch_execz .LBB42_11
.LBB42_14:
	v_mov_b32_e32 v1, 0
	v_lshl_add_u64 v[4:5], v[0:1], 4, s[4:5]
	v_mov_b32_e32 v2, 0xff
	v_mov_b32_e32 v0, v1
	;; [unrolled: 1-line block ×3, first 2 shown]
	global_store_dwordx4 v[4:5], v[0:3], off
	s_endpgm
	.section	.rodata,"a",@progbits
	.p2align	6, 0x0
	.amdhsa_kernel _ZN7rocprim17ROCPRIM_400000_NS6detail30init_device_scan_by_key_kernelINS1_19lookback_scan_stateINS0_5tupleIJibEEELb0ELb1EEENS1_16block_id_wrapperIjLb1EEEEEvT_jjPNS9_10value_typeET0_
		.amdhsa_group_segment_fixed_size 0
		.amdhsa_private_segment_fixed_size 0
		.amdhsa_kernarg_size 288
		.amdhsa_user_sgpr_count 2
		.amdhsa_user_sgpr_dispatch_ptr 0
		.amdhsa_user_sgpr_queue_ptr 0
		.amdhsa_user_sgpr_kernarg_segment_ptr 1
		.amdhsa_user_sgpr_dispatch_id 0
		.amdhsa_user_sgpr_kernarg_preload_length 0
		.amdhsa_user_sgpr_kernarg_preload_offset 0
		.amdhsa_user_sgpr_private_segment_size 0
		.amdhsa_uses_dynamic_stack 0
		.amdhsa_enable_private_segment 0
		.amdhsa_system_sgpr_workgroup_id_x 1
		.amdhsa_system_sgpr_workgroup_id_y 0
		.amdhsa_system_sgpr_workgroup_id_z 0
		.amdhsa_system_sgpr_workgroup_info 0
		.amdhsa_system_vgpr_workitem_id 0
		.amdhsa_next_free_vgpr 10
		.amdhsa_next_free_sgpr 16
		.amdhsa_accum_offset 12
		.amdhsa_reserve_vcc 1
		.amdhsa_float_round_mode_32 0
		.amdhsa_float_round_mode_16_64 0
		.amdhsa_float_denorm_mode_32 3
		.amdhsa_float_denorm_mode_16_64 3
		.amdhsa_dx10_clamp 1
		.amdhsa_ieee_mode 1
		.amdhsa_fp16_overflow 0
		.amdhsa_tg_split 0
		.amdhsa_exception_fp_ieee_invalid_op 0
		.amdhsa_exception_fp_denorm_src 0
		.amdhsa_exception_fp_ieee_div_zero 0
		.amdhsa_exception_fp_ieee_overflow 0
		.amdhsa_exception_fp_ieee_underflow 0
		.amdhsa_exception_fp_ieee_inexact 0
		.amdhsa_exception_int_div_zero 0
	.end_amdhsa_kernel
	.section	.text._ZN7rocprim17ROCPRIM_400000_NS6detail30init_device_scan_by_key_kernelINS1_19lookback_scan_stateINS0_5tupleIJibEEELb0ELb1EEENS1_16block_id_wrapperIjLb1EEEEEvT_jjPNS9_10value_typeET0_,"axG",@progbits,_ZN7rocprim17ROCPRIM_400000_NS6detail30init_device_scan_by_key_kernelINS1_19lookback_scan_stateINS0_5tupleIJibEEELb0ELb1EEENS1_16block_id_wrapperIjLb1EEEEEvT_jjPNS9_10value_typeET0_,comdat
.Lfunc_end42:
	.size	_ZN7rocprim17ROCPRIM_400000_NS6detail30init_device_scan_by_key_kernelINS1_19lookback_scan_stateINS0_5tupleIJibEEELb0ELb1EEENS1_16block_id_wrapperIjLb1EEEEEvT_jjPNS9_10value_typeET0_, .Lfunc_end42-_ZN7rocprim17ROCPRIM_400000_NS6detail30init_device_scan_by_key_kernelINS1_19lookback_scan_stateINS0_5tupleIJibEEELb0ELb1EEENS1_16block_id_wrapperIjLb1EEEEEvT_jjPNS9_10value_typeET0_
                                        ; -- End function
	.section	.AMDGPU.csdata,"",@progbits
; Kernel info:
; codeLenInByte = 380
; NumSgprs: 22
; NumVgprs: 10
; NumAgprs: 0
; TotalNumVgprs: 10
; ScratchSize: 0
; MemoryBound: 0
; FloatMode: 240
; IeeeMode: 1
; LDSByteSize: 0 bytes/workgroup (compile time only)
; SGPRBlocks: 2
; VGPRBlocks: 1
; NumSGPRsForWavesPerEU: 22
; NumVGPRsForWavesPerEU: 10
; AccumOffset: 12
; Occupancy: 8
; WaveLimiterHint : 0
; COMPUTE_PGM_RSRC2:SCRATCH_EN: 0
; COMPUTE_PGM_RSRC2:USER_SGPR: 2
; COMPUTE_PGM_RSRC2:TRAP_HANDLER: 0
; COMPUTE_PGM_RSRC2:TGID_X_EN: 1
; COMPUTE_PGM_RSRC2:TGID_Y_EN: 0
; COMPUTE_PGM_RSRC2:TGID_Z_EN: 0
; COMPUTE_PGM_RSRC2:TIDIG_COMP_CNT: 0
; COMPUTE_PGM_RSRC3_GFX90A:ACCUM_OFFSET: 2
; COMPUTE_PGM_RSRC3_GFX90A:TG_SPLIT: 0
	.section	.text._ZN7rocprim17ROCPRIM_400000_NS6detail17trampoline_kernelINS0_14default_configENS1_27scan_by_key_config_selectorIiiEEZZNS1_16scan_by_key_implILNS1_25lookback_scan_determinismE0ELb0ES3_PKiN6hipcub16HIPCUB_304000_NS21ConstantInputIteratorIilEEPiiNSB_3SumENSB_8EqualityEiEE10hipError_tPvRmT2_T3_T4_T5_mT6_T7_P12ihipStream_tbENKUlT_T0_E_clISt17integral_constantIbLb0EESW_IbLb1EEEEDaSS_ST_EUlSS_E_NS1_11comp_targetILNS1_3genE0ELNS1_11target_archE4294967295ELNS1_3gpuE0ELNS1_3repE0EEENS1_30default_config_static_selectorELNS0_4arch9wavefront6targetE1EEEvT1_,"axG",@progbits,_ZN7rocprim17ROCPRIM_400000_NS6detail17trampoline_kernelINS0_14default_configENS1_27scan_by_key_config_selectorIiiEEZZNS1_16scan_by_key_implILNS1_25lookback_scan_determinismE0ELb0ES3_PKiN6hipcub16HIPCUB_304000_NS21ConstantInputIteratorIilEEPiiNSB_3SumENSB_8EqualityEiEE10hipError_tPvRmT2_T3_T4_T5_mT6_T7_P12ihipStream_tbENKUlT_T0_E_clISt17integral_constantIbLb0EESW_IbLb1EEEEDaSS_ST_EUlSS_E_NS1_11comp_targetILNS1_3genE0ELNS1_11target_archE4294967295ELNS1_3gpuE0ELNS1_3repE0EEENS1_30default_config_static_selectorELNS0_4arch9wavefront6targetE1EEEvT1_,comdat
	.protected	_ZN7rocprim17ROCPRIM_400000_NS6detail17trampoline_kernelINS0_14default_configENS1_27scan_by_key_config_selectorIiiEEZZNS1_16scan_by_key_implILNS1_25lookback_scan_determinismE0ELb0ES3_PKiN6hipcub16HIPCUB_304000_NS21ConstantInputIteratorIilEEPiiNSB_3SumENSB_8EqualityEiEE10hipError_tPvRmT2_T3_T4_T5_mT6_T7_P12ihipStream_tbENKUlT_T0_E_clISt17integral_constantIbLb0EESW_IbLb1EEEEDaSS_ST_EUlSS_E_NS1_11comp_targetILNS1_3genE0ELNS1_11target_archE4294967295ELNS1_3gpuE0ELNS1_3repE0EEENS1_30default_config_static_selectorELNS0_4arch9wavefront6targetE1EEEvT1_ ; -- Begin function _ZN7rocprim17ROCPRIM_400000_NS6detail17trampoline_kernelINS0_14default_configENS1_27scan_by_key_config_selectorIiiEEZZNS1_16scan_by_key_implILNS1_25lookback_scan_determinismE0ELb0ES3_PKiN6hipcub16HIPCUB_304000_NS21ConstantInputIteratorIilEEPiiNSB_3SumENSB_8EqualityEiEE10hipError_tPvRmT2_T3_T4_T5_mT6_T7_P12ihipStream_tbENKUlT_T0_E_clISt17integral_constantIbLb0EESW_IbLb1EEEEDaSS_ST_EUlSS_E_NS1_11comp_targetILNS1_3genE0ELNS1_11target_archE4294967295ELNS1_3gpuE0ELNS1_3repE0EEENS1_30default_config_static_selectorELNS0_4arch9wavefront6targetE1EEEvT1_
	.globl	_ZN7rocprim17ROCPRIM_400000_NS6detail17trampoline_kernelINS0_14default_configENS1_27scan_by_key_config_selectorIiiEEZZNS1_16scan_by_key_implILNS1_25lookback_scan_determinismE0ELb0ES3_PKiN6hipcub16HIPCUB_304000_NS21ConstantInputIteratorIilEEPiiNSB_3SumENSB_8EqualityEiEE10hipError_tPvRmT2_T3_T4_T5_mT6_T7_P12ihipStream_tbENKUlT_T0_E_clISt17integral_constantIbLb0EESW_IbLb1EEEEDaSS_ST_EUlSS_E_NS1_11comp_targetILNS1_3genE0ELNS1_11target_archE4294967295ELNS1_3gpuE0ELNS1_3repE0EEENS1_30default_config_static_selectorELNS0_4arch9wavefront6targetE1EEEvT1_
	.p2align	8
	.type	_ZN7rocprim17ROCPRIM_400000_NS6detail17trampoline_kernelINS0_14default_configENS1_27scan_by_key_config_selectorIiiEEZZNS1_16scan_by_key_implILNS1_25lookback_scan_determinismE0ELb0ES3_PKiN6hipcub16HIPCUB_304000_NS21ConstantInputIteratorIilEEPiiNSB_3SumENSB_8EqualityEiEE10hipError_tPvRmT2_T3_T4_T5_mT6_T7_P12ihipStream_tbENKUlT_T0_E_clISt17integral_constantIbLb0EESW_IbLb1EEEEDaSS_ST_EUlSS_E_NS1_11comp_targetILNS1_3genE0ELNS1_11target_archE4294967295ELNS1_3gpuE0ELNS1_3repE0EEENS1_30default_config_static_selectorELNS0_4arch9wavefront6targetE1EEEvT1_,@function
_ZN7rocprim17ROCPRIM_400000_NS6detail17trampoline_kernelINS0_14default_configENS1_27scan_by_key_config_selectorIiiEEZZNS1_16scan_by_key_implILNS1_25lookback_scan_determinismE0ELb0ES3_PKiN6hipcub16HIPCUB_304000_NS21ConstantInputIteratorIilEEPiiNSB_3SumENSB_8EqualityEiEE10hipError_tPvRmT2_T3_T4_T5_mT6_T7_P12ihipStream_tbENKUlT_T0_E_clISt17integral_constantIbLb0EESW_IbLb1EEEEDaSS_ST_EUlSS_E_NS1_11comp_targetILNS1_3genE0ELNS1_11target_archE4294967295ELNS1_3gpuE0ELNS1_3repE0EEENS1_30default_config_static_selectorELNS0_4arch9wavefront6targetE1EEEvT1_: ; @_ZN7rocprim17ROCPRIM_400000_NS6detail17trampoline_kernelINS0_14default_configENS1_27scan_by_key_config_selectorIiiEEZZNS1_16scan_by_key_implILNS1_25lookback_scan_determinismE0ELb0ES3_PKiN6hipcub16HIPCUB_304000_NS21ConstantInputIteratorIilEEPiiNSB_3SumENSB_8EqualityEiEE10hipError_tPvRmT2_T3_T4_T5_mT6_T7_P12ihipStream_tbENKUlT_T0_E_clISt17integral_constantIbLb0EESW_IbLb1EEEEDaSS_ST_EUlSS_E_NS1_11comp_targetILNS1_3genE0ELNS1_11target_archE4294967295ELNS1_3gpuE0ELNS1_3repE0EEENS1_30default_config_static_selectorELNS0_4arch9wavefront6targetE1EEEvT1_
; %bb.0:
	.section	.rodata,"a",@progbits
	.p2align	6, 0x0
	.amdhsa_kernel _ZN7rocprim17ROCPRIM_400000_NS6detail17trampoline_kernelINS0_14default_configENS1_27scan_by_key_config_selectorIiiEEZZNS1_16scan_by_key_implILNS1_25lookback_scan_determinismE0ELb0ES3_PKiN6hipcub16HIPCUB_304000_NS21ConstantInputIteratorIilEEPiiNSB_3SumENSB_8EqualityEiEE10hipError_tPvRmT2_T3_T4_T5_mT6_T7_P12ihipStream_tbENKUlT_T0_E_clISt17integral_constantIbLb0EESW_IbLb1EEEEDaSS_ST_EUlSS_E_NS1_11comp_targetILNS1_3genE0ELNS1_11target_archE4294967295ELNS1_3gpuE0ELNS1_3repE0EEENS1_30default_config_static_selectorELNS0_4arch9wavefront6targetE1EEEvT1_
		.amdhsa_group_segment_fixed_size 0
		.amdhsa_private_segment_fixed_size 0
		.amdhsa_kernarg_size 120
		.amdhsa_user_sgpr_count 2
		.amdhsa_user_sgpr_dispatch_ptr 0
		.amdhsa_user_sgpr_queue_ptr 0
		.amdhsa_user_sgpr_kernarg_segment_ptr 1
		.amdhsa_user_sgpr_dispatch_id 0
		.amdhsa_user_sgpr_kernarg_preload_length 0
		.amdhsa_user_sgpr_kernarg_preload_offset 0
		.amdhsa_user_sgpr_private_segment_size 0
		.amdhsa_uses_dynamic_stack 0
		.amdhsa_enable_private_segment 0
		.amdhsa_system_sgpr_workgroup_id_x 1
		.amdhsa_system_sgpr_workgroup_id_y 0
		.amdhsa_system_sgpr_workgroup_id_z 0
		.amdhsa_system_sgpr_workgroup_info 0
		.amdhsa_system_vgpr_workitem_id 0
		.amdhsa_next_free_vgpr 1
		.amdhsa_next_free_sgpr 0
		.amdhsa_accum_offset 4
		.amdhsa_reserve_vcc 0
		.amdhsa_float_round_mode_32 0
		.amdhsa_float_round_mode_16_64 0
		.amdhsa_float_denorm_mode_32 3
		.amdhsa_float_denorm_mode_16_64 3
		.amdhsa_dx10_clamp 1
		.amdhsa_ieee_mode 1
		.amdhsa_fp16_overflow 0
		.amdhsa_tg_split 0
		.amdhsa_exception_fp_ieee_invalid_op 0
		.amdhsa_exception_fp_denorm_src 0
		.amdhsa_exception_fp_ieee_div_zero 0
		.amdhsa_exception_fp_ieee_overflow 0
		.amdhsa_exception_fp_ieee_underflow 0
		.amdhsa_exception_fp_ieee_inexact 0
		.amdhsa_exception_int_div_zero 0
	.end_amdhsa_kernel
	.section	.text._ZN7rocprim17ROCPRIM_400000_NS6detail17trampoline_kernelINS0_14default_configENS1_27scan_by_key_config_selectorIiiEEZZNS1_16scan_by_key_implILNS1_25lookback_scan_determinismE0ELb0ES3_PKiN6hipcub16HIPCUB_304000_NS21ConstantInputIteratorIilEEPiiNSB_3SumENSB_8EqualityEiEE10hipError_tPvRmT2_T3_T4_T5_mT6_T7_P12ihipStream_tbENKUlT_T0_E_clISt17integral_constantIbLb0EESW_IbLb1EEEEDaSS_ST_EUlSS_E_NS1_11comp_targetILNS1_3genE0ELNS1_11target_archE4294967295ELNS1_3gpuE0ELNS1_3repE0EEENS1_30default_config_static_selectorELNS0_4arch9wavefront6targetE1EEEvT1_,"axG",@progbits,_ZN7rocprim17ROCPRIM_400000_NS6detail17trampoline_kernelINS0_14default_configENS1_27scan_by_key_config_selectorIiiEEZZNS1_16scan_by_key_implILNS1_25lookback_scan_determinismE0ELb0ES3_PKiN6hipcub16HIPCUB_304000_NS21ConstantInputIteratorIilEEPiiNSB_3SumENSB_8EqualityEiEE10hipError_tPvRmT2_T3_T4_T5_mT6_T7_P12ihipStream_tbENKUlT_T0_E_clISt17integral_constantIbLb0EESW_IbLb1EEEEDaSS_ST_EUlSS_E_NS1_11comp_targetILNS1_3genE0ELNS1_11target_archE4294967295ELNS1_3gpuE0ELNS1_3repE0EEENS1_30default_config_static_selectorELNS0_4arch9wavefront6targetE1EEEvT1_,comdat
.Lfunc_end43:
	.size	_ZN7rocprim17ROCPRIM_400000_NS6detail17trampoline_kernelINS0_14default_configENS1_27scan_by_key_config_selectorIiiEEZZNS1_16scan_by_key_implILNS1_25lookback_scan_determinismE0ELb0ES3_PKiN6hipcub16HIPCUB_304000_NS21ConstantInputIteratorIilEEPiiNSB_3SumENSB_8EqualityEiEE10hipError_tPvRmT2_T3_T4_T5_mT6_T7_P12ihipStream_tbENKUlT_T0_E_clISt17integral_constantIbLb0EESW_IbLb1EEEEDaSS_ST_EUlSS_E_NS1_11comp_targetILNS1_3genE0ELNS1_11target_archE4294967295ELNS1_3gpuE0ELNS1_3repE0EEENS1_30default_config_static_selectorELNS0_4arch9wavefront6targetE1EEEvT1_, .Lfunc_end43-_ZN7rocprim17ROCPRIM_400000_NS6detail17trampoline_kernelINS0_14default_configENS1_27scan_by_key_config_selectorIiiEEZZNS1_16scan_by_key_implILNS1_25lookback_scan_determinismE0ELb0ES3_PKiN6hipcub16HIPCUB_304000_NS21ConstantInputIteratorIilEEPiiNSB_3SumENSB_8EqualityEiEE10hipError_tPvRmT2_T3_T4_T5_mT6_T7_P12ihipStream_tbENKUlT_T0_E_clISt17integral_constantIbLb0EESW_IbLb1EEEEDaSS_ST_EUlSS_E_NS1_11comp_targetILNS1_3genE0ELNS1_11target_archE4294967295ELNS1_3gpuE0ELNS1_3repE0EEENS1_30default_config_static_selectorELNS0_4arch9wavefront6targetE1EEEvT1_
                                        ; -- End function
	.section	.AMDGPU.csdata,"",@progbits
; Kernel info:
; codeLenInByte = 0
; NumSgprs: 6
; NumVgprs: 0
; NumAgprs: 0
; TotalNumVgprs: 0
; ScratchSize: 0
; MemoryBound: 0
; FloatMode: 240
; IeeeMode: 1
; LDSByteSize: 0 bytes/workgroup (compile time only)
; SGPRBlocks: 0
; VGPRBlocks: 0
; NumSGPRsForWavesPerEU: 6
; NumVGPRsForWavesPerEU: 1
; AccumOffset: 4
; Occupancy: 8
; WaveLimiterHint : 0
; COMPUTE_PGM_RSRC2:SCRATCH_EN: 0
; COMPUTE_PGM_RSRC2:USER_SGPR: 2
; COMPUTE_PGM_RSRC2:TRAP_HANDLER: 0
; COMPUTE_PGM_RSRC2:TGID_X_EN: 1
; COMPUTE_PGM_RSRC2:TGID_Y_EN: 0
; COMPUTE_PGM_RSRC2:TGID_Z_EN: 0
; COMPUTE_PGM_RSRC2:TIDIG_COMP_CNT: 0
; COMPUTE_PGM_RSRC3_GFX90A:ACCUM_OFFSET: 0
; COMPUTE_PGM_RSRC3_GFX90A:TG_SPLIT: 0
	.section	.text._ZN7rocprim17ROCPRIM_400000_NS6detail17trampoline_kernelINS0_14default_configENS1_27scan_by_key_config_selectorIiiEEZZNS1_16scan_by_key_implILNS1_25lookback_scan_determinismE0ELb0ES3_PKiN6hipcub16HIPCUB_304000_NS21ConstantInputIteratorIilEEPiiNSB_3SumENSB_8EqualityEiEE10hipError_tPvRmT2_T3_T4_T5_mT6_T7_P12ihipStream_tbENKUlT_T0_E_clISt17integral_constantIbLb0EESW_IbLb1EEEEDaSS_ST_EUlSS_E_NS1_11comp_targetILNS1_3genE10ELNS1_11target_archE1201ELNS1_3gpuE5ELNS1_3repE0EEENS1_30default_config_static_selectorELNS0_4arch9wavefront6targetE1EEEvT1_,"axG",@progbits,_ZN7rocprim17ROCPRIM_400000_NS6detail17trampoline_kernelINS0_14default_configENS1_27scan_by_key_config_selectorIiiEEZZNS1_16scan_by_key_implILNS1_25lookback_scan_determinismE0ELb0ES3_PKiN6hipcub16HIPCUB_304000_NS21ConstantInputIteratorIilEEPiiNSB_3SumENSB_8EqualityEiEE10hipError_tPvRmT2_T3_T4_T5_mT6_T7_P12ihipStream_tbENKUlT_T0_E_clISt17integral_constantIbLb0EESW_IbLb1EEEEDaSS_ST_EUlSS_E_NS1_11comp_targetILNS1_3genE10ELNS1_11target_archE1201ELNS1_3gpuE5ELNS1_3repE0EEENS1_30default_config_static_selectorELNS0_4arch9wavefront6targetE1EEEvT1_,comdat
	.protected	_ZN7rocprim17ROCPRIM_400000_NS6detail17trampoline_kernelINS0_14default_configENS1_27scan_by_key_config_selectorIiiEEZZNS1_16scan_by_key_implILNS1_25lookback_scan_determinismE0ELb0ES3_PKiN6hipcub16HIPCUB_304000_NS21ConstantInputIteratorIilEEPiiNSB_3SumENSB_8EqualityEiEE10hipError_tPvRmT2_T3_T4_T5_mT6_T7_P12ihipStream_tbENKUlT_T0_E_clISt17integral_constantIbLb0EESW_IbLb1EEEEDaSS_ST_EUlSS_E_NS1_11comp_targetILNS1_3genE10ELNS1_11target_archE1201ELNS1_3gpuE5ELNS1_3repE0EEENS1_30default_config_static_selectorELNS0_4arch9wavefront6targetE1EEEvT1_ ; -- Begin function _ZN7rocprim17ROCPRIM_400000_NS6detail17trampoline_kernelINS0_14default_configENS1_27scan_by_key_config_selectorIiiEEZZNS1_16scan_by_key_implILNS1_25lookback_scan_determinismE0ELb0ES3_PKiN6hipcub16HIPCUB_304000_NS21ConstantInputIteratorIilEEPiiNSB_3SumENSB_8EqualityEiEE10hipError_tPvRmT2_T3_T4_T5_mT6_T7_P12ihipStream_tbENKUlT_T0_E_clISt17integral_constantIbLb0EESW_IbLb1EEEEDaSS_ST_EUlSS_E_NS1_11comp_targetILNS1_3genE10ELNS1_11target_archE1201ELNS1_3gpuE5ELNS1_3repE0EEENS1_30default_config_static_selectorELNS0_4arch9wavefront6targetE1EEEvT1_
	.globl	_ZN7rocprim17ROCPRIM_400000_NS6detail17trampoline_kernelINS0_14default_configENS1_27scan_by_key_config_selectorIiiEEZZNS1_16scan_by_key_implILNS1_25lookback_scan_determinismE0ELb0ES3_PKiN6hipcub16HIPCUB_304000_NS21ConstantInputIteratorIilEEPiiNSB_3SumENSB_8EqualityEiEE10hipError_tPvRmT2_T3_T4_T5_mT6_T7_P12ihipStream_tbENKUlT_T0_E_clISt17integral_constantIbLb0EESW_IbLb1EEEEDaSS_ST_EUlSS_E_NS1_11comp_targetILNS1_3genE10ELNS1_11target_archE1201ELNS1_3gpuE5ELNS1_3repE0EEENS1_30default_config_static_selectorELNS0_4arch9wavefront6targetE1EEEvT1_
	.p2align	8
	.type	_ZN7rocprim17ROCPRIM_400000_NS6detail17trampoline_kernelINS0_14default_configENS1_27scan_by_key_config_selectorIiiEEZZNS1_16scan_by_key_implILNS1_25lookback_scan_determinismE0ELb0ES3_PKiN6hipcub16HIPCUB_304000_NS21ConstantInputIteratorIilEEPiiNSB_3SumENSB_8EqualityEiEE10hipError_tPvRmT2_T3_T4_T5_mT6_T7_P12ihipStream_tbENKUlT_T0_E_clISt17integral_constantIbLb0EESW_IbLb1EEEEDaSS_ST_EUlSS_E_NS1_11comp_targetILNS1_3genE10ELNS1_11target_archE1201ELNS1_3gpuE5ELNS1_3repE0EEENS1_30default_config_static_selectorELNS0_4arch9wavefront6targetE1EEEvT1_,@function
_ZN7rocprim17ROCPRIM_400000_NS6detail17trampoline_kernelINS0_14default_configENS1_27scan_by_key_config_selectorIiiEEZZNS1_16scan_by_key_implILNS1_25lookback_scan_determinismE0ELb0ES3_PKiN6hipcub16HIPCUB_304000_NS21ConstantInputIteratorIilEEPiiNSB_3SumENSB_8EqualityEiEE10hipError_tPvRmT2_T3_T4_T5_mT6_T7_P12ihipStream_tbENKUlT_T0_E_clISt17integral_constantIbLb0EESW_IbLb1EEEEDaSS_ST_EUlSS_E_NS1_11comp_targetILNS1_3genE10ELNS1_11target_archE1201ELNS1_3gpuE5ELNS1_3repE0EEENS1_30default_config_static_selectorELNS0_4arch9wavefront6targetE1EEEvT1_: ; @_ZN7rocprim17ROCPRIM_400000_NS6detail17trampoline_kernelINS0_14default_configENS1_27scan_by_key_config_selectorIiiEEZZNS1_16scan_by_key_implILNS1_25lookback_scan_determinismE0ELb0ES3_PKiN6hipcub16HIPCUB_304000_NS21ConstantInputIteratorIilEEPiiNSB_3SumENSB_8EqualityEiEE10hipError_tPvRmT2_T3_T4_T5_mT6_T7_P12ihipStream_tbENKUlT_T0_E_clISt17integral_constantIbLb0EESW_IbLb1EEEEDaSS_ST_EUlSS_E_NS1_11comp_targetILNS1_3genE10ELNS1_11target_archE1201ELNS1_3gpuE5ELNS1_3repE0EEENS1_30default_config_static_selectorELNS0_4arch9wavefront6targetE1EEEvT1_
; %bb.0:
	.section	.rodata,"a",@progbits
	.p2align	6, 0x0
	.amdhsa_kernel _ZN7rocprim17ROCPRIM_400000_NS6detail17trampoline_kernelINS0_14default_configENS1_27scan_by_key_config_selectorIiiEEZZNS1_16scan_by_key_implILNS1_25lookback_scan_determinismE0ELb0ES3_PKiN6hipcub16HIPCUB_304000_NS21ConstantInputIteratorIilEEPiiNSB_3SumENSB_8EqualityEiEE10hipError_tPvRmT2_T3_T4_T5_mT6_T7_P12ihipStream_tbENKUlT_T0_E_clISt17integral_constantIbLb0EESW_IbLb1EEEEDaSS_ST_EUlSS_E_NS1_11comp_targetILNS1_3genE10ELNS1_11target_archE1201ELNS1_3gpuE5ELNS1_3repE0EEENS1_30default_config_static_selectorELNS0_4arch9wavefront6targetE1EEEvT1_
		.amdhsa_group_segment_fixed_size 0
		.amdhsa_private_segment_fixed_size 0
		.amdhsa_kernarg_size 120
		.amdhsa_user_sgpr_count 2
		.amdhsa_user_sgpr_dispatch_ptr 0
		.amdhsa_user_sgpr_queue_ptr 0
		.amdhsa_user_sgpr_kernarg_segment_ptr 1
		.amdhsa_user_sgpr_dispatch_id 0
		.amdhsa_user_sgpr_kernarg_preload_length 0
		.amdhsa_user_sgpr_kernarg_preload_offset 0
		.amdhsa_user_sgpr_private_segment_size 0
		.amdhsa_uses_dynamic_stack 0
		.amdhsa_enable_private_segment 0
		.amdhsa_system_sgpr_workgroup_id_x 1
		.amdhsa_system_sgpr_workgroup_id_y 0
		.amdhsa_system_sgpr_workgroup_id_z 0
		.amdhsa_system_sgpr_workgroup_info 0
		.amdhsa_system_vgpr_workitem_id 0
		.amdhsa_next_free_vgpr 1
		.amdhsa_next_free_sgpr 0
		.amdhsa_accum_offset 4
		.amdhsa_reserve_vcc 0
		.amdhsa_float_round_mode_32 0
		.amdhsa_float_round_mode_16_64 0
		.amdhsa_float_denorm_mode_32 3
		.amdhsa_float_denorm_mode_16_64 3
		.amdhsa_dx10_clamp 1
		.amdhsa_ieee_mode 1
		.amdhsa_fp16_overflow 0
		.amdhsa_tg_split 0
		.amdhsa_exception_fp_ieee_invalid_op 0
		.amdhsa_exception_fp_denorm_src 0
		.amdhsa_exception_fp_ieee_div_zero 0
		.amdhsa_exception_fp_ieee_overflow 0
		.amdhsa_exception_fp_ieee_underflow 0
		.amdhsa_exception_fp_ieee_inexact 0
		.amdhsa_exception_int_div_zero 0
	.end_amdhsa_kernel
	.section	.text._ZN7rocprim17ROCPRIM_400000_NS6detail17trampoline_kernelINS0_14default_configENS1_27scan_by_key_config_selectorIiiEEZZNS1_16scan_by_key_implILNS1_25lookback_scan_determinismE0ELb0ES3_PKiN6hipcub16HIPCUB_304000_NS21ConstantInputIteratorIilEEPiiNSB_3SumENSB_8EqualityEiEE10hipError_tPvRmT2_T3_T4_T5_mT6_T7_P12ihipStream_tbENKUlT_T0_E_clISt17integral_constantIbLb0EESW_IbLb1EEEEDaSS_ST_EUlSS_E_NS1_11comp_targetILNS1_3genE10ELNS1_11target_archE1201ELNS1_3gpuE5ELNS1_3repE0EEENS1_30default_config_static_selectorELNS0_4arch9wavefront6targetE1EEEvT1_,"axG",@progbits,_ZN7rocprim17ROCPRIM_400000_NS6detail17trampoline_kernelINS0_14default_configENS1_27scan_by_key_config_selectorIiiEEZZNS1_16scan_by_key_implILNS1_25lookback_scan_determinismE0ELb0ES3_PKiN6hipcub16HIPCUB_304000_NS21ConstantInputIteratorIilEEPiiNSB_3SumENSB_8EqualityEiEE10hipError_tPvRmT2_T3_T4_T5_mT6_T7_P12ihipStream_tbENKUlT_T0_E_clISt17integral_constantIbLb0EESW_IbLb1EEEEDaSS_ST_EUlSS_E_NS1_11comp_targetILNS1_3genE10ELNS1_11target_archE1201ELNS1_3gpuE5ELNS1_3repE0EEENS1_30default_config_static_selectorELNS0_4arch9wavefront6targetE1EEEvT1_,comdat
.Lfunc_end44:
	.size	_ZN7rocprim17ROCPRIM_400000_NS6detail17trampoline_kernelINS0_14default_configENS1_27scan_by_key_config_selectorIiiEEZZNS1_16scan_by_key_implILNS1_25lookback_scan_determinismE0ELb0ES3_PKiN6hipcub16HIPCUB_304000_NS21ConstantInputIteratorIilEEPiiNSB_3SumENSB_8EqualityEiEE10hipError_tPvRmT2_T3_T4_T5_mT6_T7_P12ihipStream_tbENKUlT_T0_E_clISt17integral_constantIbLb0EESW_IbLb1EEEEDaSS_ST_EUlSS_E_NS1_11comp_targetILNS1_3genE10ELNS1_11target_archE1201ELNS1_3gpuE5ELNS1_3repE0EEENS1_30default_config_static_selectorELNS0_4arch9wavefront6targetE1EEEvT1_, .Lfunc_end44-_ZN7rocprim17ROCPRIM_400000_NS6detail17trampoline_kernelINS0_14default_configENS1_27scan_by_key_config_selectorIiiEEZZNS1_16scan_by_key_implILNS1_25lookback_scan_determinismE0ELb0ES3_PKiN6hipcub16HIPCUB_304000_NS21ConstantInputIteratorIilEEPiiNSB_3SumENSB_8EqualityEiEE10hipError_tPvRmT2_T3_T4_T5_mT6_T7_P12ihipStream_tbENKUlT_T0_E_clISt17integral_constantIbLb0EESW_IbLb1EEEEDaSS_ST_EUlSS_E_NS1_11comp_targetILNS1_3genE10ELNS1_11target_archE1201ELNS1_3gpuE5ELNS1_3repE0EEENS1_30default_config_static_selectorELNS0_4arch9wavefront6targetE1EEEvT1_
                                        ; -- End function
	.section	.AMDGPU.csdata,"",@progbits
; Kernel info:
; codeLenInByte = 0
; NumSgprs: 6
; NumVgprs: 0
; NumAgprs: 0
; TotalNumVgprs: 0
; ScratchSize: 0
; MemoryBound: 0
; FloatMode: 240
; IeeeMode: 1
; LDSByteSize: 0 bytes/workgroup (compile time only)
; SGPRBlocks: 0
; VGPRBlocks: 0
; NumSGPRsForWavesPerEU: 6
; NumVGPRsForWavesPerEU: 1
; AccumOffset: 4
; Occupancy: 8
; WaveLimiterHint : 0
; COMPUTE_PGM_RSRC2:SCRATCH_EN: 0
; COMPUTE_PGM_RSRC2:USER_SGPR: 2
; COMPUTE_PGM_RSRC2:TRAP_HANDLER: 0
; COMPUTE_PGM_RSRC2:TGID_X_EN: 1
; COMPUTE_PGM_RSRC2:TGID_Y_EN: 0
; COMPUTE_PGM_RSRC2:TGID_Z_EN: 0
; COMPUTE_PGM_RSRC2:TIDIG_COMP_CNT: 0
; COMPUTE_PGM_RSRC3_GFX90A:ACCUM_OFFSET: 0
; COMPUTE_PGM_RSRC3_GFX90A:TG_SPLIT: 0
	.section	.text._ZN7rocprim17ROCPRIM_400000_NS6detail17trampoline_kernelINS0_14default_configENS1_27scan_by_key_config_selectorIiiEEZZNS1_16scan_by_key_implILNS1_25lookback_scan_determinismE0ELb0ES3_PKiN6hipcub16HIPCUB_304000_NS21ConstantInputIteratorIilEEPiiNSB_3SumENSB_8EqualityEiEE10hipError_tPvRmT2_T3_T4_T5_mT6_T7_P12ihipStream_tbENKUlT_T0_E_clISt17integral_constantIbLb0EESW_IbLb1EEEEDaSS_ST_EUlSS_E_NS1_11comp_targetILNS1_3genE5ELNS1_11target_archE942ELNS1_3gpuE9ELNS1_3repE0EEENS1_30default_config_static_selectorELNS0_4arch9wavefront6targetE1EEEvT1_,"axG",@progbits,_ZN7rocprim17ROCPRIM_400000_NS6detail17trampoline_kernelINS0_14default_configENS1_27scan_by_key_config_selectorIiiEEZZNS1_16scan_by_key_implILNS1_25lookback_scan_determinismE0ELb0ES3_PKiN6hipcub16HIPCUB_304000_NS21ConstantInputIteratorIilEEPiiNSB_3SumENSB_8EqualityEiEE10hipError_tPvRmT2_T3_T4_T5_mT6_T7_P12ihipStream_tbENKUlT_T0_E_clISt17integral_constantIbLb0EESW_IbLb1EEEEDaSS_ST_EUlSS_E_NS1_11comp_targetILNS1_3genE5ELNS1_11target_archE942ELNS1_3gpuE9ELNS1_3repE0EEENS1_30default_config_static_selectorELNS0_4arch9wavefront6targetE1EEEvT1_,comdat
	.protected	_ZN7rocprim17ROCPRIM_400000_NS6detail17trampoline_kernelINS0_14default_configENS1_27scan_by_key_config_selectorIiiEEZZNS1_16scan_by_key_implILNS1_25lookback_scan_determinismE0ELb0ES3_PKiN6hipcub16HIPCUB_304000_NS21ConstantInputIteratorIilEEPiiNSB_3SumENSB_8EqualityEiEE10hipError_tPvRmT2_T3_T4_T5_mT6_T7_P12ihipStream_tbENKUlT_T0_E_clISt17integral_constantIbLb0EESW_IbLb1EEEEDaSS_ST_EUlSS_E_NS1_11comp_targetILNS1_3genE5ELNS1_11target_archE942ELNS1_3gpuE9ELNS1_3repE0EEENS1_30default_config_static_selectorELNS0_4arch9wavefront6targetE1EEEvT1_ ; -- Begin function _ZN7rocprim17ROCPRIM_400000_NS6detail17trampoline_kernelINS0_14default_configENS1_27scan_by_key_config_selectorIiiEEZZNS1_16scan_by_key_implILNS1_25lookback_scan_determinismE0ELb0ES3_PKiN6hipcub16HIPCUB_304000_NS21ConstantInputIteratorIilEEPiiNSB_3SumENSB_8EqualityEiEE10hipError_tPvRmT2_T3_T4_T5_mT6_T7_P12ihipStream_tbENKUlT_T0_E_clISt17integral_constantIbLb0EESW_IbLb1EEEEDaSS_ST_EUlSS_E_NS1_11comp_targetILNS1_3genE5ELNS1_11target_archE942ELNS1_3gpuE9ELNS1_3repE0EEENS1_30default_config_static_selectorELNS0_4arch9wavefront6targetE1EEEvT1_
	.globl	_ZN7rocprim17ROCPRIM_400000_NS6detail17trampoline_kernelINS0_14default_configENS1_27scan_by_key_config_selectorIiiEEZZNS1_16scan_by_key_implILNS1_25lookback_scan_determinismE0ELb0ES3_PKiN6hipcub16HIPCUB_304000_NS21ConstantInputIteratorIilEEPiiNSB_3SumENSB_8EqualityEiEE10hipError_tPvRmT2_T3_T4_T5_mT6_T7_P12ihipStream_tbENKUlT_T0_E_clISt17integral_constantIbLb0EESW_IbLb1EEEEDaSS_ST_EUlSS_E_NS1_11comp_targetILNS1_3genE5ELNS1_11target_archE942ELNS1_3gpuE9ELNS1_3repE0EEENS1_30default_config_static_selectorELNS0_4arch9wavefront6targetE1EEEvT1_
	.p2align	8
	.type	_ZN7rocprim17ROCPRIM_400000_NS6detail17trampoline_kernelINS0_14default_configENS1_27scan_by_key_config_selectorIiiEEZZNS1_16scan_by_key_implILNS1_25lookback_scan_determinismE0ELb0ES3_PKiN6hipcub16HIPCUB_304000_NS21ConstantInputIteratorIilEEPiiNSB_3SumENSB_8EqualityEiEE10hipError_tPvRmT2_T3_T4_T5_mT6_T7_P12ihipStream_tbENKUlT_T0_E_clISt17integral_constantIbLb0EESW_IbLb1EEEEDaSS_ST_EUlSS_E_NS1_11comp_targetILNS1_3genE5ELNS1_11target_archE942ELNS1_3gpuE9ELNS1_3repE0EEENS1_30default_config_static_selectorELNS0_4arch9wavefront6targetE1EEEvT1_,@function
_ZN7rocprim17ROCPRIM_400000_NS6detail17trampoline_kernelINS0_14default_configENS1_27scan_by_key_config_selectorIiiEEZZNS1_16scan_by_key_implILNS1_25lookback_scan_determinismE0ELb0ES3_PKiN6hipcub16HIPCUB_304000_NS21ConstantInputIteratorIilEEPiiNSB_3SumENSB_8EqualityEiEE10hipError_tPvRmT2_T3_T4_T5_mT6_T7_P12ihipStream_tbENKUlT_T0_E_clISt17integral_constantIbLb0EESW_IbLb1EEEEDaSS_ST_EUlSS_E_NS1_11comp_targetILNS1_3genE5ELNS1_11target_archE942ELNS1_3gpuE9ELNS1_3repE0EEENS1_30default_config_static_selectorELNS0_4arch9wavefront6targetE1EEEvT1_: ; @_ZN7rocprim17ROCPRIM_400000_NS6detail17trampoline_kernelINS0_14default_configENS1_27scan_by_key_config_selectorIiiEEZZNS1_16scan_by_key_implILNS1_25lookback_scan_determinismE0ELb0ES3_PKiN6hipcub16HIPCUB_304000_NS21ConstantInputIteratorIilEEPiiNSB_3SumENSB_8EqualityEiEE10hipError_tPvRmT2_T3_T4_T5_mT6_T7_P12ihipStream_tbENKUlT_T0_E_clISt17integral_constantIbLb0EESW_IbLb1EEEEDaSS_ST_EUlSS_E_NS1_11comp_targetILNS1_3genE5ELNS1_11target_archE942ELNS1_3gpuE9ELNS1_3repE0EEENS1_30default_config_static_selectorELNS0_4arch9wavefront6targetE1EEEvT1_
; %bb.0:
	s_load_dword s82, s[0:1], 0x10
	s_load_dwordx2 s[68:69], s[0:1], 0x20
	s_load_dwordx4 s[64:67], s[0:1], 0x30
	s_load_dwordx2 s[72:73], s[0:1], 0x40
	v_cmp_ne_u32_e64 s[4:5], 0, v0
	v_cmp_eq_u32_e64 s[54:55], 0, v0
	s_and_saveexec_b64 s[2:3], s[54:55]
	s_cbranch_execz .LBB45_4
; %bb.1:
	s_mov_b64 s[8:9], exec
	v_mbcnt_lo_u32_b32 v1, s8, 0
	v_mbcnt_hi_u32_b32 v1, s9, v1
	v_cmp_eq_u32_e32 vcc, 0, v1
                                        ; implicit-def: $vgpr2
	s_and_saveexec_b64 s[6:7], vcc
	s_cbranch_execz .LBB45_3
; %bb.2:
	s_load_dwordx2 s[10:11], s[0:1], 0x70
	s_bcnt1_i32_b64 s8, s[8:9]
	v_mov_b32_e32 v2, 0
	v_mov_b32_e32 v3, s8
	s_waitcnt lgkmcnt(0)
	global_atomic_add v2, v2, v3, s[10:11] sc0
.LBB45_3:
	s_or_b64 exec, exec, s[6:7]
	s_waitcnt vmcnt(0)
	v_readfirstlane_b32 s6, v2
	v_mov_b32_e32 v2, 0
	s_nop 0
	v_add_u32_e32 v1, s6, v1
	ds_write_b32 v2, v1
.LBB45_4:
	s_or_b64 exec, exec, s[2:3]
	s_load_dwordx4 s[8:11], s[0:1], 0x0
	s_load_dword s2, s[0:1], 0x48
	s_load_dwordx8 s[56:63], s[0:1], 0x50
	v_mov_b32_e32 v1, 0
	s_waitcnt lgkmcnt(0)
	s_barrier
	ds_read_b32 v2, v1
	s_mul_i32 s0, s73, s2
	s_mul_hi_u32 s1, s72, s2
	s_add_i32 s3, s1, s0
	s_lshl_b64 s[70:71], s[10:11], 2
	s_add_u32 s6, s8, s70
	s_addc_u32 s7, s9, s71
	s_waitcnt lgkmcnt(0)
	v_readfirstlane_b32 s67, v2
	s_cmp_lg_u64 s[60:61], 0
	s_mov_b32 s1, 0
	s_mul_i32 s0, s67, 0x1700
	s_cselect_b64 s[8:9], -1, 0
	s_lshl_b64 s[60:61], s[0:1], 2
	s_add_u32 s6, s6, s60
	s_mul_i32 s2, s72, s2
	s_addc_u32 s7, s7, s61
	s_add_u32 s10, s2, s67
	s_addc_u32 s11, s3, 0
	s_add_u32 s0, s56, -1
	s_addc_u32 s1, s57, -1
	v_mov_b64_e32 v[2:3], s[0:1]
	v_cmp_ge_u64_e64 s[2:3], s[10:11], v[2:3]
	s_mov_b64 s[16:17], 0
	s_mov_b64 s[12:13], -1
	s_and_b64 vcc, exec, s[2:3]
	s_mul_i32 s33, s0, 0xffffe900
	s_barrier
	s_barrier
	s_cbranch_vccz .LBB45_102
; %bb.5:
	global_load_dword v1, v1, s[6:7]
	s_add_i32 s83, s33, s66
	v_cmp_gt_u32_e32 vcc, s83, v0
	s_waitcnt vmcnt(0)
	v_mov_b32_e32 v2, v1
	s_and_saveexec_b64 s[0:1], vcc
	s_cbranch_execz .LBB45_7
; %bb.6:
	v_lshlrev_b32_e32 v2, 2, v0
	global_load_dword v2, v2, s[6:7]
.LBB45_7:
	s_or_b64 exec, exec, s[0:1]
	v_or_b32_e32 v3, 0x100, v0
	v_cmp_gt_u32_e32 vcc, s83, v3
	v_mov_b32_e32 v3, v1
	s_and_saveexec_b64 s[0:1], vcc
	s_cbranch_execz .LBB45_9
; %bb.8:
	v_lshlrev_b32_e32 v3, 2, v0
	global_load_dword v3, v3, s[6:7] offset:1024
.LBB45_9:
	s_or_b64 exec, exec, s[0:1]
	v_or_b32_e32 v4, 0x200, v0
	v_cmp_gt_u32_e32 vcc, s83, v4
	v_mov_b32_e32 v4, v1
	s_and_saveexec_b64 s[0:1], vcc
	s_cbranch_execz .LBB45_11
; %bb.10:
	v_lshlrev_b32_e32 v4, 2, v0
	global_load_dword v4, v4, s[6:7] offset:2048
.LBB45_11:
	;; [unrolled: 10-line block ×3, first 2 shown]
	s_or_b64 exec, exec, s[0:1]
	v_or_b32_e32 v7, 0x400, v0
	v_cmp_gt_u32_e32 vcc, s83, v7
	v_mov_b32_e32 v6, v1
	s_and_saveexec_b64 s[0:1], vcc
	s_cbranch_execz .LBB45_15
; %bb.14:
	v_lshlrev_b32_e32 v6, 2, v7
	global_load_dword v6, v6, s[6:7]
.LBB45_15:
	s_or_b64 exec, exec, s[0:1]
	v_or_b32_e32 v8, 0x500, v0
	v_cmp_gt_u32_e32 vcc, s83, v8
	v_mov_b32_e32 v7, v1
	s_and_saveexec_b64 s[0:1], vcc
	s_cbranch_execz .LBB45_17
; %bb.16:
	v_lshlrev_b32_e32 v7, 2, v8
	global_load_dword v7, v7, s[6:7]
.LBB45_17:
	;; [unrolled: 10-line block ×18, first 2 shown]
	s_or_b64 exec, exec, s[0:1]
	v_or_b32_e32 v18, 0x1600, v0
	v_cmp_gt_u32_e32 vcc, s83, v18
	s_and_saveexec_b64 s[0:1], vcc
	s_cbranch_execz .LBB45_51
; %bb.50:
	v_lshlrev_b32_e32 v1, 2, v18
	global_load_dword v1, v1, s[6:7]
.LBB45_51:
	s_or_b64 exec, exec, s[0:1]
	v_lshlrev_b32_e32 v18, 2, v0
	s_movk_i32 s0, 0x58
	s_waitcnt vmcnt(0)
	ds_write2st64_b32 v18, v2, v3 offset1:4
	ds_write2st64_b32 v18, v4, v5 offset0:8 offset1:12
	ds_write2st64_b32 v18, v6, v7 offset0:16 offset1:20
	;; [unrolled: 1-line block ×10, first 2 shown]
	ds_write_b32 v18, v1 offset:22528
	v_mad_u32_u24 v1, v0, s0, v18
	s_waitcnt lgkmcnt(0)
	s_barrier
	ds_read2_b32 v[68:69], v1 offset1:1
	ds_read2_b32 v[66:67], v1 offset0:2 offset1:3
	ds_read2_b32 v[64:65], v1 offset0:4 offset1:5
	;; [unrolled: 1-line block ×10, first 2 shown]
	ds_read_b32 v72, v1 offset:88
	s_cmp_eq_u64 s[10:11], 0
	s_mov_b64 s[0:1], s[6:7]
	s_cbranch_scc1 .LBB45_55
; %bb.52:
	s_andn2_b64 vcc, exec, s[8:9]
	s_cbranch_vccnz .LBB45_221
; %bb.53:
	s_lshl_b64 s[0:1], s[10:11], 2
	s_add_u32 s0, s62, s0
	s_addc_u32 s1, s63, s1
	s_add_u32 s0, s0, -4
	s_addc_u32 s1, s1, -1
	s_cbranch_execnz .LBB45_55
.LBB45_54:
	s_add_u32 s0, s6, -4
	s_addc_u32 s1, s7, -1
.LBB45_55:
	v_mov_b32_e32 v2, 0
	global_load_dword v2, v2, s[0:1]
	s_movk_i32 s0, 0xffa8
	v_mad_i32_i24 v3, v0, s0, v1
	s_waitcnt lgkmcnt(0)
	ds_write_b32 v3, v72 offset:23552
	s_waitcnt lgkmcnt(0)
	s_barrier
	s_and_saveexec_b64 s[0:1], s[4:5]
	s_cbranch_execz .LBB45_57
; %bb.56:
	s_waitcnt vmcnt(0)
	v_mul_i32_i24_e32 v2, 0xffffffa8, v0
	v_add_u32_e32 v2, v1, v2
	ds_read_b32 v2, v2 offset:23548
.LBB45_57:
	s_or_b64 exec, exec, s[0:1]
	v_mul_u32_u24_e32 v73, 23, v0
	v_mov_b32_e32 v3, s82
	v_mov_b64_e32 v[10:11], 0
	s_waitcnt lgkmcnt(0)
	s_barrier
	ds_write2st64_b32 v18, v3, v3 offset1:4
	ds_write2st64_b32 v18, v3, v3 offset0:8 offset1:12
	ds_write2st64_b32 v18, v3, v3 offset0:16 offset1:20
	;; [unrolled: 1-line block ×10, first 2 shown]
	ds_write_b32 v18, v3 offset:22528
	v_cmp_gt_u32_e32 vcc, s83, v73
	s_mov_b64 s[12:13], 0
	v_mov_b64_e32 v[12:13], v[10:11]
	v_mov_b64_e32 v[14:15], v[10:11]
	;; [unrolled: 1-line block ×21, first 2 shown]
	s_waitcnt lgkmcnt(0)
	s_barrier
	s_waitcnt lgkmcnt(0)
                                        ; implicit-def: $sgpr0_sgpr1
                                        ; implicit-def: $vgpr3
	s_and_saveexec_b64 s[14:15], vcc
	s_cbranch_execz .LBB45_101
; %bb.58:
	ds_read_b32 v10, v1
	v_add_u32_e32 v3, 1, v73
	s_waitcnt vmcnt(0)
	v_cmp_ne_u32_e32 vcc, v2, v68
	v_mov_b64_e32 v[12:13], 0
	s_mov_b64 s[18:19], 0
	v_cndmask_b32_e64 v11, 0, 1, vcc
	v_cmp_gt_u32_e32 vcc, s83, v3
	s_mov_b64 s[0:1], 0
	v_mov_b64_e32 v[14:15], v[12:13]
	v_mov_b64_e32 v[16:17], v[12:13]
	;; [unrolled: 1-line block ×20, first 2 shown]
                                        ; implicit-def: $sgpr20_sgpr21
                                        ; implicit-def: $vgpr3
	s_and_saveexec_b64 s[16:17], vcc
	s_cbranch_execz .LBB45_100
; %bb.59:
	ds_read2_b32 v[70:71], v1 offset0:1 offset1:2
	v_add_u32_e32 v2, 2, v73
	v_cmp_ne_u32_e32 vcc, v68, v69
	v_mov_b64_e32 v[14:15], 0
	s_mov_b64 s[22:23], 0
	v_cndmask_b32_e64 v13, 0, 1, vcc
	v_cmp_gt_u32_e32 vcc, s83, v2
	s_waitcnt lgkmcnt(0)
	v_mov_b32_e32 v12, v70
	v_mov_b64_e32 v[16:17], v[14:15]
	v_mov_b64_e32 v[18:19], v[14:15]
	;; [unrolled: 1-line block ×19, first 2 shown]
                                        ; implicit-def: $sgpr20_sgpr21
                                        ; implicit-def: $vgpr3
	s_and_saveexec_b64 s[18:19], vcc
	s_cbranch_execz .LBB45_99
; %bb.60:
	v_add_u32_e32 v2, 3, v73
	v_cmp_ne_u32_e32 vcc, v69, v66
	v_mov_b64_e32 v[16:17], 0
	v_mov_b32_e32 v14, v71
	v_cndmask_b32_e64 v15, 0, 1, vcc
	v_cmp_gt_u32_e32 vcc, s83, v2
	v_mov_b64_e32 v[18:19], v[16:17]
	v_mov_b64_e32 v[20:21], v[16:17]
	;; [unrolled: 1-line block ×18, first 2 shown]
                                        ; implicit-def: $sgpr24_sgpr25
                                        ; implicit-def: $vgpr3
	s_and_saveexec_b64 s[20:21], vcc
	s_cbranch_execz .LBB45_98
; %bb.61:
	ds_read2_b32 v[68:69], v1 offset0:3 offset1:4
	v_add_u32_e32 v2, 4, v73
	v_cmp_ne_u32_e32 vcc, v66, v67
	v_mov_b64_e32 v[18:19], 0
	s_mov_b64 s[26:27], 0
	v_cndmask_b32_e64 v17, 0, 1, vcc
	v_cmp_gt_u32_e32 vcc, s83, v2
	s_waitcnt lgkmcnt(0)
	v_mov_b32_e32 v16, v68
	v_mov_b64_e32 v[20:21], v[18:19]
	v_mov_b64_e32 v[22:23], v[18:19]
	v_mov_b64_e32 v[24:25], v[18:19]
	v_mov_b64_e32 v[26:27], v[18:19]
	v_mov_b64_e32 v[28:29], v[18:19]
	v_mov_b64_e32 v[30:31], v[18:19]
	v_mov_b64_e32 v[32:33], v[18:19]
	v_mov_b64_e32 v[34:35], v[18:19]
	v_mov_b64_e32 v[36:37], v[18:19]
	v_mov_b64_e32 v[38:39], v[18:19]
	v_mov_b64_e32 v[40:41], v[18:19]
	v_mov_b64_e32 v[42:43], v[18:19]
	v_mov_b64_e32 v[44:45], v[18:19]
	v_mov_b64_e32 v[46:47], v[18:19]
	v_mov_b64_e32 v[48:49], v[18:19]
	v_mov_b64_e32 v[50:51], v[18:19]
	v_mov_b64_e32 v[52:53], v[18:19]
                                        ; implicit-def: $sgpr24_sgpr25
                                        ; implicit-def: $vgpr3
	s_and_saveexec_b64 s[22:23], vcc
	s_cbranch_execz .LBB45_97
; %bb.62:
	v_add_u32_e32 v2, 5, v73
	v_cmp_ne_u32_e32 vcc, v67, v64
	v_mov_b64_e32 v[20:21], 0
	v_mov_b32_e32 v18, v69
	v_cndmask_b32_e64 v19, 0, 1, vcc
	v_cmp_gt_u32_e32 vcc, s83, v2
	v_mov_b64_e32 v[22:23], v[20:21]
	v_mov_b64_e32 v[24:25], v[20:21]
	;; [unrolled: 1-line block ×16, first 2 shown]
                                        ; implicit-def: $sgpr28_sgpr29
                                        ; implicit-def: $vgpr3
	s_and_saveexec_b64 s[24:25], vcc
	s_cbranch_execz .LBB45_96
; %bb.63:
	ds_read2_b32 v[66:67], v1 offset0:5 offset1:6
	v_add_u32_e32 v2, 6, v73
	v_cmp_ne_u32_e32 vcc, v64, v65
	v_mov_b64_e32 v[22:23], 0
	s_mov_b64 s[30:31], 0
	v_cndmask_b32_e64 v21, 0, 1, vcc
	v_cmp_gt_u32_e32 vcc, s83, v2
	s_waitcnt lgkmcnt(0)
	v_mov_b32_e32 v20, v66
	v_mov_b64_e32 v[24:25], v[22:23]
	v_mov_b64_e32 v[26:27], v[22:23]
	;; [unrolled: 1-line block ×15, first 2 shown]
                                        ; implicit-def: $sgpr28_sgpr29
                                        ; implicit-def: $vgpr3
	s_and_saveexec_b64 s[26:27], vcc
	s_cbranch_execz .LBB45_95
; %bb.64:
	v_add_u32_e32 v2, 7, v73
	v_cmp_ne_u32_e32 vcc, v65, v62
	v_mov_b64_e32 v[24:25], 0
	v_mov_b32_e32 v22, v67
	v_cndmask_b32_e64 v23, 0, 1, vcc
	v_cmp_gt_u32_e32 vcc, s83, v2
	v_mov_b64_e32 v[26:27], v[24:25]
	v_mov_b64_e32 v[28:29], v[24:25]
	;; [unrolled: 1-line block ×14, first 2 shown]
                                        ; implicit-def: $sgpr34_sgpr35
                                        ; implicit-def: $vgpr3
	s_and_saveexec_b64 s[28:29], vcc
	s_cbranch_execz .LBB45_94
; %bb.65:
	ds_read2_b32 v[64:65], v1 offset0:7 offset1:8
	v_add_u32_e32 v2, 8, v73
	v_cmp_ne_u32_e32 vcc, v62, v63
	v_mov_b64_e32 v[26:27], 0
	s_mov_b64 s[36:37], 0
	v_cndmask_b32_e64 v25, 0, 1, vcc
	v_cmp_gt_u32_e32 vcc, s83, v2
	s_waitcnt lgkmcnt(0)
	v_mov_b32_e32 v24, v64
	v_mov_b64_e32 v[28:29], v[26:27]
	v_mov_b64_e32 v[30:31], v[26:27]
	;; [unrolled: 1-line block ×13, first 2 shown]
                                        ; implicit-def: $sgpr34_sgpr35
                                        ; implicit-def: $vgpr3
	s_and_saveexec_b64 s[30:31], vcc
	s_cbranch_execz .LBB45_93
; %bb.66:
	v_add_u32_e32 v2, 9, v73
	v_cmp_ne_u32_e32 vcc, v63, v60
	v_mov_b64_e32 v[28:29], 0
	v_mov_b32_e32 v26, v65
	v_cndmask_b32_e64 v27, 0, 1, vcc
	v_cmp_gt_u32_e32 vcc, s83, v2
	v_mov_b64_e32 v[30:31], v[28:29]
	v_mov_b64_e32 v[32:33], v[28:29]
	;; [unrolled: 1-line block ×12, first 2 shown]
                                        ; implicit-def: $sgpr38_sgpr39
                                        ; implicit-def: $vgpr3
	s_and_saveexec_b64 s[34:35], vcc
	s_cbranch_execz .LBB45_92
; %bb.67:
	ds_read2_b32 v[62:63], v1 offset0:9 offset1:10
	v_add_u32_e32 v2, 10, v73
	v_cmp_ne_u32_e32 vcc, v60, v61
	v_mov_b64_e32 v[30:31], 0
	s_mov_b64 s[40:41], 0
	v_cndmask_b32_e64 v29, 0, 1, vcc
	v_cmp_gt_u32_e32 vcc, s83, v2
	s_waitcnt lgkmcnt(0)
	v_mov_b32_e32 v28, v62
	v_mov_b64_e32 v[32:33], v[30:31]
	v_mov_b64_e32 v[34:35], v[30:31]
	;; [unrolled: 1-line block ×11, first 2 shown]
                                        ; implicit-def: $sgpr38_sgpr39
                                        ; implicit-def: $vgpr3
	s_and_saveexec_b64 s[36:37], vcc
	s_cbranch_execz .LBB45_91
; %bb.68:
	v_add_u32_e32 v2, 11, v73
	v_cmp_ne_u32_e32 vcc, v61, v58
	v_mov_b64_e32 v[32:33], 0
	v_mov_b32_e32 v30, v63
	v_cndmask_b32_e64 v31, 0, 1, vcc
	v_cmp_gt_u32_e32 vcc, s83, v2
	v_mov_b64_e32 v[34:35], v[32:33]
	v_mov_b64_e32 v[36:37], v[32:33]
	;; [unrolled: 1-line block ×10, first 2 shown]
                                        ; implicit-def: $sgpr42_sgpr43
                                        ; implicit-def: $vgpr3
	s_and_saveexec_b64 s[38:39], vcc
	s_cbranch_execz .LBB45_90
; %bb.69:
	ds_read2_b32 v[60:61], v1 offset0:11 offset1:12
	v_add_u32_e32 v2, 12, v73
	v_cmp_ne_u32_e32 vcc, v58, v59
	v_mov_b64_e32 v[34:35], 0
	s_mov_b64 s[44:45], 0
	v_cndmask_b32_e64 v33, 0, 1, vcc
	v_cmp_gt_u32_e32 vcc, s83, v2
	s_waitcnt lgkmcnt(0)
	v_mov_b32_e32 v32, v60
	v_mov_b64_e32 v[36:37], v[34:35]
	v_mov_b64_e32 v[38:39], v[34:35]
	;; [unrolled: 1-line block ×9, first 2 shown]
                                        ; implicit-def: $sgpr42_sgpr43
                                        ; implicit-def: $vgpr3
	s_and_saveexec_b64 s[40:41], vcc
	s_cbranch_execz .LBB45_89
; %bb.70:
	v_add_u32_e32 v2, 13, v73
	v_cmp_ne_u32_e32 vcc, v59, v56
	v_mov_b64_e32 v[36:37], 0
	v_mov_b32_e32 v34, v61
	v_cndmask_b32_e64 v35, 0, 1, vcc
	v_cmp_gt_u32_e32 vcc, s83, v2
	v_mov_b64_e32 v[38:39], v[36:37]
	v_mov_b64_e32 v[40:41], v[36:37]
	;; [unrolled: 1-line block ×8, first 2 shown]
                                        ; implicit-def: $sgpr46_sgpr47
                                        ; implicit-def: $vgpr3
	s_and_saveexec_b64 s[42:43], vcc
	s_cbranch_execz .LBB45_88
; %bb.71:
	ds_read2_b32 v[58:59], v1 offset0:13 offset1:14
	v_add_u32_e32 v2, 14, v73
	v_cmp_ne_u32_e32 vcc, v56, v57
	v_mov_b64_e32 v[38:39], 0
	s_mov_b64 s[48:49], 0
	v_cndmask_b32_e64 v37, 0, 1, vcc
	v_cmp_gt_u32_e32 vcc, s83, v2
	s_waitcnt lgkmcnt(0)
	v_mov_b32_e32 v36, v58
	v_mov_b64_e32 v[40:41], v[38:39]
	v_mov_b64_e32 v[42:43], v[38:39]
	;; [unrolled: 1-line block ×7, first 2 shown]
                                        ; implicit-def: $sgpr46_sgpr47
                                        ; implicit-def: $vgpr3
	s_and_saveexec_b64 s[44:45], vcc
	s_cbranch_execz .LBB45_87
; %bb.72:
	v_add_u32_e32 v2, 15, v73
	v_cmp_ne_u32_e32 vcc, v57, v54
	v_mov_b64_e32 v[40:41], 0
	v_mov_b32_e32 v38, v59
	v_cndmask_b32_e64 v39, 0, 1, vcc
	v_cmp_gt_u32_e32 vcc, s83, v2
	v_mov_b64_e32 v[42:43], v[40:41]
	v_mov_b64_e32 v[44:45], v[40:41]
	;; [unrolled: 1-line block ×6, first 2 shown]
                                        ; implicit-def: $sgpr50_sgpr51
                                        ; implicit-def: $vgpr3
	s_and_saveexec_b64 s[46:47], vcc
	s_cbranch_execz .LBB45_86
; %bb.73:
	ds_read2_b32 v[56:57], v1 offset0:15 offset1:16
	v_add_u32_e32 v2, 16, v73
	v_cmp_ne_u32_e32 vcc, v54, v55
	v_mov_b64_e32 v[42:43], 0
	s_mov_b64 s[52:53], 0
	v_cndmask_b32_e64 v41, 0, 1, vcc
	v_cmp_gt_u32_e32 vcc, s83, v2
	s_waitcnt lgkmcnt(0)
	v_mov_b32_e32 v40, v56
	v_mov_b64_e32 v[44:45], v[42:43]
	v_mov_b64_e32 v[46:47], v[42:43]
	;; [unrolled: 1-line block ×5, first 2 shown]
                                        ; implicit-def: $sgpr50_sgpr51
                                        ; implicit-def: $vgpr3
	s_and_saveexec_b64 s[48:49], vcc
	s_cbranch_execz .LBB45_85
; %bb.74:
	v_add_u32_e32 v2, 17, v73
	v_cmp_ne_u32_e32 vcc, v55, v8
	v_mov_b64_e32 v[44:45], 0
	v_mov_b32_e32 v42, v57
	v_cndmask_b32_e64 v43, 0, 1, vcc
	v_cmp_gt_u32_e32 vcc, s83, v2
	v_mov_b64_e32 v[46:47], v[44:45]
	v_mov_b64_e32 v[48:49], v[44:45]
	;; [unrolled: 1-line block ×4, first 2 shown]
                                        ; implicit-def: $sgpr56_sgpr57
                                        ; implicit-def: $vgpr3
	s_and_saveexec_b64 s[50:51], vcc
	s_cbranch_execz .LBB45_84
; %bb.75:
	ds_read2_b32 v[54:55], v1 offset0:17 offset1:18
	v_add_u32_e32 v2, 18, v73
	v_cmp_ne_u32_e32 vcc, v8, v9
	v_mov_b64_e32 v[46:47], 0
	s_mov_b64 s[74:75], 0
	v_cndmask_b32_e64 v45, 0, 1, vcc
	v_cmp_gt_u32_e32 vcc, s83, v2
	s_waitcnt lgkmcnt(0)
	v_mov_b32_e32 v44, v54
	v_mov_b64_e32 v[48:49], v[46:47]
	v_mov_b64_e32 v[50:51], v[46:47]
	v_mov_b64_e32 v[52:53], v[46:47]
                                        ; implicit-def: $sgpr56_sgpr57
                                        ; implicit-def: $vgpr3
	s_and_saveexec_b64 s[52:53], vcc
	s_cbranch_execz .LBB45_83
; %bb.76:
	v_add_u32_e32 v2, 19, v73
	v_cmp_ne_u32_e32 vcc, v9, v6
	v_mov_b64_e32 v[48:49], 0
	v_mov_b32_e32 v46, v55
	v_cndmask_b32_e64 v47, 0, 1, vcc
	v_cmp_gt_u32_e32 vcc, s83, v2
	v_mov_b64_e32 v[50:51], v[48:49]
	v_mov_b64_e32 v[52:53], v[48:49]
                                        ; implicit-def: $sgpr76_sgpr77
                                        ; implicit-def: $vgpr3
	s_and_saveexec_b64 s[56:57], vcc
	s_cbranch_execz .LBB45_82
; %bb.77:
	ds_read2_b32 v[8:9], v1 offset0:19 offset1:20
	v_add_u32_e32 v2, 20, v73
	v_cmp_ne_u32_e32 vcc, v6, v7
	v_mov_b64_e32 v[50:51], 0
	s_mov_b64 s[76:77], 0
	v_cndmask_b32_e64 v49, 0, 1, vcc
	v_cmp_gt_u32_e32 vcc, s83, v2
	s_waitcnt lgkmcnt(0)
	v_mov_b32_e32 v48, v8
	v_mov_b64_e32 v[52:53], v[50:51]
                                        ; implicit-def: $sgpr78_sgpr79
                                        ; implicit-def: $vgpr3
	s_and_saveexec_b64 s[74:75], vcc
	s_cbranch_execz .LBB45_81
; %bb.78:
	v_add_u32_e32 v2, 21, v73
	v_cmp_ne_u32_e32 vcc, v7, v4
	v_mov_b32_e32 v50, v9
	v_mov_b64_e32 v[52:53], 0
	v_cndmask_b32_e64 v51, 0, 1, vcc
	v_cmp_gt_u32_e32 vcc, s83, v2
                                        ; implicit-def: $sgpr78_sgpr79
                                        ; implicit-def: $vgpr3
	s_and_saveexec_b64 s[0:1], vcc
	s_xor_b64 s[80:81], exec, s[0:1]
	s_cbranch_execz .LBB45_80
; %bb.79:
	ds_read2_b32 v[2:3], v1 offset0:21 offset1:22
	v_add_u32_e32 v1, 22, v73
	v_cmp_ne_u32_e64 s[0:1], v4, v5
	v_cmp_ne_u32_e32 vcc, v5, v72
	s_and_b64 s[78:79], vcc, exec
	v_cndmask_b32_e64 v53, 0, 1, s[0:1]
	v_cmp_gt_u32_e64 s[0:1], s83, v1
	s_waitcnt lgkmcnt(0)
	v_mov_b32_e32 v52, v2
	s_and_b64 s[76:77], s[0:1], exec
.LBB45_80:
	s_or_b64 exec, exec, s[80:81]
	s_and_b64 s[78:79], s[78:79], exec
	s_and_b64 s[0:1], s[76:77], exec
.LBB45_81:
	s_or_b64 exec, exec, s[74:75]
	s_and_b64 s[76:77], s[78:79], exec
	s_and_b64 s[74:75], s[0:1], exec
.LBB45_82:
	s_or_b64 exec, exec, s[56:57]
	s_and_b64 s[56:57], s[76:77], exec
	s_and_b64 s[0:1], s[74:75], exec
.LBB45_83:
	s_or_b64 exec, exec, s[52:53]
	s_and_b64 s[56:57], s[56:57], exec
	s_and_b64 s[52:53], s[0:1], exec
.LBB45_84:
	s_or_b64 exec, exec, s[50:51]
	s_and_b64 s[50:51], s[56:57], exec
	s_and_b64 s[0:1], s[52:53], exec
.LBB45_85:
	s_or_b64 exec, exec, s[48:49]
	s_and_b64 s[50:51], s[50:51], exec
	s_and_b64 s[48:49], s[0:1], exec
.LBB45_86:
	s_or_b64 exec, exec, s[46:47]
	s_and_b64 s[46:47], s[50:51], exec
	s_and_b64 s[0:1], s[48:49], exec
.LBB45_87:
	s_or_b64 exec, exec, s[44:45]
	s_and_b64 s[46:47], s[46:47], exec
	s_and_b64 s[44:45], s[0:1], exec
.LBB45_88:
	s_or_b64 exec, exec, s[42:43]
	s_and_b64 s[42:43], s[46:47], exec
	s_and_b64 s[0:1], s[44:45], exec
.LBB45_89:
	s_or_b64 exec, exec, s[40:41]
	s_and_b64 s[42:43], s[42:43], exec
	s_and_b64 s[40:41], s[0:1], exec
.LBB45_90:
	s_or_b64 exec, exec, s[38:39]
	s_and_b64 s[38:39], s[42:43], exec
	s_and_b64 s[0:1], s[40:41], exec
.LBB45_91:
	s_or_b64 exec, exec, s[36:37]
	s_and_b64 s[38:39], s[38:39], exec
	s_and_b64 s[36:37], s[0:1], exec
.LBB45_92:
	s_or_b64 exec, exec, s[34:35]
	s_and_b64 s[34:35], s[38:39], exec
	s_and_b64 s[0:1], s[36:37], exec
.LBB45_93:
	s_or_b64 exec, exec, s[30:31]
	s_and_b64 s[34:35], s[34:35], exec
	s_and_b64 s[30:31], s[0:1], exec
.LBB45_94:
	s_or_b64 exec, exec, s[28:29]
	s_and_b64 s[28:29], s[34:35], exec
	s_and_b64 s[0:1], s[30:31], exec
.LBB45_95:
	s_or_b64 exec, exec, s[26:27]
	s_and_b64 s[28:29], s[28:29], exec
	s_and_b64 s[26:27], s[0:1], exec
.LBB45_96:
	s_or_b64 exec, exec, s[24:25]
	s_and_b64 s[24:25], s[28:29], exec
	s_and_b64 s[0:1], s[26:27], exec
.LBB45_97:
	s_or_b64 exec, exec, s[22:23]
	s_and_b64 s[24:25], s[24:25], exec
	s_and_b64 s[22:23], s[0:1], exec
.LBB45_98:
	s_or_b64 exec, exec, s[20:21]
	s_and_b64 s[20:21], s[24:25], exec
	s_and_b64 s[0:1], s[22:23], exec
.LBB45_99:
	s_or_b64 exec, exec, s[18:19]
	s_and_b64 s[20:21], s[20:21], exec
	s_and_b64 s[18:19], s[0:1], exec
.LBB45_100:
	s_or_b64 exec, exec, s[16:17]
	s_and_b64 s[0:1], s[20:21], exec
	s_and_b64 s[16:17], s[18:19], exec
.LBB45_101:
	s_or_b64 exec, exec, s[14:15]
	s_mov_b64 s[14:15], 0
	s_and_b64 vcc, exec, s[12:13]
	v_lshlrev_b32_e32 v54, 2, v0
	s_cbranch_vccnz .LBB45_103
	s_branch .LBB45_111
.LBB45_102:
                                        ; implicit-def: $sgpr0_sgpr1
                                        ; implicit-def: $vgpr3
                                        ; implicit-def: $vgpr10_vgpr11
                                        ; implicit-def: $vgpr12_vgpr13
                                        ; implicit-def: $vgpr14_vgpr15
                                        ; implicit-def: $vgpr16_vgpr17
                                        ; implicit-def: $vgpr18_vgpr19
                                        ; implicit-def: $vgpr20_vgpr21
                                        ; implicit-def: $vgpr22_vgpr23
                                        ; implicit-def: $vgpr24_vgpr25
                                        ; implicit-def: $vgpr26_vgpr27
                                        ; implicit-def: $vgpr28_vgpr29
                                        ; implicit-def: $vgpr30_vgpr31
                                        ; implicit-def: $vgpr32_vgpr33
                                        ; implicit-def: $vgpr34_vgpr35
                                        ; implicit-def: $vgpr36_vgpr37
                                        ; implicit-def: $vgpr38_vgpr39
                                        ; implicit-def: $vgpr40_vgpr41
                                        ; implicit-def: $vgpr42_vgpr43
                                        ; implicit-def: $vgpr44_vgpr45
                                        ; implicit-def: $vgpr46_vgpr47
                                        ; implicit-def: $vgpr48_vgpr49
                                        ; implicit-def: $vgpr50_vgpr51
                                        ; implicit-def: $vgpr52_vgpr53
                                        ; implicit-def: $sgpr14_sgpr15
	s_and_b64 vcc, exec, s[12:13]
	v_lshlrev_b32_e32 v54, 2, v0
	s_cbranch_vccz .LBB45_111
.LBB45_103:
	v_mov_b32_e32 v55, 0
	s_waitcnt vmcnt(0)
	v_lshl_add_u64 v[2:3], s[6:7], 0, v[54:55]
	v_add_co_u32_e32 v4, vcc, 0x1000, v2
	global_load_dword v8, v54, s[6:7]
	global_load_dword v9, v54, s[6:7] offset:1024
	s_waitcnt lgkmcnt(0)
	global_load_dword v10, v54, s[6:7] offset:2048
	global_load_dword v11, v54, s[6:7] offset:3072
	v_addc_co_u32_e32 v5, vcc, 0, v3, vcc
	v_add_co_u32_e32 v6, vcc, 0x2000, v2
	s_movk_i32 s0, 0x58
	s_nop 0
	v_addc_co_u32_e32 v7, vcc, 0, v3, vcc
	global_load_dword v12, v[4:5], off
	global_load_dword v13, v[4:5], off offset:1024
	global_load_dword v14, v[4:5], off offset:2048
	;; [unrolled: 1-line block ×3, first 2 shown]
	global_load_dword v16, v[6:7], off
	global_load_dword v17, v[6:7], off offset:1024
	global_load_dword v18, v[6:7], off offset:2048
	;; [unrolled: 1-line block ×3, first 2 shown]
	v_add_co_u32_e32 v4, vcc, 0x3000, v2
	v_mad_u32_u24 v1, v0, s0, v54
	s_nop 0
	v_addc_co_u32_e32 v5, vcc, 0, v3, vcc
	v_add_co_u32_e32 v6, vcc, 0x4000, v2
	s_cmp_eq_u64 s[10:11], 0
	s_nop 0
	v_addc_co_u32_e32 v7, vcc, 0, v3, vcc
	v_add_co_u32_e32 v2, vcc, 0x5000, v2
	global_load_dword v20, v[4:5], off
	global_load_dword v21, v[4:5], off offset:1024
	global_load_dword v22, v[4:5], off offset:2048
	;; [unrolled: 1-line block ×3, first 2 shown]
	global_load_dword v24, v[6:7], off
	global_load_dword v25, v[6:7], off offset:1024
	global_load_dword v26, v[6:7], off offset:2048
	;; [unrolled: 1-line block ×3, first 2 shown]
	v_addc_co_u32_e32 v3, vcc, 0, v3, vcc
	global_load_dword v4, v[2:3], off
	global_load_dword v5, v[2:3], off offset:1024
	global_load_dword v6, v[2:3], off offset:2048
	s_waitcnt vmcnt(21)
	ds_write2st64_b32 v54, v8, v9 offset1:4
	s_waitcnt vmcnt(19)
	ds_write2st64_b32 v54, v10, v11 offset0:8 offset1:12
	s_waitcnt vmcnt(17)
	ds_write2st64_b32 v54, v12, v13 offset0:16 offset1:20
	;; [unrolled: 2-line block ×10, first 2 shown]
	s_waitcnt vmcnt(0)
	ds_write_b32 v54, v6 offset:22528
	s_waitcnt lgkmcnt(0)
	s_barrier
	ds_read2_b32 v[14:15], v1 offset1:1
	ds_read2_b32 v[18:19], v1 offset0:2 offset1:3
	ds_read2_b32 v[22:23], v1 offset0:4 offset1:5
	;; [unrolled: 1-line block ×10, first 2 shown]
	ds_read_b32 v2, v1 offset:88
	s_cbranch_scc1 .LBB45_108
; %bb.104:
	s_andn2_b64 vcc, exec, s[8:9]
	s_cbranch_vccnz .LBB45_222
; %bb.105:
	s_lshl_b64 s[0:1], s[10:11], 2
	s_add_u32 s0, s62, s0
	s_addc_u32 s1, s63, s1
	s_add_u32 s0, s0, -4
	s_addc_u32 s1, s1, -1
	s_cbranch_execnz .LBB45_107
.LBB45_106:
	s_add_u32 s0, s6, -4
	s_addc_u32 s1, s7, -1
.LBB45_107:
	s_mov_b64 s[6:7], s[0:1]
.LBB45_108:
	global_load_dword v10, v55, s[6:7]
	s_movk_i32 s0, 0xffa8
	v_mad_i32_i24 v3, v0, s0, v1
	s_waitcnt lgkmcnt(0)
	ds_write_b32 v3, v2 offset:23552
	s_waitcnt lgkmcnt(0)
	s_barrier
	s_and_saveexec_b64 s[0:1], s[4:5]
	s_cbranch_execz .LBB45_110
; %bb.109:
	v_mul_i32_i24_e32 v3, 0xffffffa8, v0
	v_add_u32_e32 v3, v1, v3
	s_waitcnt vmcnt(0)
	ds_read_b32 v10, v3 offset:23548
.LBB45_110:
	s_or_b64 exec, exec, s[0:1]
	s_waitcnt vmcnt(0) lgkmcnt(0)
	v_cmp_ne_u32_e32 vcc, v10, v14
	v_cmp_ne_u32_e64 s[0:1], v5, v2
	v_mov_b32_e32 v2, s82
	v_cndmask_b32_e64 v11, 0, 1, vcc
	v_cmp_ne_u32_e32 vcc, v14, v15
	s_barrier
	s_nop 0
	v_cndmask_b32_e64 v13, 0, 1, vcc
	v_cmp_ne_u32_e32 vcc, v15, v18
	ds_write2st64_b32 v54, v2, v2 offset1:4
	ds_write2st64_b32 v54, v2, v2 offset0:8 offset1:12
	ds_write2st64_b32 v54, v2, v2 offset0:16 offset1:20
	;; [unrolled: 1-line block ×10, first 2 shown]
	ds_write_b32 v54, v2 offset:22528
	s_waitcnt lgkmcnt(0)
	s_barrier
	ds_read2_b32 v[16:17], v1 offset1:1
	ds_read2_b32 v[20:21], v1 offset0:2 offset1:3
	ds_read2_b32 v[24:25], v1 offset0:4 offset1:5
	;; [unrolled: 1-line block ×10, first 2 shown]
	ds_read_b32 v3, v1 offset:88
	v_cndmask_b32_e64 v15, 0, 1, vcc
	v_cmp_ne_u32_e32 vcc, v18, v19
	s_waitcnt lgkmcnt(11)
	v_mov_b32_e32 v12, v17
	v_mov_b32_e32 v10, v16
	v_cndmask_b32_e64 v17, 0, 1, vcc
	v_cmp_ne_u32_e32 vcc, v19, v22
	s_waitcnt lgkmcnt(10)
	v_mov_b32_e32 v16, v21
	v_mov_b32_e32 v14, v20
	;; [unrolled: 5-line block ×5, first 2 shown]
	v_cndmask_b32_e64 v25, 0, 1, vcc
	v_cmp_ne_u32_e32 vcc, v27, v30
	s_waitcnt lgkmcnt(6)
	v_mov_b32_e32 v32, v37
	s_waitcnt lgkmcnt(2)
	v_mov_b32_e32 v48, v51
	v_cndmask_b32_e64 v27, 0, 1, vcc
	v_cmp_ne_u32_e32 vcc, v30, v31
	v_mov_b32_e32 v30, v36
	v_mov_b32_e32 v36, v41
	v_cndmask_b32_e64 v29, 0, 1, vcc
	v_cmp_ne_u32_e32 vcc, v31, v34
	s_waitcnt lgkmcnt(1)
	v_mov_b32_e32 v52, v57
	s_mov_b64 s[16:17], -1
	v_cndmask_b32_e64 v31, 0, 1, vcc
	v_cmp_ne_u32_e32 vcc, v34, v35
	v_mov_b32_e32 v34, v40
	v_mov_b32_e32 v40, v45
	v_cndmask_b32_e64 v33, 0, 1, vcc
	v_cmp_ne_u32_e32 vcc, v35, v38
                                        ; implicit-def: $sgpr14_sgpr15
	s_nop 1
	v_cndmask_b32_e64 v35, 0, 1, vcc
	v_cmp_ne_u32_e32 vcc, v38, v39
	v_mov_b32_e32 v38, v44
	v_mov_b32_e32 v44, v47
	v_cndmask_b32_e64 v37, 0, 1, vcc
	v_cmp_ne_u32_e32 vcc, v39, v42
	s_nop 1
	v_cndmask_b32_e64 v39, 0, 1, vcc
	v_cmp_ne_u32_e32 vcc, v42, v43
	v_mov_b32_e32 v42, v46
	v_mov_b32_e32 v46, v50
	v_cndmask_b32_e64 v41, 0, 1, vcc
	v_cmp_ne_u32_e32 vcc, v43, v8
	v_mov_b32_e32 v50, v56
	s_nop 0
	v_cndmask_b32_e64 v43, 0, 1, vcc
	v_cmp_ne_u32_e32 vcc, v8, v9
	s_nop 1
	v_cndmask_b32_e64 v45, 0, 1, vcc
	v_cmp_ne_u32_e32 vcc, v9, v6
	;; [unrolled: 3-line block ×5, first 2 shown]
	s_nop 1
	v_cndmask_b32_e64 v53, 0, 1, vcc
.LBB45_111:
	v_mov_b64_e32 v[56:57], s[14:15]
	s_and_saveexec_b64 s[6:7], s[16:17]
	s_cbranch_execz .LBB45_113
; %bb.112:
	v_cndmask_b32_e64 v57, 0, 1, s[0:1]
	s_waitcnt lgkmcnt(0)
	v_mov_b32_e32 v56, v3
.LBB45_113:
	s_or_b64 exec, exec, s[6:7]
	s_mov_b32 s0, 0
	s_cmp_lg_u32 s67, 0
	v_or_b32_e32 v55, v57, v53
	v_lshrrev_b32_e32 v1, 5, v0
	v_cmp_gt_u32_e32 vcc, 64, v0
	s_waitcnt lgkmcnt(0)
	s_barrier
	s_cbranch_scc0 .LBB45_148
; %bb.114:
	s_mov_b32 s1, 1
	v_cmp_gt_u64_e64 s[6:7], s[0:1], v[12:13]
	v_cmp_gt_u64_e64 s[8:9], s[0:1], v[14:15]
	v_cmp_gt_u64_e64 s[10:11], s[0:1], v[16:17]
	s_waitcnt vmcnt(0)
	v_cndmask_b32_e64 v2, 0, v10, s[6:7]
	v_add_u32_e32 v2, v2, v12
	v_cndmask_b32_e64 v2, 0, v2, s[8:9]
	v_add_u32_e32 v2, v2, v14
	v_cndmask_b32_e64 v2, 0, v2, s[10:11]
	v_add_u32_e32 v2, v2, v16
	v_cmp_gt_u64_e64 s[12:13], s[0:1], v[18:19]
	v_cmp_gt_u64_e64 s[14:15], s[0:1], v[20:21]
	v_cmp_gt_u64_e64 s[16:17], s[0:1], v[22:23]
	v_cndmask_b32_e64 v2, 0, v2, s[12:13]
	v_add_u32_e32 v2, v2, v18
	v_cndmask_b32_e64 v2, 0, v2, s[14:15]
	v_add_u32_e32 v2, v2, v20
	v_cndmask_b32_e64 v2, 0, v2, s[16:17]
	v_add_u32_e32 v2, v2, v22
	v_cmp_gt_u64_e64 s[18:19], s[0:1], v[24:25]
	v_cmp_gt_u64_e64 s[20:21], s[0:1], v[26:27]
	v_cmp_gt_u64_e64 s[22:23], s[0:1], v[28:29]
	;; [unrolled: 9-line block ×6, first 2 shown]
	v_cndmask_b32_e64 v2, 0, v2, s[44:45]
	v_add_u32_e32 v2, v2, v48
	v_cndmask_b32_e64 v2, 0, v2, s[46:47]
	v_add_u32_e32 v2, v2, v50
	;; [unrolled: 2-line block ×3, first 2 shown]
	v_cmp_gt_u64_e64 s[50:51], s[0:1], v[56:57]
	s_nop 1
	v_cndmask_b32_e64 v2, 0, v2, s[50:51]
	v_add_u32_e32 v62, v2, v56
	v_or3_b32 v2, v55, v51, v49
	v_or3_b32 v2, v2, v47, v45
	;; [unrolled: 1-line block ×10, first 2 shown]
	v_and_b32_e32 v2, 1, v2
	v_cmp_eq_u32_e64 s[0:1], 1, v2
	v_add_lshl_u32 v2, v1, v0, 3
	s_nop 0
	v_cndmask_b32_e64 v63, v11, 1, s[0:1]
	ds_write_b32 v2, v62
	ds_write_b8 v2, v63 offset:4
	s_waitcnt lgkmcnt(0)
	s_barrier
	s_and_saveexec_b64 s[52:53], vcc
	s_cbranch_execz .LBB45_126
; %bb.115:
	v_lshrrev_b32_e32 v2, 3, v0
	v_add_lshl_u32 v4, v2, v54, 3
	ds_read2_b32 v[6:7], v4 offset0:2 offset1:4
	ds_read_b64 v[2:3], v4
	ds_read_u8 v8, v4 offset:12
	ds_read_u8 v9, v4 offset:20
	ds_read_b32 v58, v4 offset:24
	ds_read_u8 v59, v4 offset:28
	v_mov_b32_e32 v60, 0
	s_waitcnt lgkmcnt(3)
	v_cmp_eq_u16_sdwa s[0:1], v8, v60 src0_sel:BYTE_0 src1_sel:DWORD
	v_and_b32_e32 v5, 1, v3
	s_nop 0
	v_cndmask_b32_e64 v61, 0, v2, s[0:1]
	v_add_u32_e32 v6, v61, v6
	s_waitcnt lgkmcnt(2)
	v_cmp_eq_u16_sdwa s[0:1], v9, v60 src0_sel:BYTE_0 src1_sel:DWORD
	s_nop 1
	v_cndmask_b32_e64 v6, 0, v6, s[0:1]
	v_add_u32_e32 v6, v6, v7
	s_waitcnt lgkmcnt(0)
	v_cmp_eq_u16_e64 s[0:1], 0, v59
	s_nop 1
	v_cndmask_b32_e64 v6, 0, v6, s[0:1]
	v_add_u32_e32 v7, v6, v58
	v_or_b32_e32 v6, v59, v9
	v_or_b32_e32 v6, v6, v8
	v_and_b32_e32 v6, 1, v6
	v_cmp_eq_u32_e64 s[0:1], 1, v6
	v_mbcnt_lo_u32_b32 v8, -1, 0
	v_and_b32_e32 v6, 0xffffff00, v3
	v_cndmask_b32_e64 v9, v5, 1, s[0:1]
	v_mbcnt_hi_u32_b32 v8, -1, v8
	v_and_b32_e32 v59, 15, v8
	v_or_b32_sdwa v58, v6, v9 dst_sel:DWORD dst_unused:UNUSED_PAD src0_sel:DWORD src1_sel:WORD_0
	v_mov_b32_dpp v60, v7 row_shr:1 row_mask:0xf bank_mask:0xf
	v_cmp_ne_u32_e64 s[0:1], 0, v59
	v_mov_b32_dpp v61, v58 row_shr:1 row_mask:0xf bank_mask:0xf
	s_and_saveexec_b64 s[56:57], s[0:1]
; %bb.116:
	v_and_b32_e32 v58, 1, v9
	v_and_b32_e32 v61, 1, v61
	v_cmp_eq_u32_e64 s[0:1], 1, v58
	s_nop 1
	v_cndmask_b32_e64 v61, v61, 1, s[0:1]
	v_cmp_eq_u16_e64 s[0:1], 0, v9
	v_or_b32_sdwa v58, v6, v61 dst_sel:DWORD dst_unused:UNUSED_PAD src0_sel:DWORD src1_sel:WORD_0
	s_nop 0
	v_cndmask_b32_e64 v9, 0, v60, s[0:1]
	v_add_u32_e32 v7, v9, v7
	v_mov_b32_e32 v9, v61
; %bb.117:
	s_or_b64 exec, exec, s[56:57]
	v_mov_b32_dpp v60, v7 row_shr:2 row_mask:0xf bank_mask:0xf
	v_mov_b32_dpp v61, v58 row_shr:2 row_mask:0xf bank_mask:0xf
	v_cmp_lt_u32_e64 s[0:1], 1, v59
	s_and_saveexec_b64 s[56:57], s[0:1]
; %bb.118:
	v_and_b32_e32 v58, 1, v9
	v_and_b32_e32 v61, 1, v61
	v_cmp_eq_u32_e64 s[0:1], 1, v58
	s_nop 1
	v_cndmask_b32_e64 v61, v61, 1, s[0:1]
	v_cmp_eq_u16_e64 s[0:1], 0, v9
	v_or_b32_sdwa v58, v6, v61 dst_sel:DWORD dst_unused:UNUSED_PAD src0_sel:DWORD src1_sel:WORD_0
	s_nop 0
	v_cndmask_b32_e64 v9, 0, v60, s[0:1]
	v_add_u32_e32 v7, v9, v7
	v_mov_b32_e32 v9, v61
; %bb.119:
	s_or_b64 exec, exec, s[56:57]
	v_mov_b32_dpp v60, v7 row_shr:4 row_mask:0xf bank_mask:0xf
	v_mov_b32_dpp v61, v58 row_shr:4 row_mask:0xf bank_mask:0xf
	v_cmp_lt_u32_e64 s[0:1], 3, v59
	s_and_saveexec_b64 s[56:57], s[0:1]
; %bb.120:
	v_and_b32_e32 v58, 1, v9
	v_and_b32_e32 v61, 1, v61
	v_cmp_eq_u32_e64 s[0:1], 1, v58
	s_nop 1
	v_cndmask_b32_e64 v61, v61, 1, s[0:1]
	v_cmp_eq_u16_e64 s[0:1], 0, v9
	v_or_b32_sdwa v58, v6, v61 dst_sel:DWORD dst_unused:UNUSED_PAD src0_sel:DWORD src1_sel:WORD_0
	s_nop 0
	v_cndmask_b32_e64 v9, 0, v60, s[0:1]
	v_add_u32_e32 v7, v9, v7
	v_mov_b32_e32 v9, v61
; %bb.121:
	s_or_b64 exec, exec, s[56:57]
	v_mov_b32_dpp v60, v7 row_shr:8 row_mask:0xf bank_mask:0xf
	v_mov_b32_dpp v61, v58 row_shr:8 row_mask:0xf bank_mask:0xf
	v_cmp_lt_u32_e64 s[0:1], 7, v59
	s_and_saveexec_b64 s[56:57], s[0:1]
; %bb.122:
	v_and_b32_e32 v58, 1, v9
	v_and_b32_e32 v59, 1, v61
	v_cmp_eq_u32_e64 s[0:1], 1, v58
	s_nop 1
	v_cndmask_b32_e64 v59, v59, 1, s[0:1]
	v_cmp_eq_u16_e64 s[0:1], 0, v9
	v_or_b32_sdwa v58, v6, v59 dst_sel:DWORD dst_unused:UNUSED_PAD src0_sel:DWORD src1_sel:WORD_0
	s_nop 0
	v_cndmask_b32_e64 v9, 0, v60, s[0:1]
	v_add_u32_e32 v7, v9, v7
	v_mov_b32_e32 v9, v59
; %bb.123:
	s_or_b64 exec, exec, s[56:57]
	v_and_b32_e32 v61, 16, v8
	v_mov_b32_dpp v59, v7 row_bcast:15 row_mask:0xf bank_mask:0xf
	v_mov_b32_dpp v60, v58 row_bcast:15 row_mask:0xf bank_mask:0xf
	v_cmp_ne_u32_e64 s[0:1], 0, v61
	s_and_saveexec_b64 s[56:57], s[0:1]
; %bb.124:
	v_and_b32_e32 v58, 1, v9
	v_and_b32_e32 v60, 1, v60
	v_cmp_eq_u32_e64 s[0:1], 1, v58
	s_nop 1
	v_cndmask_b32_e64 v60, v60, 1, s[0:1]
	v_cmp_eq_u16_e64 s[0:1], 0, v9
	v_or_b32_sdwa v58, v6, v60 dst_sel:DWORD dst_unused:UNUSED_PAD src0_sel:DWORD src1_sel:WORD_0
	s_nop 0
	v_cndmask_b32_e64 v9, 0, v59, s[0:1]
	v_add_u32_e32 v7, v9, v7
	v_mov_b32_e32 v9, v60
; %bb.125:
	s_or_b64 exec, exec, s[56:57]
	v_mov_b32_dpp v58, v58 row_bcast:31 row_mask:0xf bank_mask:0xf
	v_and_b32_e32 v60, 1, v9
	v_and_b32_e32 v58, 1, v58
	v_cmp_eq_u32_e64 s[0:1], 1, v60
	v_mov_b32_e32 v60, 0
	v_cmp_eq_u16_sdwa s[56:57], v9, v60 src0_sel:BYTE_0 src1_sel:DWORD
	v_cndmask_b32_e64 v58, v58, 1, s[0:1]
	v_cmp_lt_u32_e64 s[0:1], 31, v8
	v_mov_b32_dpp v59, v7 row_bcast:31 row_mask:0xf bank_mask:0xf
	s_movk_i32 s62, 0xff
	v_cndmask_b32_e64 v9, v9, v58, s[0:1]
	s_and_b64 s[0:1], s[0:1], s[56:57]
	v_cndmask_b32_e64 v58, 0, v59, s[0:1]
	v_add_u32_e32 v7, v58, v7
	v_add_u32_e32 v58, -1, v8
	v_and_b32_e32 v59, 64, v8
	v_cmp_lt_i32_e64 s[0:1], v58, v59
	v_and_or_b32 v6, v9, s62, v6
	s_nop 0
	v_cndmask_b32_e64 v8, v58, v8, s[0:1]
	v_lshlrev_b32_e32 v8, 2, v8
	ds_bpermute_b32 v7, v8, v7
	ds_bpermute_b32 v6, v8, v6
	v_cmp_eq_u16_sdwa s[0:1], v3, v60 src0_sel:BYTE_0 src1_sel:DWORD
	; wave barrier
	s_waitcnt lgkmcnt(1)
	s_nop 0
	v_cndmask_b32_e64 v3, 0, v7, s[0:1]
	v_add_u32_e32 v2, v3, v2
	s_waitcnt lgkmcnt(0)
	v_and_b32_e32 v3, 1, v6
	v_cmp_eq_u32_e64 s[0:1], 1, v5
	v_cndmask_b32_e64 v5, v2, v62, s[54:55]
	s_nop 0
	v_cndmask_b32_e64 v3, v3, 1, s[0:1]
	v_cndmask_b32_e64 v6, v3, v63, s[54:55]
	ds_write_b32 v4, v5
	ds_write_b8 v4, v6 offset:4
	; wave barrier
	ds_read_u8 v7, v4 offset:12
	ds_read2_b32 v[2:3], v4 offset0:2 offset1:4
	ds_read_u8 v8, v4 offset:20
	ds_read_b32 v9, v4 offset:24
	ds_read_u8 v58, v4 offset:28
	s_waitcnt lgkmcnt(4)
	v_cmp_eq_u16_e64 s[0:1], 0, v7
	s_nop 1
	v_cndmask_b32_e64 v5, 0, v5, s[0:1]
	s_waitcnt lgkmcnt(3)
	v_add_u32_e32 v2, v5, v2
	v_and_b32_e32 v5, 1, v7
	v_cmp_eq_u32_e64 s[0:1], 1, v5
	s_nop 1
	v_cndmask_b32_e64 v5, v6, 1, s[0:1]
	s_waitcnt lgkmcnt(2)
	v_cmp_eq_u16_e64 s[0:1], 0, v8
	ds_write_b8 v4, v5 offset:12
	s_nop 0
	v_cndmask_b32_e64 v6, 0, v2, s[0:1]
	v_add_u32_e32 v3, v6, v3
	v_and_b32_e32 v6, 1, v8
	v_cmp_eq_u32_e64 s[0:1], 1, v6
	s_nop 1
	v_cndmask_b32_e64 v5, v5, 1, s[0:1]
	s_waitcnt lgkmcnt(1)
	v_cmp_eq_u16_e64 s[0:1], 0, v58
	ds_write2_b32 v4, v2, v3 offset0:2 offset1:4
	ds_write_b8 v4, v5 offset:20
	v_cndmask_b32_e64 v2, 0, v3, s[0:1]
	v_and_b32_e32 v3, 1, v58
	v_add_u32_e32 v2, v2, v9
	v_cmp_eq_u32_e64 s[0:1], 1, v3
	s_nop 1
	v_cndmask_b32_e64 v3, v5, 1, s[0:1]
	ds_write_b32 v4, v2 offset:24
	ds_write_b8 v4, v3 offset:28
.LBB45_126:
	s_or_b64 exec, exec, s[52:53]
	s_waitcnt lgkmcnt(0)
	s_barrier
	s_and_saveexec_b64 s[0:1], s[4:5]
	s_cbranch_execz .LBB45_128
; %bb.127:
	v_add_u32_e32 v2, -1, v0
	v_lshrrev_b32_e32 v3, 5, v2
	v_add_lshl_u32 v2, v3, v2, 3
	ds_read_b32 v62, v2
	ds_read_u8 v63, v2 offset:4
.LBB45_128:
	s_or_b64 exec, exec, s[0:1]
	s_and_saveexec_b64 s[56:57], vcc
	s_cbranch_execz .LBB45_147
; %bb.129:
	v_mov_b32_e32 v5, 0
	ds_read_b64 v[2:3], v5 offset:2096
	v_mbcnt_lo_u32_b32 v4, -1, 0
	v_mbcnt_hi_u32_b32 v73, -1, v4
	s_mov_b32 s63, 0
	v_cmp_eq_u32_e64 s[52:53], 0, v73
	s_waitcnt lgkmcnt(0)
	v_readfirstlane_b32 s76, v3
	s_and_saveexec_b64 s[0:1], s[52:53]
	s_cbranch_execz .LBB45_131
; %bb.130:
	s_add_i32 s62, s67, 64
	s_lshl_b64 s[74:75], s[62:63], 4
	s_add_u32 s74, s64, s74
	s_addc_u32 s75, s65, s75
	s_and_b32 s79, s76, 0xff000000
	s_mov_b32 s78, s63
	s_and_b32 s81, s76, 0xff0000
	s_mov_b32 s80, s63
	s_or_b64 s[78:79], s[80:81], s[78:79]
	s_and_b32 s81, s76, 0xff00
	s_or_b64 s[78:79], s[78:79], s[80:81]
	s_and_b32 s81, s76, 0xff
	s_or_b64 s[62:63], s[78:79], s[80:81]
	v_mov_b32_e32 v3, s63
	v_mov_b32_e32 v4, 1
	v_mov_b64_e32 v[6:7], s[74:75]
	;;#ASMSTART
	global_store_dwordx4 v[6:7], v[2:5] off sc1	
s_waitcnt vmcnt(0)
	;;#ASMEND
.LBB45_131:
	s_or_b64 exec, exec, s[0:1]
	v_xad_u32 v58, v73, -1, s67
	v_add_u32_e32 v4, 64, v58
	v_lshl_add_u64 v[60:61], v[4:5], 4, s[64:65]
	;;#ASMSTART
	global_load_dwordx4 v[6:9], v[60:61] off sc1	
s_waitcnt vmcnt(0)
	;;#ASMEND
	s_nop 0
	v_and_b32_e32 v3, 0xff0000, v6
	v_and_b32_e32 v4, 0xff000000, v6
	;; [unrolled: 1-line block ×3, first 2 shown]
	v_or_b32_sdwa v3, v6, v3 dst_sel:DWORD dst_unused:UNUSED_PAD src0_sel:WORD_0 src1_sel:DWORD
	v_or3_b32 v7, 0, 0, v7
	v_or3_b32 v6, v3, v4, 0
	v_cmp_eq_u16_sdwa s[62:63], v8, v5 src0_sel:BYTE_0 src1_sel:DWORD
	s_and_saveexec_b64 s[0:1], s[62:63]
	s_cbranch_execz .LBB45_135
; %bb.132:
	s_mov_b64 s[62:63], 0
	v_mov_b32_e32 v3, 0
.LBB45_133:                             ; =>This Inner Loop Header: Depth=1
	;;#ASMSTART
	global_load_dwordx4 v[6:9], v[60:61] off sc1	
s_waitcnt vmcnt(0)
	;;#ASMEND
	s_nop 0
	v_cmp_ne_u16_sdwa s[74:75], v8, v3 src0_sel:BYTE_0 src1_sel:DWORD
	s_or_b64 s[62:63], s[74:75], s[62:63]
	s_andn2_b64 exec, exec, s[62:63]
	s_cbranch_execnz .LBB45_133
; %bb.134:
	s_or_b64 exec, exec, s[62:63]
	v_and_b32_e32 v7, 0xff, v7
.LBB45_135:
	s_or_b64 exec, exec, s[0:1]
	v_mov_b32_e32 v3, 2
	v_cmp_eq_u16_sdwa s[0:1], v8, v3 src0_sel:BYTE_0 src1_sel:DWORD
	v_lshlrev_b64 v[4:5], v73, -1
	v_and_b32_e32 v64, 63, v73
	v_and_b32_e32 v9, s1, v5
	v_or_b32_e32 v9, 0x80000000, v9
	v_and_b32_e32 v59, s0, v4
	v_ffbl_b32_e32 v9, v9
	v_add_u32_e32 v9, 32, v9
	v_ffbl_b32_e32 v59, v59
	v_cmp_ne_u32_e32 vcc, 63, v64
	v_min_u32_e32 v9, v59, v9
	s_mov_b32 s62, 0
	v_addc_co_u32_e32 v59, vcc, 0, v73, vcc
	v_lshlrev_b32_e32 v65, 2, v59
	ds_bpermute_b32 v59, v65, v7
	ds_bpermute_b32 v60, v65, v6
	v_and_b32_e32 v61, 1, v7
	s_mov_b32 s63, 1
	v_cmp_eq_u32_e32 vcc, 1, v61
	s_waitcnt lgkmcnt(1)
	v_and_b32_e32 v59, 1, v59
	v_cmp_lt_u32_e64 s[0:1], v64, v9
	v_cndmask_b32_e64 v59, v59, 1, vcc
	v_cmp_gt_u64_e32 vcc, s[62:63], v[6:7]
	s_and_b64 vcc, s[0:1], vcc
	v_and_b32_e32 v61, 0xffff, v59
	v_cndmask_b32_e64 v68, v7, v59, s[0:1]
	s_waitcnt lgkmcnt(0)
	v_cndmask_b32_e32 v59, 0, v60, vcc
	v_cmp_gt_u32_e32 vcc, 62, v64
	v_cndmask_b32_e64 v7, v7, v61, s[0:1]
	v_add_u32_e32 v6, v59, v6
	v_cndmask_b32_e64 v60, 0, 1, vcc
	v_lshlrev_b32_e32 v60, 1, v60
	v_add_lshl_u32 v66, v60, v73, 2
	ds_bpermute_b32 v60, v66, v7
	ds_bpermute_b32 v61, v66, v6
	v_and_b32_e32 v59, 1, v68
	v_cmp_eq_u32_e32 vcc, 1, v59
	v_mov_b32_e32 v59, 0
	s_waitcnt lgkmcnt(1)
	v_and_b32_e32 v60, 1, v60
	v_add_u32_e32 v67, 2, v64
	v_cndmask_b32_e64 v60, v60, 1, vcc
	v_cmp_eq_u16_sdwa vcc, v68, v59 src0_sel:BYTE_0 src1_sel:DWORD
	v_and_b32_e32 v69, 0xffff, v60
	v_add_u32_e32 v77, 32, v64
	s_waitcnt lgkmcnt(0)
	v_cndmask_b32_e32 v61, 0, v61, vcc
	v_cmp_gt_u32_e32 vcc, v67, v9
	s_nop 1
	v_cndmask_b32_e32 v60, v60, v68, vcc
	v_cndmask_b32_e64 v61, v61, 0, vcc
	v_cndmask_b32_e32 v7, v69, v7, vcc
	v_cmp_gt_u32_e32 vcc, 60, v64
	v_add_u32_e32 v6, v61, v6
	v_and_b32_e32 v71, 1, v60
	v_cndmask_b32_e64 v68, 0, 1, vcc
	v_lshlrev_b32_e32 v68, 2, v68
	v_add_lshl_u32 v68, v68, v73, 2
	ds_bpermute_b32 v70, v68, v7
	ds_bpermute_b32 v61, v68, v6
	v_cmp_eq_u32_e32 vcc, 1, v71
	v_add_u32_e32 v69, 4, v64
	s_waitcnt lgkmcnt(1)
	v_and_b32_e32 v70, 1, v70
	v_cndmask_b32_e64 v70, v70, 1, vcc
	v_cmp_eq_u16_sdwa vcc, v60, v59 src0_sel:BYTE_0 src1_sel:DWORD
	v_and_b32_e32 v71, 0xffff, v70
	s_waitcnt lgkmcnt(0)
	v_cndmask_b32_e32 v61, 0, v61, vcc
	v_cmp_gt_u32_e32 vcc, v69, v9
	s_nop 1
	v_cndmask_b32_e32 v60, v70, v60, vcc
	v_cndmask_b32_e64 v61, v61, 0, vcc
	v_cndmask_b32_e32 v7, v71, v7, vcc
	v_cmp_gt_u32_e32 vcc, 56, v64
	v_add_u32_e32 v6, v61, v6
	v_and_b32_e32 v74, 1, v60
	v_cndmask_b32_e64 v70, 0, 1, vcc
	v_lshlrev_b32_e32 v70, 3, v70
	v_add_lshl_u32 v70, v70, v73, 2
	ds_bpermute_b32 v72, v70, v7
	ds_bpermute_b32 v61, v70, v6
	v_cmp_eq_u32_e32 vcc, 1, v74
	v_add_u32_e32 v71, 8, v64
	s_waitcnt lgkmcnt(1)
	v_and_b32_e32 v72, 1, v72
	v_cndmask_b32_e64 v72, v72, 1, vcc
	v_cmp_eq_u16_sdwa vcc, v60, v59 src0_sel:BYTE_0 src1_sel:DWORD
	v_and_b32_e32 v74, 0xffff, v72
	;; [unrolled: 22-line block ×3, first 2 shown]
	s_waitcnt lgkmcnt(0)
	v_cndmask_b32_e32 v61, 0, v61, vcc
	v_cmp_gt_u32_e32 vcc, v74, v9
	s_nop 1
	v_cndmask_b32_e32 v60, v75, v60, vcc
	v_cndmask_b32_e64 v61, v61, 0, vcc
	v_cndmask_b32_e32 v7, v76, v7, vcc
	v_cmp_gt_u32_e32 vcc, 32, v64
	v_add_u32_e32 v6, v61, v6
	s_nop 0
	v_cndmask_b32_e64 v75, 0, 1, vcc
	v_lshlrev_b32_e32 v75, 5, v75
	v_add_lshl_u32 v76, v75, v73, 2
	ds_bpermute_b32 v7, v76, v7
	ds_bpermute_b32 v61, v76, v6
	v_and_b32_e32 v73, 1, v60
	v_cmp_eq_u32_e32 vcc, 1, v73
	s_waitcnt lgkmcnt(1)
	v_and_b32_e32 v7, 1, v7
	v_cndmask_b32_e64 v7, v7, 1, vcc
	v_cmp_eq_u16_sdwa vcc, v60, v59 src0_sel:BYTE_0 src1_sel:DWORD
	s_waitcnt lgkmcnt(0)
	s_nop 0
	v_cndmask_b32_e32 v61, 0, v61, vcc
	v_cmp_gt_u32_e32 vcc, v77, v9
	s_nop 1
	v_cndmask_b32_e64 v9, v61, 0, vcc
	v_cndmask_b32_e32 v7, v7, v60, vcc
	v_add_u32_e32 v6, v9, v6
	s_branch .LBB45_137
.LBB45_136:                             ;   in Loop: Header=BB45_137 Depth=1
	s_or_b64 exec, exec, s[0:1]
	v_cmp_eq_u16_sdwa s[0:1], v8, v3 src0_sel:BYTE_0 src1_sel:DWORD
	ds_bpermute_b32 v61, v65, v7
	v_and_b32_e32 v78, 1, v7
	v_and_b32_e32 v9, s1, v5
	v_or_b32_e32 v9, 0x80000000, v9
	v_and_b32_e32 v60, s0, v4
	v_ffbl_b32_e32 v9, v9
	v_add_u32_e32 v9, 32, v9
	v_ffbl_b32_e32 v60, v60
	v_min_u32_e32 v9, v60, v9
	ds_bpermute_b32 v60, v65, v6
	s_waitcnt lgkmcnt(1)
	v_and_b32_e32 v61, 1, v61
	v_cmp_eq_u32_e32 vcc, 1, v78
	v_cmp_lt_u32_e64 s[0:1], v64, v9
	v_subrev_u32_e32 v58, 64, v58
	v_cndmask_b32_e64 v61, v61, 1, vcc
	v_cmp_gt_u64_e32 vcc, s[62:63], v[6:7]
	v_and_b32_e32 v78, 0xffff, v61
	v_cndmask_b32_e64 v61, v7, v61, s[0:1]
	v_cndmask_b32_e64 v7, v7, v78, s[0:1]
	s_and_b64 vcc, s[0:1], vcc
	ds_bpermute_b32 v78, v66, v7
	s_waitcnt lgkmcnt(1)
	v_cndmask_b32_e32 v60, 0, v60, vcc
	v_add_u32_e32 v6, v60, v6
	ds_bpermute_b32 v60, v66, v6
	v_and_b32_e32 v79, 1, v61
	s_waitcnt lgkmcnt(1)
	v_and_b32_e32 v78, 1, v78
	v_cmp_eq_u32_e32 vcc, 1, v79
	s_nop 1
	v_cndmask_b32_e64 v78, v78, 1, vcc
	v_cmp_eq_u16_sdwa vcc, v61, v59 src0_sel:BYTE_0 src1_sel:DWORD
	v_and_b32_e32 v79, 0xffff, v78
	s_waitcnt lgkmcnt(0)
	v_cndmask_b32_e32 v60, 0, v60, vcc
	v_cmp_gt_u32_e32 vcc, v67, v9
	s_nop 1
	v_cndmask_b32_e32 v7, v79, v7, vcc
	v_cndmask_b32_e32 v61, v78, v61, vcc
	ds_bpermute_b32 v78, v68, v7
	v_cndmask_b32_e64 v60, v60, 0, vcc
	v_add_u32_e32 v6, v60, v6
	ds_bpermute_b32 v60, v68, v6
	v_and_b32_e32 v79, 1, v61
	s_waitcnt lgkmcnt(1)
	v_and_b32_e32 v78, 1, v78
	v_cmp_eq_u32_e32 vcc, 1, v79
	s_nop 1
	v_cndmask_b32_e64 v78, v78, 1, vcc
	v_cmp_eq_u16_sdwa vcc, v61, v59 src0_sel:BYTE_0 src1_sel:DWORD
	v_and_b32_e32 v79, 0xffff, v78
	s_waitcnt lgkmcnt(0)
	v_cndmask_b32_e32 v60, 0, v60, vcc
	v_cmp_gt_u32_e32 vcc, v69, v9
	s_nop 1
	v_cndmask_b32_e32 v7, v79, v7, vcc
	v_cndmask_b32_e32 v61, v78, v61, vcc
	ds_bpermute_b32 v78, v70, v7
	v_cndmask_b32_e64 v60, v60, 0, vcc
	;; [unrolled: 18-line block ×3, first 2 shown]
	v_add_u32_e32 v6, v60, v6
	ds_bpermute_b32 v60, v72, v6
	v_and_b32_e32 v79, 1, v61
	s_waitcnt lgkmcnt(1)
	v_and_b32_e32 v78, 1, v78
	v_cmp_eq_u32_e32 vcc, 1, v79
	s_nop 1
	v_cndmask_b32_e64 v78, v78, 1, vcc
	v_cmp_eq_u16_sdwa vcc, v61, v59 src0_sel:BYTE_0 src1_sel:DWORD
	v_and_b32_e32 v79, 0xffff, v78
	s_waitcnt lgkmcnt(0)
	v_cndmask_b32_e32 v60, 0, v60, vcc
	v_cmp_gt_u32_e32 vcc, v74, v9
	s_nop 1
	v_cndmask_b32_e64 v60, v60, 0, vcc
	v_cndmask_b32_e32 v7, v79, v7, vcc
	ds_bpermute_b32 v7, v76, v7
	v_add_u32_e32 v6, v60, v6
	ds_bpermute_b32 v60, v76, v6
	v_cndmask_b32_e32 v61, v78, v61, vcc
	v_and_b32_e32 v78, 1, v61
	v_cmp_eq_u32_e32 vcc, 1, v78
	s_waitcnt lgkmcnt(1)
	s_nop 0
	v_cndmask_b32_e64 v7, v7, 1, vcc
	v_cmp_eq_u16_sdwa vcc, v61, v59 src0_sel:BYTE_0 src1_sel:DWORD
	s_waitcnt lgkmcnt(0)
	s_nop 0
	v_cndmask_b32_e32 v60, 0, v60, vcc
	v_cmp_gt_u32_e32 vcc, v77, v9
	s_nop 1
	v_cndmask_b32_e64 v9, v60, 0, vcc
	v_cndmask_b32_e32 v7, v7, v61, vcc
	v_add_u32_e32 v6, v9, v6
	v_cmp_eq_u16_sdwa vcc, v73, v59 src0_sel:BYTE_0 src1_sel:DWORD
	v_and_b32_e32 v9, 1, v73
	v_and_b32_e32 v7, 1, v7
	v_cndmask_b32_e32 v6, 0, v6, vcc
	v_cmp_eq_u32_e32 vcc, 1, v9
	v_add_u32_e32 v6, v6, v75
	s_nop 0
	v_cndmask_b32_e64 v7, v7, 1, vcc
.LBB45_137:                             ; =>This Loop Header: Depth=1
                                        ;     Child Loop BB45_140 Depth 2
	v_cmp_ne_u16_sdwa s[0:1], v8, v3 src0_sel:BYTE_0 src1_sel:DWORD
	v_mov_b32_e32 v73, v7
	v_mov_b32_e32 v75, v6
	v_cndmask_b32_e64 v7, 0, 1, s[0:1]
	;;#ASMSTART
	;;#ASMEND
	s_nop 0
	v_cmp_ne_u32_e32 vcc, 0, v7
	s_cmp_lg_u64 vcc, exec
	s_cbranch_scc1 .LBB45_142
; %bb.138:                              ;   in Loop: Header=BB45_137 Depth=1
	v_lshl_add_u64 v[60:61], v[58:59], 4, s[64:65]
	;;#ASMSTART
	global_load_dwordx4 v[6:9], v[60:61] off sc1	
s_waitcnt vmcnt(0)
	;;#ASMEND
	s_nop 0
	v_and_b32_e32 v9, 0xff0000, v6
	v_and_b32_e32 v78, 0xff000000, v6
	v_and_b32_e32 v7, 0xff, v7
	v_or_b32_sdwa v6, v6, v9 dst_sel:DWORD dst_unused:UNUSED_PAD src0_sel:WORD_0 src1_sel:DWORD
	v_or3_b32 v7, 0, 0, v7
	v_or3_b32 v6, v6, v78, 0
	v_cmp_eq_u16_sdwa s[74:75], v8, v59 src0_sel:BYTE_0 src1_sel:DWORD
	s_and_saveexec_b64 s[0:1], s[74:75]
	s_cbranch_execz .LBB45_136
; %bb.139:                              ;   in Loop: Header=BB45_137 Depth=1
	s_mov_b64 s[74:75], 0
.LBB45_140:                             ;   Parent Loop BB45_137 Depth=1
                                        ; =>  This Inner Loop Header: Depth=2
	;;#ASMSTART
	global_load_dwordx4 v[6:9], v[60:61] off sc1	
s_waitcnt vmcnt(0)
	;;#ASMEND
	s_nop 0
	v_cmp_ne_u16_sdwa s[78:79], v8, v59 src0_sel:BYTE_0 src1_sel:DWORD
	s_or_b64 s[74:75], s[78:79], s[74:75]
	s_andn2_b64 exec, exec, s[74:75]
	s_cbranch_execnz .LBB45_140
; %bb.141:                              ;   in Loop: Header=BB45_137 Depth=1
	s_or_b64 exec, exec, s[74:75]
	v_and_b32_e32 v7, 0xff, v7
	s_branch .LBB45_136
.LBB45_142:                             ;   in Loop: Header=BB45_137 Depth=1
                                        ; implicit-def: $vgpr7
                                        ; implicit-def: $vgpr6
                                        ; implicit-def: $vgpr8
	s_cbranch_execz .LBB45_137
; %bb.143:
	s_and_saveexec_b64 s[0:1], s[52:53]
	s_cbranch_execz .LBB45_145
; %bb.144:
	s_and_b32 s52, s76, 0xff
	s_cmp_eq_u32 s52, 0
	s_cselect_b64 vcc, -1, 0
	s_bitcmp1_b32 s76, 0
	s_mov_b32 s53, 0
	s_cselect_b64 s[62:63], -1, 0
	s_add_i32 s52, s67, 64
	s_lshl_b64 s[52:53], s[52:53], 4
	v_cndmask_b32_e32 v3, 0, v75, vcc
	s_add_u32 s52, s64, s52
	v_add_u32_e32 v2, v3, v2
	v_and_b32_e32 v3, 1, v73
	s_addc_u32 s53, s65, s53
	v_mov_b32_e32 v5, 0
	v_cndmask_b32_e64 v3, v3, 1, s[62:63]
	v_mov_b32_e32 v4, 2
	v_mov_b64_e32 v[6:7], s[52:53]
	;;#ASMSTART
	global_store_dwordx4 v[6:7], v[2:5] off sc1	
s_waitcnt vmcnt(0)
	;;#ASMEND
.LBB45_145:
	s_or_b64 exec, exec, s[0:1]
	s_and_b64 exec, exec, s[54:55]
	s_cbranch_execz .LBB45_147
; %bb.146:
	v_mov_b32_e32 v2, 0
	ds_write_b32 v2, v75
	ds_write_b8 v2, v73 offset:4
.LBB45_147:
	s_or_b64 exec, exec, s[56:57]
	s_mov_b32 s0, 0
	v_mov_b32_e32 v2, 0
	s_mov_b32 s1, 1
	s_waitcnt lgkmcnt(0)
	s_barrier
	ds_read_b32 v3, v2
	v_cmp_gt_u64_e32 vcc, s[0:1], v[10:11]
	v_and_b32_e32 v5, 1, v11
	v_and_b32_e32 v6, 1, v63
	v_cndmask_b32_e32 v4, 0, v62, vcc
	v_cmp_eq_u32_e32 vcc, 1, v5
	v_cndmask_b32_e64 v4, v4, 0, s[54:55]
	s_nop 0
	v_cndmask_b32_e64 v5, v6, 1, vcc
	v_cndmask_b32_e64 v5, v5, v11, s[54:55]
	v_cmp_eq_u16_sdwa vcc, v5, v2 src0_sel:BYTE_0 src1_sel:DWORD
	s_waitcnt lgkmcnt(0)
	s_nop 0
	v_cndmask_b32_e32 v2, 0, v3, vcc
	v_add3_u32 v80, v4, v10, v2
	v_cndmask_b32_e64 v2, 0, v80, s[6:7]
	v_add_u32_e32 v58, v2, v12
	v_cndmask_b32_e64 v2, 0, v58, s[8:9]
	v_add_u32_e32 v59, v2, v14
	;; [unrolled: 2-line block ×22, first 2 shown]
	s_branch .LBB45_168
.LBB45_148:
                                        ; implicit-def: $vgpr78
                                        ; implicit-def: $vgpr77
                                        ; implicit-def: $vgpr76
                                        ; implicit-def: $vgpr75
                                        ; implicit-def: $vgpr74
                                        ; implicit-def: $vgpr73
                                        ; implicit-def: $vgpr72
                                        ; implicit-def: $vgpr71
                                        ; implicit-def: $vgpr70
                                        ; implicit-def: $vgpr69
                                        ; implicit-def: $vgpr68
                                        ; implicit-def: $vgpr67
                                        ; implicit-def: $vgpr66
                                        ; implicit-def: $vgpr65
                                        ; implicit-def: $vgpr64
                                        ; implicit-def: $vgpr63
                                        ; implicit-def: $vgpr62
                                        ; implicit-def: $vgpr61
                                        ; implicit-def: $vgpr60
                                        ; implicit-def: $vgpr59
                                        ; implicit-def: $vgpr58
                                        ; implicit-def: $vgpr80
                                        ; implicit-def: $vgpr79
	s_cbranch_execz .LBB45_168
; %bb.149:
	s_cmp_lg_u64 s[72:73], 0
	s_cselect_b32 s9, s59, 0
	s_cselect_b32 s8, s58, 0
	s_cmp_lg_u64 s[8:9], 0
	s_cselect_b64 s[6:7], -1, 0
	s_mov_b32 s0, 0
	s_and_b64 s[10:11], s[54:55], s[6:7]
	s_and_saveexec_b64 s[6:7], s[10:11]
	s_cbranch_execz .LBB45_151
; %bb.150:
	s_waitcnt vmcnt(0)
	v_mov_b32_e32 v2, 0
	global_load_dword v4, v2, s[8:9]
	global_load_ubyte v5, v2, s[8:9] offset:4
	s_mov_b32 s1, 1
	v_and_b32_e32 v3, 1, v11
	v_cmp_gt_u64_e32 vcc, s[0:1], v[10:11]
	s_waitcnt vmcnt(0)
	v_and_b32_e32 v5, 1, v5
	v_cndmask_b32_e32 v4, 0, v4, vcc
	v_cmp_eq_u64_e32 vcc, 0, v[2:3]
	v_add_u32_e32 v10, v4, v10
	s_nop 0
	v_cndmask_b32_e32 v11, 1, v5, vcc
.LBB45_151:
	s_or_b64 exec, exec, s[6:7]
	s_mov_b32 s1, 1
	v_cmp_gt_u64_e32 vcc, s[0:1], v[12:13]
	v_cmp_gt_u64_e64 s[6:7], s[0:1], v[14:15]
	v_cmp_gt_u64_e64 s[8:9], s[0:1], v[16:17]
	s_waitcnt vmcnt(0)
	v_cndmask_b32_e32 v2, 0, v10, vcc
	v_add_u32_e32 v58, v2, v12
	v_cndmask_b32_e64 v2, 0, v58, s[6:7]
	v_add_u32_e32 v59, v2, v14
	v_cndmask_b32_e64 v2, 0, v59, s[8:9]
	v_add_u32_e32 v60, v2, v16
	v_cmp_gt_u64_e64 s[10:11], s[0:1], v[18:19]
	v_cmp_gt_u64_e64 s[12:13], s[0:1], v[20:21]
	v_cmp_gt_u64_e64 s[14:15], s[0:1], v[22:23]
	v_cndmask_b32_e64 v2, 0, v60, s[10:11]
	v_add_u32_e32 v61, v2, v18
	v_cndmask_b32_e64 v2, 0, v61, s[12:13]
	v_add_u32_e32 v62, v2, v20
	v_cndmask_b32_e64 v2, 0, v62, s[14:15]
	v_add_u32_e32 v63, v2, v22
	v_cmp_gt_u64_e64 s[16:17], s[0:1], v[24:25]
	v_cmp_gt_u64_e64 s[18:19], s[0:1], v[26:27]
	v_cmp_gt_u64_e64 s[20:21], s[0:1], v[28:29]
	v_cndmask_b32_e64 v2, 0, v63, s[16:17]
	;; [unrolled: 9-line block ×6, first 2 shown]
	v_add_u32_e32 v76, v2, v48
	v_cndmask_b32_e64 v2, 0, v76, s[44:45]
	v_add_u32_e32 v77, v2, v50
	v_cndmask_b32_e64 v2, 0, v77, s[46:47]
	v_add_u32_e32 v78, v2, v52
	v_cmp_gt_u64_e64 s[48:49], s[0:1], v[56:57]
	v_add_lshl_u32 v1, v1, v0, 3
	s_nop 0
	v_cndmask_b32_e64 v2, 0, v78, s[48:49]
	v_add_u32_e32 v79, v2, v56
	v_or3_b32 v2, v55, v51, v49
	v_or3_b32 v2, v2, v47, v45
	;; [unrolled: 1-line block ×10, first 2 shown]
	v_and_b32_e32 v2, 1, v2
	v_cmp_eq_u32_e64 s[0:1], 1, v2
	s_nop 1
	v_cndmask_b32_e64 v4, v11, 1, s[0:1]
	v_cmp_gt_u32_e64 s[0:1], 64, v0
	ds_write_b32 v1, v79
	ds_write_b8 v1, v4 offset:4
	s_waitcnt lgkmcnt(0)
	s_barrier
	s_and_saveexec_b64 s[50:51], s[0:1]
	s_cbranch_execz .LBB45_163
; %bb.152:
	v_lshrrev_b32_e32 v1, 3, v0
	v_add_lshl_u32 v1, v1, v54, 3
	ds_read2_b32 v[6:7], v1 offset0:2 offset1:4
	ds_read_b64 v[2:3], v1
	ds_read_u8 v8, v1 offset:12
	ds_read_u8 v9, v1 offset:20
	ds_read_b32 v13, v1 offset:24
	ds_read_u8 v15, v1 offset:28
	v_mov_b32_e32 v17, 0
	s_waitcnt lgkmcnt(3)
	v_cmp_eq_u16_sdwa s[0:1], v8, v17 src0_sel:BYTE_0 src1_sel:DWORD
	v_and_b32_e32 v5, 1, v3
	s_nop 0
	v_cndmask_b32_e64 v19, 0, v2, s[0:1]
	v_add_u32_e32 v6, v19, v6
	s_waitcnt lgkmcnt(2)
	v_cmp_eq_u16_sdwa s[0:1], v9, v17 src0_sel:BYTE_0 src1_sel:DWORD
	s_nop 1
	v_cndmask_b32_e64 v6, 0, v6, s[0:1]
	v_add_u32_e32 v6, v6, v7
	s_waitcnt lgkmcnt(0)
	v_cmp_eq_u16_e64 s[0:1], 0, v15
	s_nop 1
	v_cndmask_b32_e64 v6, 0, v6, s[0:1]
	v_add_u32_e32 v7, v6, v13
	v_or_b32_e32 v6, v15, v9
	v_or_b32_e32 v6, v6, v8
	v_and_b32_e32 v6, 1, v6
	v_cmp_eq_u32_e64 s[0:1], 1, v6
	v_mbcnt_lo_u32_b32 v8, -1, 0
	v_and_b32_e32 v6, 0xffffff00, v3
	v_cndmask_b32_e64 v9, v5, 1, s[0:1]
	v_mbcnt_hi_u32_b32 v8, -1, v8
	v_and_b32_e32 v15, 15, v8
	v_or_b32_sdwa v13, v6, v9 dst_sel:DWORD dst_unused:UNUSED_PAD src0_sel:DWORD src1_sel:WORD_0
	v_mov_b32_dpp v17, v7 row_shr:1 row_mask:0xf bank_mask:0xf
	v_cmp_ne_u32_e64 s[0:1], 0, v15
	v_mov_b32_dpp v19, v13 row_shr:1 row_mask:0xf bank_mask:0xf
	s_and_saveexec_b64 s[52:53], s[0:1]
; %bb.153:
	v_and_b32_e32 v13, 1, v9
	v_and_b32_e32 v19, 1, v19
	v_cmp_eq_u32_e64 s[0:1], 1, v13
	s_nop 1
	v_cndmask_b32_e64 v19, v19, 1, s[0:1]
	v_cmp_eq_u16_e64 s[0:1], 0, v9
	v_or_b32_sdwa v13, v6, v19 dst_sel:DWORD dst_unused:UNUSED_PAD src0_sel:DWORD src1_sel:WORD_0
	s_nop 0
	v_cndmask_b32_e64 v9, 0, v17, s[0:1]
	v_add_u32_e32 v7, v9, v7
	v_mov_b32_e32 v9, v19
; %bb.154:
	s_or_b64 exec, exec, s[52:53]
	v_mov_b32_dpp v17, v7 row_shr:2 row_mask:0xf bank_mask:0xf
	v_mov_b32_dpp v19, v13 row_shr:2 row_mask:0xf bank_mask:0xf
	v_cmp_lt_u32_e64 s[0:1], 1, v15
	s_and_saveexec_b64 s[52:53], s[0:1]
; %bb.155:
	v_and_b32_e32 v13, 1, v9
	v_and_b32_e32 v19, 1, v19
	v_cmp_eq_u32_e64 s[0:1], 1, v13
	s_nop 1
	v_cndmask_b32_e64 v19, v19, 1, s[0:1]
	v_cmp_eq_u16_e64 s[0:1], 0, v9
	v_or_b32_sdwa v13, v6, v19 dst_sel:DWORD dst_unused:UNUSED_PAD src0_sel:DWORD src1_sel:WORD_0
	s_nop 0
	v_cndmask_b32_e64 v9, 0, v17, s[0:1]
	v_add_u32_e32 v7, v9, v7
	v_mov_b32_e32 v9, v19
; %bb.156:
	s_or_b64 exec, exec, s[52:53]
	v_mov_b32_dpp v17, v7 row_shr:4 row_mask:0xf bank_mask:0xf
	v_mov_b32_dpp v19, v13 row_shr:4 row_mask:0xf bank_mask:0xf
	v_cmp_lt_u32_e64 s[0:1], 3, v15
	;; [unrolled: 18-line block ×3, first 2 shown]
	s_and_saveexec_b64 s[52:53], s[0:1]
; %bb.159:
	v_and_b32_e32 v13, 1, v9
	v_and_b32_e32 v15, 1, v19
	v_cmp_eq_u32_e64 s[0:1], 1, v13
	s_nop 1
	v_cndmask_b32_e64 v15, v15, 1, s[0:1]
	v_cmp_eq_u16_e64 s[0:1], 0, v9
	v_or_b32_sdwa v13, v6, v15 dst_sel:DWORD dst_unused:UNUSED_PAD src0_sel:DWORD src1_sel:WORD_0
	s_nop 0
	v_cndmask_b32_e64 v9, 0, v17, s[0:1]
	v_add_u32_e32 v7, v9, v7
	v_mov_b32_e32 v9, v15
; %bb.160:
	s_or_b64 exec, exec, s[52:53]
	v_and_b32_e32 v19, 16, v8
	v_mov_b32_dpp v15, v7 row_bcast:15 row_mask:0xf bank_mask:0xf
	v_mov_b32_dpp v17, v13 row_bcast:15 row_mask:0xf bank_mask:0xf
	v_cmp_ne_u32_e64 s[0:1], 0, v19
	s_and_saveexec_b64 s[52:53], s[0:1]
; %bb.161:
	v_and_b32_e32 v13, 1, v9
	v_and_b32_e32 v17, 1, v17
	v_cmp_eq_u32_e64 s[0:1], 1, v13
	s_nop 1
	v_cndmask_b32_e64 v17, v17, 1, s[0:1]
	v_cmp_eq_u16_e64 s[0:1], 0, v9
	v_or_b32_sdwa v13, v6, v17 dst_sel:DWORD dst_unused:UNUSED_PAD src0_sel:DWORD src1_sel:WORD_0
	s_nop 0
	v_cndmask_b32_e64 v9, 0, v15, s[0:1]
	v_add_u32_e32 v7, v9, v7
	v_mov_b32_e32 v9, v17
; %bb.162:
	s_or_b64 exec, exec, s[52:53]
	v_mov_b32_dpp v13, v13 row_bcast:31 row_mask:0xf bank_mask:0xf
	v_and_b32_e32 v17, 1, v9
	v_and_b32_e32 v13, 1, v13
	v_cmp_eq_u32_e64 s[0:1], 1, v17
	v_mov_b32_e32 v17, 0
	v_cmp_eq_u16_sdwa s[52:53], v9, v17 src0_sel:BYTE_0 src1_sel:DWORD
	v_cndmask_b32_e64 v13, v13, 1, s[0:1]
	v_cmp_lt_u32_e64 s[0:1], 31, v8
	v_mov_b32_dpp v15, v7 row_bcast:31 row_mask:0xf bank_mask:0xf
	s_movk_i32 s56, 0xff
	v_cndmask_b32_e64 v9, v9, v13, s[0:1]
	s_and_b64 s[0:1], s[0:1], s[52:53]
	v_cndmask_b32_e64 v13, 0, v15, s[0:1]
	v_add_u32_e32 v7, v13, v7
	v_add_u32_e32 v13, -1, v8
	v_and_b32_e32 v15, 64, v8
	v_cmp_lt_i32_e64 s[0:1], v13, v15
	v_and_or_b32 v6, v9, s56, v6
	s_nop 0
	v_cndmask_b32_e64 v8, v13, v8, s[0:1]
	v_lshlrev_b32_e32 v8, 2, v8
	ds_bpermute_b32 v7, v8, v7
	ds_bpermute_b32 v6, v8, v6
	v_cmp_eq_u16_sdwa s[0:1], v3, v17 src0_sel:BYTE_0 src1_sel:DWORD
	; wave barrier
	s_waitcnt lgkmcnt(1)
	s_nop 0
	v_cndmask_b32_e64 v3, 0, v7, s[0:1]
	v_add_u32_e32 v2, v3, v2
	s_waitcnt lgkmcnt(0)
	v_and_b32_e32 v3, 1, v6
	v_cmp_eq_u32_e64 s[0:1], 1, v5
	v_cndmask_b32_e64 v5, v2, v79, s[54:55]
	s_nop 0
	v_cndmask_b32_e64 v3, v3, 1, s[0:1]
	v_cndmask_b32_e64 v4, v3, v4, s[54:55]
	ds_write_b32 v1, v5
	ds_write_b8 v1, v4 offset:4
	; wave barrier
	ds_read_u8 v6, v1 offset:12
	ds_read2_b32 v[2:3], v1 offset0:2 offset1:4
	ds_read_u8 v7, v1 offset:20
	ds_read_b32 v8, v1 offset:24
	ds_read_u8 v9, v1 offset:28
	s_waitcnt lgkmcnt(4)
	v_cmp_eq_u16_e64 s[0:1], 0, v6
	s_nop 1
	v_cndmask_b32_e64 v5, 0, v5, s[0:1]
	s_waitcnt lgkmcnt(3)
	v_add_u32_e32 v2, v5, v2
	v_and_b32_e32 v5, 1, v6
	v_cmp_eq_u32_e64 s[0:1], 1, v5
	s_nop 1
	v_cndmask_b32_e64 v4, v4, 1, s[0:1]
	s_waitcnt lgkmcnt(2)
	v_cmp_eq_u16_e64 s[0:1], 0, v7
	ds_write_b8 v1, v4 offset:12
	s_nop 0
	v_cndmask_b32_e64 v5, 0, v2, s[0:1]
	v_add_u32_e32 v3, v5, v3
	v_and_b32_e32 v5, 1, v7
	v_cmp_eq_u32_e64 s[0:1], 1, v5
	s_nop 1
	v_cndmask_b32_e64 v4, v4, 1, s[0:1]
	s_waitcnt lgkmcnt(1)
	v_cmp_eq_u16_e64 s[0:1], 0, v9
	ds_write2_b32 v1, v2, v3 offset0:2 offset1:4
	ds_write_b8 v1, v4 offset:20
	v_cndmask_b32_e64 v2, 0, v3, s[0:1]
	v_and_b32_e32 v3, 1, v9
	v_add_u32_e32 v2, v2, v8
	v_cmp_eq_u32_e64 s[0:1], 1, v3
	s_nop 1
	v_cndmask_b32_e64 v3, v4, 1, s[0:1]
	ds_write_b32 v1, v2 offset:24
	ds_write_b8 v1, v3 offset:28
.LBB45_163:
	s_or_b64 exec, exec, s[50:51]
	v_mov_b32_e32 v1, v79
	s_waitcnt lgkmcnt(0)
	s_barrier
	s_and_saveexec_b64 s[0:1], s[4:5]
	s_cbranch_execnz .LBB45_219
; %bb.164:
	s_or_b64 exec, exec, s[0:1]
	s_and_saveexec_b64 s[50:51], s[4:5]
	s_cbranch_execnz .LBB45_220
.LBB45_165:
	s_or_b64 exec, exec, s[50:51]
	s_and_saveexec_b64 s[0:1], s[54:55]
	s_cbranch_execz .LBB45_167
.LBB45_166:
	v_mov_b32_e32 v5, 0
	ds_read_b32 v2, v5 offset:2096
	ds_read_u8 v3, v5 offset:2100
	s_add_u32 s4, s64, 0x400
	s_addc_u32 s5, s65, 0
	v_mov_b32_e32 v4, 2
	v_mov_b64_e32 v[6:7], s[4:5]
	s_waitcnt lgkmcnt(0)
	;;#ASMSTART
	global_store_dwordx4 v[6:7], v[2:5] off sc1	
s_waitcnt vmcnt(0)
	;;#ASMEND
.LBB45_167:
	s_or_b64 exec, exec, s[0:1]
	v_mov_b32_e32 v80, v10
.LBB45_168:
	s_add_u32 s0, s68, s70
	s_addc_u32 s1, s69, s71
	s_add_u32 s0, s0, s60
	s_addc_u32 s1, s1, s61
	s_and_b64 vcc, exec, s[2:3]
	s_cbranch_vccz .LBB45_214
; %bb.169:
	s_movk_i32 s2, 0x5c
	v_mul_i32_i24_e32 v26, 0xffffffa8, v0
	s_waitcnt lgkmcnt(0)
	v_mul_u32_u24_e32 v1, 0x5c, v0
	s_waitcnt vmcnt(0)
	v_mad_u32_u24 v2, v0, s2, v26
	s_barrier
	ds_write2_b32 v1, v80, v58 offset1:1
	ds_write2_b32 v1, v59, v60 offset0:2 offset1:3
	ds_write2_b32 v1, v61, v62 offset0:4 offset1:5
	;; [unrolled: 1-line block ×10, first 2 shown]
	ds_write_b32 v1, v79 offset:88
	s_waitcnt lgkmcnt(0)
	s_barrier
	ds_read2st64_b32 v[24:25], v2 offset0:4 offset1:8
	ds_read2st64_b32 v[22:23], v2 offset0:12 offset1:16
	;; [unrolled: 1-line block ×11, first 2 shown]
	s_add_i32 s33, s33, s66
	v_mov_b32_e32 v55, 0
	v_lshl_add_u64 v[4:5], s[0:1], 0, v[54:55]
	v_cmp_gt_u32_e32 vcc, s33, v0
	s_and_saveexec_b64 s[2:3], vcc
	s_cbranch_execz .LBB45_171
; %bb.170:
	v_add_u32_e32 v1, v1, v26
	ds_read_b32 v1, v1
	s_waitcnt lgkmcnt(0)
	global_store_dword v[4:5], v1, off
.LBB45_171:
	s_or_b64 exec, exec, s[2:3]
	v_or_b32_e32 v1, 0x100, v0
	v_cmp_gt_u32_e32 vcc, s33, v1
	s_and_saveexec_b64 s[2:3], vcc
	s_cbranch_execz .LBB45_173
; %bb.172:
	s_waitcnt lgkmcnt(10)
	global_store_dword v[4:5], v24, off offset:1024
.LBB45_173:
	s_or_b64 exec, exec, s[2:3]
	v_or_b32_e32 v1, 0x200, v0
	v_cmp_gt_u32_e32 vcc, s33, v1
	s_and_saveexec_b64 s[2:3], vcc
	s_cbranch_execz .LBB45_175
; %bb.174:
	s_waitcnt lgkmcnt(10)
	global_store_dword v[4:5], v25, off offset:2048
.LBB45_175:
	;; [unrolled: 9-line block ×3, first 2 shown]
	s_or_b64 exec, exec, s[2:3]
	v_or_b32_e32 v1, 0x400, v0
	v_cmp_gt_u32_e32 vcc, s33, v1
	s_and_saveexec_b64 s[2:3], vcc
	s_cbranch_execz .LBB45_179
; %bb.178:
	s_waitcnt lgkmcnt(10)
	v_add_co_u32_e32 v24, vcc, 0x1000, v4
	s_nop 1
	v_addc_co_u32_e32 v25, vcc, 0, v5, vcc
	s_waitcnt lgkmcnt(9)
	global_store_dword v[24:25], v23, off
.LBB45_179:
	s_or_b64 exec, exec, s[2:3]
	v_or_b32_e32 v1, 0x500, v0
	v_cmp_gt_u32_e32 vcc, s33, v1
	s_and_saveexec_b64 s[2:3], vcc
	s_cbranch_execz .LBB45_181
; %bb.180:
	s_waitcnt lgkmcnt(9)
	v_add_co_u32_e32 v22, vcc, 0x1000, v4
	s_nop 1
	v_addc_co_u32_e32 v23, vcc, 0, v5, vcc
	s_waitcnt lgkmcnt(8)
	global_store_dword v[22:23], v20, off offset:1024
.LBB45_181:
	s_or_b64 exec, exec, s[2:3]
	v_or_b32_e32 v1, 0x600, v0
	v_cmp_gt_u32_e32 vcc, s33, v1
	s_and_saveexec_b64 s[2:3], vcc
	s_cbranch_execz .LBB45_183
; %bb.182:
	s_waitcnt lgkmcnt(9)
	v_add_co_u32_e32 v22, vcc, 0x1000, v4
	s_nop 1
	v_addc_co_u32_e32 v23, vcc, 0, v5, vcc
	s_waitcnt lgkmcnt(8)
	global_store_dword v[22:23], v21, off offset:2048
.LBB45_183:
	s_or_b64 exec, exec, s[2:3]
	v_or_b32_e32 v1, 0x700, v0
	v_cmp_gt_u32_e32 vcc, s33, v1
	s_and_saveexec_b64 s[2:3], vcc
	s_cbranch_execz .LBB45_185
; %bb.184:
	s_waitcnt lgkmcnt(8)
	v_add_co_u32_e32 v20, vcc, 0x1000, v4
	s_nop 1
	v_addc_co_u32_e32 v21, vcc, 0, v5, vcc
	s_waitcnt lgkmcnt(7)
	global_store_dword v[20:21], v18, off offset:3072
.LBB45_185:
	s_or_b64 exec, exec, s[2:3]
	v_or_b32_e32 v1, 0x800, v0
	v_cmp_gt_u32_e32 vcc, s33, v1
	s_and_saveexec_b64 s[2:3], vcc
	s_cbranch_execz .LBB45_187
; %bb.186:
	s_waitcnt lgkmcnt(8)
	v_add_co_u32_e32 v20, vcc, 0x2000, v4
	s_nop 1
	v_addc_co_u32_e32 v21, vcc, 0, v5, vcc
	s_waitcnt lgkmcnt(7)
	global_store_dword v[20:21], v19, off
.LBB45_187:
	s_or_b64 exec, exec, s[2:3]
	v_or_b32_e32 v1, 0x900, v0
	v_cmp_gt_u32_e32 vcc, s33, v1
	s_and_saveexec_b64 s[2:3], vcc
	s_cbranch_execz .LBB45_189
; %bb.188:
	s_waitcnt lgkmcnt(7)
	v_add_co_u32_e32 v18, vcc, 0x2000, v4
	s_nop 1
	v_addc_co_u32_e32 v19, vcc, 0, v5, vcc
	s_waitcnt lgkmcnt(6)
	global_store_dword v[18:19], v16, off offset:1024
.LBB45_189:
	s_or_b64 exec, exec, s[2:3]
	v_or_b32_e32 v1, 0xa00, v0
	v_cmp_gt_u32_e32 vcc, s33, v1
	s_and_saveexec_b64 s[2:3], vcc
	s_cbranch_execz .LBB45_191
; %bb.190:
	s_waitcnt lgkmcnt(7)
	v_add_co_u32_e32 v18, vcc, 0x2000, v4
	s_nop 1
	v_addc_co_u32_e32 v19, vcc, 0, v5, vcc
	s_waitcnt lgkmcnt(6)
	global_store_dword v[18:19], v17, off offset:2048
.LBB45_191:
	s_or_b64 exec, exec, s[2:3]
	v_or_b32_e32 v1, 0xb00, v0
	v_cmp_gt_u32_e32 vcc, s33, v1
	s_and_saveexec_b64 s[2:3], vcc
	s_cbranch_execz .LBB45_193
; %bb.192:
	s_waitcnt lgkmcnt(6)
	v_add_co_u32_e32 v16, vcc, 0x2000, v4
	s_nop 1
	v_addc_co_u32_e32 v17, vcc, 0, v5, vcc
	s_waitcnt lgkmcnt(5)
	global_store_dword v[16:17], v14, off offset:3072
.LBB45_193:
	;; [unrolled: 52-line block ×4, first 2 shown]
	s_or_b64 exec, exec, s[2:3]
	v_or_b32_e32 v1, 0x1400, v0
	v_cmp_gt_u32_e32 vcc, s33, v1
	s_and_saveexec_b64 s[2:3], vcc
	s_cbranch_execz .LBB45_211
; %bb.210:
	s_waitcnt lgkmcnt(2)
	v_add_co_u32_e32 v8, vcc, 0x5000, v4
	s_nop 1
	v_addc_co_u32_e32 v9, vcc, 0, v5, vcc
	s_waitcnt lgkmcnt(1)
	global_store_dword v[8:9], v7, off
.LBB45_211:
	s_or_b64 exec, exec, s[2:3]
	v_or_b32_e32 v1, 0x1500, v0
	v_cmp_gt_u32_e32 vcc, s33, v1
	s_and_saveexec_b64 s[2:3], vcc
	s_cbranch_execz .LBB45_213
; %bb.212:
	v_add_co_u32_e32 v4, vcc, 0x5000, v4
	s_nop 1
	v_addc_co_u32_e32 v5, vcc, 0, v5, vcc
	s_waitcnt lgkmcnt(0)
	global_store_dword v[4:5], v2, off offset:1024
.LBB45_213:
	s_or_b64 exec, exec, s[2:3]
	s_waitcnt lgkmcnt(0)
	v_or_b32_e32 v2, 0x1600, v0
	v_mov_b32_e32 v1, v55
	v_cmp_gt_u32_e64 s[2:3], s33, v2
	s_branch .LBB45_216
.LBB45_214:
	s_mov_b64 s[2:3], 0
                                        ; implicit-def: $vgpr3
	s_cbranch_execz .LBB45_216
; %bb.215:
	s_waitcnt lgkmcnt(0)
	v_mul_u32_u24_e32 v1, 0x5c, v0
	s_barrier
	s_movk_i32 s4, 0x5c
	ds_write2_b32 v1, v80, v58 offset1:1
	ds_write2_b32 v1, v59, v60 offset0:2 offset1:3
	ds_write2_b32 v1, v61, v62 offset0:4 offset1:5
	;; [unrolled: 1-line block ×10, first 2 shown]
	ds_write_b32 v1, v79 offset:88
	v_mov_b32_e32 v1, 0
	s_waitcnt vmcnt(0)
	v_mul_i32_i24_e32 v2, 0xffffffa8, v0
	v_mad_u32_u24 v2, v0, s4, v2
	v_mov_b32_e32 v55, v1
	s_waitcnt lgkmcnt(0)
	s_barrier
	ds_read2st64_b32 v[4:5], v2 offset1:4
	ds_read2st64_b32 v[6:7], v2 offset0:8 offset1:12
	ds_read2st64_b32 v[8:9], v2 offset0:16 offset1:20
	;; [unrolled: 1-line block ×10, first 2 shown]
	ds_read_b32 v3, v2 offset:22528
	v_lshl_add_u64 v[26:27], s[0:1], 0, v[54:55]
	s_movk_i32 s4, 0x1000
	s_waitcnt lgkmcnt(11)
	global_store_dword v54, v4, s[0:1]
	global_store_dword v54, v5, s[0:1] offset:1024
	s_waitcnt lgkmcnt(10)
	global_store_dword v54, v6, s[0:1] offset:2048
	global_store_dword v54, v7, s[0:1] offset:3072
	v_add_co_u32_e32 v4, vcc, s4, v26
	s_movk_i32 s4, 0x2000
	s_nop 0
	v_addc_co_u32_e32 v5, vcc, 0, v27, vcc
	v_add_co_u32_e32 v6, vcc, s4, v26
	s_movk_i32 s4, 0x3000
	s_nop 0
	v_addc_co_u32_e32 v7, vcc, 0, v27, vcc
	s_waitcnt lgkmcnt(9)
	global_store_dword v[6:7], v8, off offset:-4096
	global_store_dword v[4:5], v9, off offset:1024
	s_waitcnt lgkmcnt(8)
	global_store_dword v[4:5], v10, off offset:2048
	global_store_dword v[4:5], v11, off offset:3072
	s_waitcnt lgkmcnt(7)
	global_store_dword v[6:7], v12, off
	global_store_dword v[6:7], v13, off offset:1024
	s_waitcnt lgkmcnt(6)
	global_store_dword v[6:7], v14, off offset:2048
	global_store_dword v[6:7], v15, off offset:3072
	v_add_co_u32_e32 v4, vcc, s4, v26
	s_or_b64 s[2:3], s[2:3], exec
	s_nop 0
	v_addc_co_u32_e32 v5, vcc, 0, v27, vcc
	s_waitcnt lgkmcnt(5)
	global_store_dword v[4:5], v16, off
	global_store_dword v[4:5], v17, off offset:1024
	s_waitcnt lgkmcnt(4)
	global_store_dword v[4:5], v18, off offset:2048
	global_store_dword v[4:5], v19, off offset:3072
	v_add_co_u32_e32 v4, vcc, 0x4000, v26
	s_nop 1
	v_addc_co_u32_e32 v5, vcc, 0, v27, vcc
	s_waitcnt lgkmcnt(3)
	global_store_dword v[4:5], v20, off
	global_store_dword v[4:5], v21, off offset:1024
	s_waitcnt lgkmcnt(2)
	global_store_dword v[4:5], v22, off offset:2048
	global_store_dword v[4:5], v23, off offset:3072
	v_add_co_u32_e32 v4, vcc, 0x5000, v26
	s_nop 1
	v_addc_co_u32_e32 v5, vcc, 0, v27, vcc
	s_waitcnt lgkmcnt(1)
	global_store_dword v[4:5], v24, off
	global_store_dword v[4:5], v25, off offset:1024
.LBB45_216:
	s_and_saveexec_b64 s[4:5], s[2:3]
	s_cbranch_execnz .LBB45_218
; %bb.217:
	s_endpgm
.LBB45_218:
	s_waitcnt lgkmcnt(0)
	v_lshl_add_u64 v[0:1], v[0:1], 2, s[0:1]
	v_add_co_u32_e32 v0, vcc, 0x5000, v0
	s_nop 1
	v_addc_co_u32_e32 v1, vcc, 0, v1, vcc
	global_store_dword v[0:1], v3, off offset:2048
	s_endpgm
.LBB45_219:
	v_add_u32_e32 v1, -1, v0
	v_lshrrev_b32_e32 v2, 5, v1
	v_add_lshl_u32 v1, v2, v1, 3
	ds_read_b32 v1, v1
	s_or_b64 exec, exec, s[0:1]
	s_and_saveexec_b64 s[50:51], s[4:5]
	s_cbranch_execz .LBB45_165
.LBB45_220:
	v_and_b32_e32 v3, 0xff, v11
	v_mov_b32_e32 v2, 0
	v_cmp_eq_u64_e64 s[0:1], 0, v[2:3]
	;;#ASMSTART
	;;#ASMEND
	s_waitcnt lgkmcnt(0)
	s_nop 0
	v_cndmask_b32_e64 v1, 0, v1, s[0:1]
	v_add_u32_e32 v10, v1, v10
	v_cndmask_b32_e32 v1, 0, v10, vcc
	v_add_u32_e32 v58, v1, v12
	v_cndmask_b32_e64 v1, 0, v58, s[6:7]
	v_add_u32_e32 v59, v1, v14
	v_cndmask_b32_e64 v1, 0, v59, s[8:9]
	;; [unrolled: 2-line block ×21, first 2 shown]
	v_add_u32_e32 v79, v1, v56
	s_or_b64 exec, exec, s[50:51]
	s_and_saveexec_b64 s[0:1], s[54:55]
	s_cbranch_execnz .LBB45_166
	s_branch .LBB45_167
.LBB45_221:
                                        ; implicit-def: $sgpr0_sgpr1
	s_andn2_b64 vcc, exec, s[12:13]
	s_cbranch_vccz .LBB45_54
	s_branch .LBB45_55
.LBB45_222:
                                        ; implicit-def: $sgpr0_sgpr1
	s_branch .LBB45_106
	.section	.rodata,"a",@progbits
	.p2align	6, 0x0
	.amdhsa_kernel _ZN7rocprim17ROCPRIM_400000_NS6detail17trampoline_kernelINS0_14default_configENS1_27scan_by_key_config_selectorIiiEEZZNS1_16scan_by_key_implILNS1_25lookback_scan_determinismE0ELb0ES3_PKiN6hipcub16HIPCUB_304000_NS21ConstantInputIteratorIilEEPiiNSB_3SumENSB_8EqualityEiEE10hipError_tPvRmT2_T3_T4_T5_mT6_T7_P12ihipStream_tbENKUlT_T0_E_clISt17integral_constantIbLb0EESW_IbLb1EEEEDaSS_ST_EUlSS_E_NS1_11comp_targetILNS1_3genE5ELNS1_11target_archE942ELNS1_3gpuE9ELNS1_3repE0EEENS1_30default_config_static_selectorELNS0_4arch9wavefront6targetE1EEEvT1_
		.amdhsa_group_segment_fixed_size 25600
		.amdhsa_private_segment_fixed_size 0
		.amdhsa_kernarg_size 120
		.amdhsa_user_sgpr_count 2
		.amdhsa_user_sgpr_dispatch_ptr 0
		.amdhsa_user_sgpr_queue_ptr 0
		.amdhsa_user_sgpr_kernarg_segment_ptr 1
		.amdhsa_user_sgpr_dispatch_id 0
		.amdhsa_user_sgpr_kernarg_preload_length 0
		.amdhsa_user_sgpr_kernarg_preload_offset 0
		.amdhsa_user_sgpr_private_segment_size 0
		.amdhsa_uses_dynamic_stack 0
		.amdhsa_enable_private_segment 0
		.amdhsa_system_sgpr_workgroup_id_x 1
		.amdhsa_system_sgpr_workgroup_id_y 0
		.amdhsa_system_sgpr_workgroup_id_z 0
		.amdhsa_system_sgpr_workgroup_info 0
		.amdhsa_system_vgpr_workitem_id 0
		.amdhsa_next_free_vgpr 81
		.amdhsa_next_free_sgpr 84
		.amdhsa_accum_offset 84
		.amdhsa_reserve_vcc 1
		.amdhsa_float_round_mode_32 0
		.amdhsa_float_round_mode_16_64 0
		.amdhsa_float_denorm_mode_32 3
		.amdhsa_float_denorm_mode_16_64 3
		.amdhsa_dx10_clamp 1
		.amdhsa_ieee_mode 1
		.amdhsa_fp16_overflow 0
		.amdhsa_tg_split 0
		.amdhsa_exception_fp_ieee_invalid_op 0
		.amdhsa_exception_fp_denorm_src 0
		.amdhsa_exception_fp_ieee_div_zero 0
		.amdhsa_exception_fp_ieee_overflow 0
		.amdhsa_exception_fp_ieee_underflow 0
		.amdhsa_exception_fp_ieee_inexact 0
		.amdhsa_exception_int_div_zero 0
	.end_amdhsa_kernel
	.section	.text._ZN7rocprim17ROCPRIM_400000_NS6detail17trampoline_kernelINS0_14default_configENS1_27scan_by_key_config_selectorIiiEEZZNS1_16scan_by_key_implILNS1_25lookback_scan_determinismE0ELb0ES3_PKiN6hipcub16HIPCUB_304000_NS21ConstantInputIteratorIilEEPiiNSB_3SumENSB_8EqualityEiEE10hipError_tPvRmT2_T3_T4_T5_mT6_T7_P12ihipStream_tbENKUlT_T0_E_clISt17integral_constantIbLb0EESW_IbLb1EEEEDaSS_ST_EUlSS_E_NS1_11comp_targetILNS1_3genE5ELNS1_11target_archE942ELNS1_3gpuE9ELNS1_3repE0EEENS1_30default_config_static_selectorELNS0_4arch9wavefront6targetE1EEEvT1_,"axG",@progbits,_ZN7rocprim17ROCPRIM_400000_NS6detail17trampoline_kernelINS0_14default_configENS1_27scan_by_key_config_selectorIiiEEZZNS1_16scan_by_key_implILNS1_25lookback_scan_determinismE0ELb0ES3_PKiN6hipcub16HIPCUB_304000_NS21ConstantInputIteratorIilEEPiiNSB_3SumENSB_8EqualityEiEE10hipError_tPvRmT2_T3_T4_T5_mT6_T7_P12ihipStream_tbENKUlT_T0_E_clISt17integral_constantIbLb0EESW_IbLb1EEEEDaSS_ST_EUlSS_E_NS1_11comp_targetILNS1_3genE5ELNS1_11target_archE942ELNS1_3gpuE9ELNS1_3repE0EEENS1_30default_config_static_selectorELNS0_4arch9wavefront6targetE1EEEvT1_,comdat
.Lfunc_end45:
	.size	_ZN7rocprim17ROCPRIM_400000_NS6detail17trampoline_kernelINS0_14default_configENS1_27scan_by_key_config_selectorIiiEEZZNS1_16scan_by_key_implILNS1_25lookback_scan_determinismE0ELb0ES3_PKiN6hipcub16HIPCUB_304000_NS21ConstantInputIteratorIilEEPiiNSB_3SumENSB_8EqualityEiEE10hipError_tPvRmT2_T3_T4_T5_mT6_T7_P12ihipStream_tbENKUlT_T0_E_clISt17integral_constantIbLb0EESW_IbLb1EEEEDaSS_ST_EUlSS_E_NS1_11comp_targetILNS1_3genE5ELNS1_11target_archE942ELNS1_3gpuE9ELNS1_3repE0EEENS1_30default_config_static_selectorELNS0_4arch9wavefront6targetE1EEEvT1_, .Lfunc_end45-_ZN7rocprim17ROCPRIM_400000_NS6detail17trampoline_kernelINS0_14default_configENS1_27scan_by_key_config_selectorIiiEEZZNS1_16scan_by_key_implILNS1_25lookback_scan_determinismE0ELb0ES3_PKiN6hipcub16HIPCUB_304000_NS21ConstantInputIteratorIilEEPiiNSB_3SumENSB_8EqualityEiEE10hipError_tPvRmT2_T3_T4_T5_mT6_T7_P12ihipStream_tbENKUlT_T0_E_clISt17integral_constantIbLb0EESW_IbLb1EEEEDaSS_ST_EUlSS_E_NS1_11comp_targetILNS1_3genE5ELNS1_11target_archE942ELNS1_3gpuE9ELNS1_3repE0EEENS1_30default_config_static_selectorELNS0_4arch9wavefront6targetE1EEEvT1_
                                        ; -- End function
	.section	.AMDGPU.csdata,"",@progbits
; Kernel info:
; codeLenInByte = 14028
; NumSgprs: 90
; NumVgprs: 81
; NumAgprs: 0
; TotalNumVgprs: 81
; ScratchSize: 0
; MemoryBound: 0
; FloatMode: 240
; IeeeMode: 1
; LDSByteSize: 25600 bytes/workgroup (compile time only)
; SGPRBlocks: 11
; VGPRBlocks: 10
; NumSGPRsForWavesPerEU: 90
; NumVGPRsForWavesPerEU: 81
; AccumOffset: 84
; Occupancy: 2
; WaveLimiterHint : 1
; COMPUTE_PGM_RSRC2:SCRATCH_EN: 0
; COMPUTE_PGM_RSRC2:USER_SGPR: 2
; COMPUTE_PGM_RSRC2:TRAP_HANDLER: 0
; COMPUTE_PGM_RSRC2:TGID_X_EN: 1
; COMPUTE_PGM_RSRC2:TGID_Y_EN: 0
; COMPUTE_PGM_RSRC2:TGID_Z_EN: 0
; COMPUTE_PGM_RSRC2:TIDIG_COMP_CNT: 0
; COMPUTE_PGM_RSRC3_GFX90A:ACCUM_OFFSET: 20
; COMPUTE_PGM_RSRC3_GFX90A:TG_SPLIT: 0
	.section	.text._ZN7rocprim17ROCPRIM_400000_NS6detail17trampoline_kernelINS0_14default_configENS1_27scan_by_key_config_selectorIiiEEZZNS1_16scan_by_key_implILNS1_25lookback_scan_determinismE0ELb0ES3_PKiN6hipcub16HIPCUB_304000_NS21ConstantInputIteratorIilEEPiiNSB_3SumENSB_8EqualityEiEE10hipError_tPvRmT2_T3_T4_T5_mT6_T7_P12ihipStream_tbENKUlT_T0_E_clISt17integral_constantIbLb0EESW_IbLb1EEEEDaSS_ST_EUlSS_E_NS1_11comp_targetILNS1_3genE4ELNS1_11target_archE910ELNS1_3gpuE8ELNS1_3repE0EEENS1_30default_config_static_selectorELNS0_4arch9wavefront6targetE1EEEvT1_,"axG",@progbits,_ZN7rocprim17ROCPRIM_400000_NS6detail17trampoline_kernelINS0_14default_configENS1_27scan_by_key_config_selectorIiiEEZZNS1_16scan_by_key_implILNS1_25lookback_scan_determinismE0ELb0ES3_PKiN6hipcub16HIPCUB_304000_NS21ConstantInputIteratorIilEEPiiNSB_3SumENSB_8EqualityEiEE10hipError_tPvRmT2_T3_T4_T5_mT6_T7_P12ihipStream_tbENKUlT_T0_E_clISt17integral_constantIbLb0EESW_IbLb1EEEEDaSS_ST_EUlSS_E_NS1_11comp_targetILNS1_3genE4ELNS1_11target_archE910ELNS1_3gpuE8ELNS1_3repE0EEENS1_30default_config_static_selectorELNS0_4arch9wavefront6targetE1EEEvT1_,comdat
	.protected	_ZN7rocprim17ROCPRIM_400000_NS6detail17trampoline_kernelINS0_14default_configENS1_27scan_by_key_config_selectorIiiEEZZNS1_16scan_by_key_implILNS1_25lookback_scan_determinismE0ELb0ES3_PKiN6hipcub16HIPCUB_304000_NS21ConstantInputIteratorIilEEPiiNSB_3SumENSB_8EqualityEiEE10hipError_tPvRmT2_T3_T4_T5_mT6_T7_P12ihipStream_tbENKUlT_T0_E_clISt17integral_constantIbLb0EESW_IbLb1EEEEDaSS_ST_EUlSS_E_NS1_11comp_targetILNS1_3genE4ELNS1_11target_archE910ELNS1_3gpuE8ELNS1_3repE0EEENS1_30default_config_static_selectorELNS0_4arch9wavefront6targetE1EEEvT1_ ; -- Begin function _ZN7rocprim17ROCPRIM_400000_NS6detail17trampoline_kernelINS0_14default_configENS1_27scan_by_key_config_selectorIiiEEZZNS1_16scan_by_key_implILNS1_25lookback_scan_determinismE0ELb0ES3_PKiN6hipcub16HIPCUB_304000_NS21ConstantInputIteratorIilEEPiiNSB_3SumENSB_8EqualityEiEE10hipError_tPvRmT2_T3_T4_T5_mT6_T7_P12ihipStream_tbENKUlT_T0_E_clISt17integral_constantIbLb0EESW_IbLb1EEEEDaSS_ST_EUlSS_E_NS1_11comp_targetILNS1_3genE4ELNS1_11target_archE910ELNS1_3gpuE8ELNS1_3repE0EEENS1_30default_config_static_selectorELNS0_4arch9wavefront6targetE1EEEvT1_
	.globl	_ZN7rocprim17ROCPRIM_400000_NS6detail17trampoline_kernelINS0_14default_configENS1_27scan_by_key_config_selectorIiiEEZZNS1_16scan_by_key_implILNS1_25lookback_scan_determinismE0ELb0ES3_PKiN6hipcub16HIPCUB_304000_NS21ConstantInputIteratorIilEEPiiNSB_3SumENSB_8EqualityEiEE10hipError_tPvRmT2_T3_T4_T5_mT6_T7_P12ihipStream_tbENKUlT_T0_E_clISt17integral_constantIbLb0EESW_IbLb1EEEEDaSS_ST_EUlSS_E_NS1_11comp_targetILNS1_3genE4ELNS1_11target_archE910ELNS1_3gpuE8ELNS1_3repE0EEENS1_30default_config_static_selectorELNS0_4arch9wavefront6targetE1EEEvT1_
	.p2align	8
	.type	_ZN7rocprim17ROCPRIM_400000_NS6detail17trampoline_kernelINS0_14default_configENS1_27scan_by_key_config_selectorIiiEEZZNS1_16scan_by_key_implILNS1_25lookback_scan_determinismE0ELb0ES3_PKiN6hipcub16HIPCUB_304000_NS21ConstantInputIteratorIilEEPiiNSB_3SumENSB_8EqualityEiEE10hipError_tPvRmT2_T3_T4_T5_mT6_T7_P12ihipStream_tbENKUlT_T0_E_clISt17integral_constantIbLb0EESW_IbLb1EEEEDaSS_ST_EUlSS_E_NS1_11comp_targetILNS1_3genE4ELNS1_11target_archE910ELNS1_3gpuE8ELNS1_3repE0EEENS1_30default_config_static_selectorELNS0_4arch9wavefront6targetE1EEEvT1_,@function
_ZN7rocprim17ROCPRIM_400000_NS6detail17trampoline_kernelINS0_14default_configENS1_27scan_by_key_config_selectorIiiEEZZNS1_16scan_by_key_implILNS1_25lookback_scan_determinismE0ELb0ES3_PKiN6hipcub16HIPCUB_304000_NS21ConstantInputIteratorIilEEPiiNSB_3SumENSB_8EqualityEiEE10hipError_tPvRmT2_T3_T4_T5_mT6_T7_P12ihipStream_tbENKUlT_T0_E_clISt17integral_constantIbLb0EESW_IbLb1EEEEDaSS_ST_EUlSS_E_NS1_11comp_targetILNS1_3genE4ELNS1_11target_archE910ELNS1_3gpuE8ELNS1_3repE0EEENS1_30default_config_static_selectorELNS0_4arch9wavefront6targetE1EEEvT1_: ; @_ZN7rocprim17ROCPRIM_400000_NS6detail17trampoline_kernelINS0_14default_configENS1_27scan_by_key_config_selectorIiiEEZZNS1_16scan_by_key_implILNS1_25lookback_scan_determinismE0ELb0ES3_PKiN6hipcub16HIPCUB_304000_NS21ConstantInputIteratorIilEEPiiNSB_3SumENSB_8EqualityEiEE10hipError_tPvRmT2_T3_T4_T5_mT6_T7_P12ihipStream_tbENKUlT_T0_E_clISt17integral_constantIbLb0EESW_IbLb1EEEEDaSS_ST_EUlSS_E_NS1_11comp_targetILNS1_3genE4ELNS1_11target_archE910ELNS1_3gpuE8ELNS1_3repE0EEENS1_30default_config_static_selectorELNS0_4arch9wavefront6targetE1EEEvT1_
; %bb.0:
	.section	.rodata,"a",@progbits
	.p2align	6, 0x0
	.amdhsa_kernel _ZN7rocprim17ROCPRIM_400000_NS6detail17trampoline_kernelINS0_14default_configENS1_27scan_by_key_config_selectorIiiEEZZNS1_16scan_by_key_implILNS1_25lookback_scan_determinismE0ELb0ES3_PKiN6hipcub16HIPCUB_304000_NS21ConstantInputIteratorIilEEPiiNSB_3SumENSB_8EqualityEiEE10hipError_tPvRmT2_T3_T4_T5_mT6_T7_P12ihipStream_tbENKUlT_T0_E_clISt17integral_constantIbLb0EESW_IbLb1EEEEDaSS_ST_EUlSS_E_NS1_11comp_targetILNS1_3genE4ELNS1_11target_archE910ELNS1_3gpuE8ELNS1_3repE0EEENS1_30default_config_static_selectorELNS0_4arch9wavefront6targetE1EEEvT1_
		.amdhsa_group_segment_fixed_size 0
		.amdhsa_private_segment_fixed_size 0
		.amdhsa_kernarg_size 120
		.amdhsa_user_sgpr_count 2
		.amdhsa_user_sgpr_dispatch_ptr 0
		.amdhsa_user_sgpr_queue_ptr 0
		.amdhsa_user_sgpr_kernarg_segment_ptr 1
		.amdhsa_user_sgpr_dispatch_id 0
		.amdhsa_user_sgpr_kernarg_preload_length 0
		.amdhsa_user_sgpr_kernarg_preload_offset 0
		.amdhsa_user_sgpr_private_segment_size 0
		.amdhsa_uses_dynamic_stack 0
		.amdhsa_enable_private_segment 0
		.amdhsa_system_sgpr_workgroup_id_x 1
		.amdhsa_system_sgpr_workgroup_id_y 0
		.amdhsa_system_sgpr_workgroup_id_z 0
		.amdhsa_system_sgpr_workgroup_info 0
		.amdhsa_system_vgpr_workitem_id 0
		.amdhsa_next_free_vgpr 1
		.amdhsa_next_free_sgpr 0
		.amdhsa_accum_offset 4
		.amdhsa_reserve_vcc 0
		.amdhsa_float_round_mode_32 0
		.amdhsa_float_round_mode_16_64 0
		.amdhsa_float_denorm_mode_32 3
		.amdhsa_float_denorm_mode_16_64 3
		.amdhsa_dx10_clamp 1
		.amdhsa_ieee_mode 1
		.amdhsa_fp16_overflow 0
		.amdhsa_tg_split 0
		.amdhsa_exception_fp_ieee_invalid_op 0
		.amdhsa_exception_fp_denorm_src 0
		.amdhsa_exception_fp_ieee_div_zero 0
		.amdhsa_exception_fp_ieee_overflow 0
		.amdhsa_exception_fp_ieee_underflow 0
		.amdhsa_exception_fp_ieee_inexact 0
		.amdhsa_exception_int_div_zero 0
	.end_amdhsa_kernel
	.section	.text._ZN7rocprim17ROCPRIM_400000_NS6detail17trampoline_kernelINS0_14default_configENS1_27scan_by_key_config_selectorIiiEEZZNS1_16scan_by_key_implILNS1_25lookback_scan_determinismE0ELb0ES3_PKiN6hipcub16HIPCUB_304000_NS21ConstantInputIteratorIilEEPiiNSB_3SumENSB_8EqualityEiEE10hipError_tPvRmT2_T3_T4_T5_mT6_T7_P12ihipStream_tbENKUlT_T0_E_clISt17integral_constantIbLb0EESW_IbLb1EEEEDaSS_ST_EUlSS_E_NS1_11comp_targetILNS1_3genE4ELNS1_11target_archE910ELNS1_3gpuE8ELNS1_3repE0EEENS1_30default_config_static_selectorELNS0_4arch9wavefront6targetE1EEEvT1_,"axG",@progbits,_ZN7rocprim17ROCPRIM_400000_NS6detail17trampoline_kernelINS0_14default_configENS1_27scan_by_key_config_selectorIiiEEZZNS1_16scan_by_key_implILNS1_25lookback_scan_determinismE0ELb0ES3_PKiN6hipcub16HIPCUB_304000_NS21ConstantInputIteratorIilEEPiiNSB_3SumENSB_8EqualityEiEE10hipError_tPvRmT2_T3_T4_T5_mT6_T7_P12ihipStream_tbENKUlT_T0_E_clISt17integral_constantIbLb0EESW_IbLb1EEEEDaSS_ST_EUlSS_E_NS1_11comp_targetILNS1_3genE4ELNS1_11target_archE910ELNS1_3gpuE8ELNS1_3repE0EEENS1_30default_config_static_selectorELNS0_4arch9wavefront6targetE1EEEvT1_,comdat
.Lfunc_end46:
	.size	_ZN7rocprim17ROCPRIM_400000_NS6detail17trampoline_kernelINS0_14default_configENS1_27scan_by_key_config_selectorIiiEEZZNS1_16scan_by_key_implILNS1_25lookback_scan_determinismE0ELb0ES3_PKiN6hipcub16HIPCUB_304000_NS21ConstantInputIteratorIilEEPiiNSB_3SumENSB_8EqualityEiEE10hipError_tPvRmT2_T3_T4_T5_mT6_T7_P12ihipStream_tbENKUlT_T0_E_clISt17integral_constantIbLb0EESW_IbLb1EEEEDaSS_ST_EUlSS_E_NS1_11comp_targetILNS1_3genE4ELNS1_11target_archE910ELNS1_3gpuE8ELNS1_3repE0EEENS1_30default_config_static_selectorELNS0_4arch9wavefront6targetE1EEEvT1_, .Lfunc_end46-_ZN7rocprim17ROCPRIM_400000_NS6detail17trampoline_kernelINS0_14default_configENS1_27scan_by_key_config_selectorIiiEEZZNS1_16scan_by_key_implILNS1_25lookback_scan_determinismE0ELb0ES3_PKiN6hipcub16HIPCUB_304000_NS21ConstantInputIteratorIilEEPiiNSB_3SumENSB_8EqualityEiEE10hipError_tPvRmT2_T3_T4_T5_mT6_T7_P12ihipStream_tbENKUlT_T0_E_clISt17integral_constantIbLb0EESW_IbLb1EEEEDaSS_ST_EUlSS_E_NS1_11comp_targetILNS1_3genE4ELNS1_11target_archE910ELNS1_3gpuE8ELNS1_3repE0EEENS1_30default_config_static_selectorELNS0_4arch9wavefront6targetE1EEEvT1_
                                        ; -- End function
	.section	.AMDGPU.csdata,"",@progbits
; Kernel info:
; codeLenInByte = 0
; NumSgprs: 6
; NumVgprs: 0
; NumAgprs: 0
; TotalNumVgprs: 0
; ScratchSize: 0
; MemoryBound: 0
; FloatMode: 240
; IeeeMode: 1
; LDSByteSize: 0 bytes/workgroup (compile time only)
; SGPRBlocks: 0
; VGPRBlocks: 0
; NumSGPRsForWavesPerEU: 6
; NumVGPRsForWavesPerEU: 1
; AccumOffset: 4
; Occupancy: 8
; WaveLimiterHint : 0
; COMPUTE_PGM_RSRC2:SCRATCH_EN: 0
; COMPUTE_PGM_RSRC2:USER_SGPR: 2
; COMPUTE_PGM_RSRC2:TRAP_HANDLER: 0
; COMPUTE_PGM_RSRC2:TGID_X_EN: 1
; COMPUTE_PGM_RSRC2:TGID_Y_EN: 0
; COMPUTE_PGM_RSRC2:TGID_Z_EN: 0
; COMPUTE_PGM_RSRC2:TIDIG_COMP_CNT: 0
; COMPUTE_PGM_RSRC3_GFX90A:ACCUM_OFFSET: 0
; COMPUTE_PGM_RSRC3_GFX90A:TG_SPLIT: 0
	.section	.text._ZN7rocprim17ROCPRIM_400000_NS6detail17trampoline_kernelINS0_14default_configENS1_27scan_by_key_config_selectorIiiEEZZNS1_16scan_by_key_implILNS1_25lookback_scan_determinismE0ELb0ES3_PKiN6hipcub16HIPCUB_304000_NS21ConstantInputIteratorIilEEPiiNSB_3SumENSB_8EqualityEiEE10hipError_tPvRmT2_T3_T4_T5_mT6_T7_P12ihipStream_tbENKUlT_T0_E_clISt17integral_constantIbLb0EESW_IbLb1EEEEDaSS_ST_EUlSS_E_NS1_11comp_targetILNS1_3genE3ELNS1_11target_archE908ELNS1_3gpuE7ELNS1_3repE0EEENS1_30default_config_static_selectorELNS0_4arch9wavefront6targetE1EEEvT1_,"axG",@progbits,_ZN7rocprim17ROCPRIM_400000_NS6detail17trampoline_kernelINS0_14default_configENS1_27scan_by_key_config_selectorIiiEEZZNS1_16scan_by_key_implILNS1_25lookback_scan_determinismE0ELb0ES3_PKiN6hipcub16HIPCUB_304000_NS21ConstantInputIteratorIilEEPiiNSB_3SumENSB_8EqualityEiEE10hipError_tPvRmT2_T3_T4_T5_mT6_T7_P12ihipStream_tbENKUlT_T0_E_clISt17integral_constantIbLb0EESW_IbLb1EEEEDaSS_ST_EUlSS_E_NS1_11comp_targetILNS1_3genE3ELNS1_11target_archE908ELNS1_3gpuE7ELNS1_3repE0EEENS1_30default_config_static_selectorELNS0_4arch9wavefront6targetE1EEEvT1_,comdat
	.protected	_ZN7rocprim17ROCPRIM_400000_NS6detail17trampoline_kernelINS0_14default_configENS1_27scan_by_key_config_selectorIiiEEZZNS1_16scan_by_key_implILNS1_25lookback_scan_determinismE0ELb0ES3_PKiN6hipcub16HIPCUB_304000_NS21ConstantInputIteratorIilEEPiiNSB_3SumENSB_8EqualityEiEE10hipError_tPvRmT2_T3_T4_T5_mT6_T7_P12ihipStream_tbENKUlT_T0_E_clISt17integral_constantIbLb0EESW_IbLb1EEEEDaSS_ST_EUlSS_E_NS1_11comp_targetILNS1_3genE3ELNS1_11target_archE908ELNS1_3gpuE7ELNS1_3repE0EEENS1_30default_config_static_selectorELNS0_4arch9wavefront6targetE1EEEvT1_ ; -- Begin function _ZN7rocprim17ROCPRIM_400000_NS6detail17trampoline_kernelINS0_14default_configENS1_27scan_by_key_config_selectorIiiEEZZNS1_16scan_by_key_implILNS1_25lookback_scan_determinismE0ELb0ES3_PKiN6hipcub16HIPCUB_304000_NS21ConstantInputIteratorIilEEPiiNSB_3SumENSB_8EqualityEiEE10hipError_tPvRmT2_T3_T4_T5_mT6_T7_P12ihipStream_tbENKUlT_T0_E_clISt17integral_constantIbLb0EESW_IbLb1EEEEDaSS_ST_EUlSS_E_NS1_11comp_targetILNS1_3genE3ELNS1_11target_archE908ELNS1_3gpuE7ELNS1_3repE0EEENS1_30default_config_static_selectorELNS0_4arch9wavefront6targetE1EEEvT1_
	.globl	_ZN7rocprim17ROCPRIM_400000_NS6detail17trampoline_kernelINS0_14default_configENS1_27scan_by_key_config_selectorIiiEEZZNS1_16scan_by_key_implILNS1_25lookback_scan_determinismE0ELb0ES3_PKiN6hipcub16HIPCUB_304000_NS21ConstantInputIteratorIilEEPiiNSB_3SumENSB_8EqualityEiEE10hipError_tPvRmT2_T3_T4_T5_mT6_T7_P12ihipStream_tbENKUlT_T0_E_clISt17integral_constantIbLb0EESW_IbLb1EEEEDaSS_ST_EUlSS_E_NS1_11comp_targetILNS1_3genE3ELNS1_11target_archE908ELNS1_3gpuE7ELNS1_3repE0EEENS1_30default_config_static_selectorELNS0_4arch9wavefront6targetE1EEEvT1_
	.p2align	8
	.type	_ZN7rocprim17ROCPRIM_400000_NS6detail17trampoline_kernelINS0_14default_configENS1_27scan_by_key_config_selectorIiiEEZZNS1_16scan_by_key_implILNS1_25lookback_scan_determinismE0ELb0ES3_PKiN6hipcub16HIPCUB_304000_NS21ConstantInputIteratorIilEEPiiNSB_3SumENSB_8EqualityEiEE10hipError_tPvRmT2_T3_T4_T5_mT6_T7_P12ihipStream_tbENKUlT_T0_E_clISt17integral_constantIbLb0EESW_IbLb1EEEEDaSS_ST_EUlSS_E_NS1_11comp_targetILNS1_3genE3ELNS1_11target_archE908ELNS1_3gpuE7ELNS1_3repE0EEENS1_30default_config_static_selectorELNS0_4arch9wavefront6targetE1EEEvT1_,@function
_ZN7rocprim17ROCPRIM_400000_NS6detail17trampoline_kernelINS0_14default_configENS1_27scan_by_key_config_selectorIiiEEZZNS1_16scan_by_key_implILNS1_25lookback_scan_determinismE0ELb0ES3_PKiN6hipcub16HIPCUB_304000_NS21ConstantInputIteratorIilEEPiiNSB_3SumENSB_8EqualityEiEE10hipError_tPvRmT2_T3_T4_T5_mT6_T7_P12ihipStream_tbENKUlT_T0_E_clISt17integral_constantIbLb0EESW_IbLb1EEEEDaSS_ST_EUlSS_E_NS1_11comp_targetILNS1_3genE3ELNS1_11target_archE908ELNS1_3gpuE7ELNS1_3repE0EEENS1_30default_config_static_selectorELNS0_4arch9wavefront6targetE1EEEvT1_: ; @_ZN7rocprim17ROCPRIM_400000_NS6detail17trampoline_kernelINS0_14default_configENS1_27scan_by_key_config_selectorIiiEEZZNS1_16scan_by_key_implILNS1_25lookback_scan_determinismE0ELb0ES3_PKiN6hipcub16HIPCUB_304000_NS21ConstantInputIteratorIilEEPiiNSB_3SumENSB_8EqualityEiEE10hipError_tPvRmT2_T3_T4_T5_mT6_T7_P12ihipStream_tbENKUlT_T0_E_clISt17integral_constantIbLb0EESW_IbLb1EEEEDaSS_ST_EUlSS_E_NS1_11comp_targetILNS1_3genE3ELNS1_11target_archE908ELNS1_3gpuE7ELNS1_3repE0EEENS1_30default_config_static_selectorELNS0_4arch9wavefront6targetE1EEEvT1_
; %bb.0:
	.section	.rodata,"a",@progbits
	.p2align	6, 0x0
	.amdhsa_kernel _ZN7rocprim17ROCPRIM_400000_NS6detail17trampoline_kernelINS0_14default_configENS1_27scan_by_key_config_selectorIiiEEZZNS1_16scan_by_key_implILNS1_25lookback_scan_determinismE0ELb0ES3_PKiN6hipcub16HIPCUB_304000_NS21ConstantInputIteratorIilEEPiiNSB_3SumENSB_8EqualityEiEE10hipError_tPvRmT2_T3_T4_T5_mT6_T7_P12ihipStream_tbENKUlT_T0_E_clISt17integral_constantIbLb0EESW_IbLb1EEEEDaSS_ST_EUlSS_E_NS1_11comp_targetILNS1_3genE3ELNS1_11target_archE908ELNS1_3gpuE7ELNS1_3repE0EEENS1_30default_config_static_selectorELNS0_4arch9wavefront6targetE1EEEvT1_
		.amdhsa_group_segment_fixed_size 0
		.amdhsa_private_segment_fixed_size 0
		.amdhsa_kernarg_size 120
		.amdhsa_user_sgpr_count 2
		.amdhsa_user_sgpr_dispatch_ptr 0
		.amdhsa_user_sgpr_queue_ptr 0
		.amdhsa_user_sgpr_kernarg_segment_ptr 1
		.amdhsa_user_sgpr_dispatch_id 0
		.amdhsa_user_sgpr_kernarg_preload_length 0
		.amdhsa_user_sgpr_kernarg_preload_offset 0
		.amdhsa_user_sgpr_private_segment_size 0
		.amdhsa_uses_dynamic_stack 0
		.amdhsa_enable_private_segment 0
		.amdhsa_system_sgpr_workgroup_id_x 1
		.amdhsa_system_sgpr_workgroup_id_y 0
		.amdhsa_system_sgpr_workgroup_id_z 0
		.amdhsa_system_sgpr_workgroup_info 0
		.amdhsa_system_vgpr_workitem_id 0
		.amdhsa_next_free_vgpr 1
		.amdhsa_next_free_sgpr 0
		.amdhsa_accum_offset 4
		.amdhsa_reserve_vcc 0
		.amdhsa_float_round_mode_32 0
		.amdhsa_float_round_mode_16_64 0
		.amdhsa_float_denorm_mode_32 3
		.amdhsa_float_denorm_mode_16_64 3
		.amdhsa_dx10_clamp 1
		.amdhsa_ieee_mode 1
		.amdhsa_fp16_overflow 0
		.amdhsa_tg_split 0
		.amdhsa_exception_fp_ieee_invalid_op 0
		.amdhsa_exception_fp_denorm_src 0
		.amdhsa_exception_fp_ieee_div_zero 0
		.amdhsa_exception_fp_ieee_overflow 0
		.amdhsa_exception_fp_ieee_underflow 0
		.amdhsa_exception_fp_ieee_inexact 0
		.amdhsa_exception_int_div_zero 0
	.end_amdhsa_kernel
	.section	.text._ZN7rocprim17ROCPRIM_400000_NS6detail17trampoline_kernelINS0_14default_configENS1_27scan_by_key_config_selectorIiiEEZZNS1_16scan_by_key_implILNS1_25lookback_scan_determinismE0ELb0ES3_PKiN6hipcub16HIPCUB_304000_NS21ConstantInputIteratorIilEEPiiNSB_3SumENSB_8EqualityEiEE10hipError_tPvRmT2_T3_T4_T5_mT6_T7_P12ihipStream_tbENKUlT_T0_E_clISt17integral_constantIbLb0EESW_IbLb1EEEEDaSS_ST_EUlSS_E_NS1_11comp_targetILNS1_3genE3ELNS1_11target_archE908ELNS1_3gpuE7ELNS1_3repE0EEENS1_30default_config_static_selectorELNS0_4arch9wavefront6targetE1EEEvT1_,"axG",@progbits,_ZN7rocprim17ROCPRIM_400000_NS6detail17trampoline_kernelINS0_14default_configENS1_27scan_by_key_config_selectorIiiEEZZNS1_16scan_by_key_implILNS1_25lookback_scan_determinismE0ELb0ES3_PKiN6hipcub16HIPCUB_304000_NS21ConstantInputIteratorIilEEPiiNSB_3SumENSB_8EqualityEiEE10hipError_tPvRmT2_T3_T4_T5_mT6_T7_P12ihipStream_tbENKUlT_T0_E_clISt17integral_constantIbLb0EESW_IbLb1EEEEDaSS_ST_EUlSS_E_NS1_11comp_targetILNS1_3genE3ELNS1_11target_archE908ELNS1_3gpuE7ELNS1_3repE0EEENS1_30default_config_static_selectorELNS0_4arch9wavefront6targetE1EEEvT1_,comdat
.Lfunc_end47:
	.size	_ZN7rocprim17ROCPRIM_400000_NS6detail17trampoline_kernelINS0_14default_configENS1_27scan_by_key_config_selectorIiiEEZZNS1_16scan_by_key_implILNS1_25lookback_scan_determinismE0ELb0ES3_PKiN6hipcub16HIPCUB_304000_NS21ConstantInputIteratorIilEEPiiNSB_3SumENSB_8EqualityEiEE10hipError_tPvRmT2_T3_T4_T5_mT6_T7_P12ihipStream_tbENKUlT_T0_E_clISt17integral_constantIbLb0EESW_IbLb1EEEEDaSS_ST_EUlSS_E_NS1_11comp_targetILNS1_3genE3ELNS1_11target_archE908ELNS1_3gpuE7ELNS1_3repE0EEENS1_30default_config_static_selectorELNS0_4arch9wavefront6targetE1EEEvT1_, .Lfunc_end47-_ZN7rocprim17ROCPRIM_400000_NS6detail17trampoline_kernelINS0_14default_configENS1_27scan_by_key_config_selectorIiiEEZZNS1_16scan_by_key_implILNS1_25lookback_scan_determinismE0ELb0ES3_PKiN6hipcub16HIPCUB_304000_NS21ConstantInputIteratorIilEEPiiNSB_3SumENSB_8EqualityEiEE10hipError_tPvRmT2_T3_T4_T5_mT6_T7_P12ihipStream_tbENKUlT_T0_E_clISt17integral_constantIbLb0EESW_IbLb1EEEEDaSS_ST_EUlSS_E_NS1_11comp_targetILNS1_3genE3ELNS1_11target_archE908ELNS1_3gpuE7ELNS1_3repE0EEENS1_30default_config_static_selectorELNS0_4arch9wavefront6targetE1EEEvT1_
                                        ; -- End function
	.section	.AMDGPU.csdata,"",@progbits
; Kernel info:
; codeLenInByte = 0
; NumSgprs: 6
; NumVgprs: 0
; NumAgprs: 0
; TotalNumVgprs: 0
; ScratchSize: 0
; MemoryBound: 0
; FloatMode: 240
; IeeeMode: 1
; LDSByteSize: 0 bytes/workgroup (compile time only)
; SGPRBlocks: 0
; VGPRBlocks: 0
; NumSGPRsForWavesPerEU: 6
; NumVGPRsForWavesPerEU: 1
; AccumOffset: 4
; Occupancy: 8
; WaveLimiterHint : 0
; COMPUTE_PGM_RSRC2:SCRATCH_EN: 0
; COMPUTE_PGM_RSRC2:USER_SGPR: 2
; COMPUTE_PGM_RSRC2:TRAP_HANDLER: 0
; COMPUTE_PGM_RSRC2:TGID_X_EN: 1
; COMPUTE_PGM_RSRC2:TGID_Y_EN: 0
; COMPUTE_PGM_RSRC2:TGID_Z_EN: 0
; COMPUTE_PGM_RSRC2:TIDIG_COMP_CNT: 0
; COMPUTE_PGM_RSRC3_GFX90A:ACCUM_OFFSET: 0
; COMPUTE_PGM_RSRC3_GFX90A:TG_SPLIT: 0
	.section	.text._ZN7rocprim17ROCPRIM_400000_NS6detail17trampoline_kernelINS0_14default_configENS1_27scan_by_key_config_selectorIiiEEZZNS1_16scan_by_key_implILNS1_25lookback_scan_determinismE0ELb0ES3_PKiN6hipcub16HIPCUB_304000_NS21ConstantInputIteratorIilEEPiiNSB_3SumENSB_8EqualityEiEE10hipError_tPvRmT2_T3_T4_T5_mT6_T7_P12ihipStream_tbENKUlT_T0_E_clISt17integral_constantIbLb0EESW_IbLb1EEEEDaSS_ST_EUlSS_E_NS1_11comp_targetILNS1_3genE2ELNS1_11target_archE906ELNS1_3gpuE6ELNS1_3repE0EEENS1_30default_config_static_selectorELNS0_4arch9wavefront6targetE1EEEvT1_,"axG",@progbits,_ZN7rocprim17ROCPRIM_400000_NS6detail17trampoline_kernelINS0_14default_configENS1_27scan_by_key_config_selectorIiiEEZZNS1_16scan_by_key_implILNS1_25lookback_scan_determinismE0ELb0ES3_PKiN6hipcub16HIPCUB_304000_NS21ConstantInputIteratorIilEEPiiNSB_3SumENSB_8EqualityEiEE10hipError_tPvRmT2_T3_T4_T5_mT6_T7_P12ihipStream_tbENKUlT_T0_E_clISt17integral_constantIbLb0EESW_IbLb1EEEEDaSS_ST_EUlSS_E_NS1_11comp_targetILNS1_3genE2ELNS1_11target_archE906ELNS1_3gpuE6ELNS1_3repE0EEENS1_30default_config_static_selectorELNS0_4arch9wavefront6targetE1EEEvT1_,comdat
	.protected	_ZN7rocprim17ROCPRIM_400000_NS6detail17trampoline_kernelINS0_14default_configENS1_27scan_by_key_config_selectorIiiEEZZNS1_16scan_by_key_implILNS1_25lookback_scan_determinismE0ELb0ES3_PKiN6hipcub16HIPCUB_304000_NS21ConstantInputIteratorIilEEPiiNSB_3SumENSB_8EqualityEiEE10hipError_tPvRmT2_T3_T4_T5_mT6_T7_P12ihipStream_tbENKUlT_T0_E_clISt17integral_constantIbLb0EESW_IbLb1EEEEDaSS_ST_EUlSS_E_NS1_11comp_targetILNS1_3genE2ELNS1_11target_archE906ELNS1_3gpuE6ELNS1_3repE0EEENS1_30default_config_static_selectorELNS0_4arch9wavefront6targetE1EEEvT1_ ; -- Begin function _ZN7rocprim17ROCPRIM_400000_NS6detail17trampoline_kernelINS0_14default_configENS1_27scan_by_key_config_selectorIiiEEZZNS1_16scan_by_key_implILNS1_25lookback_scan_determinismE0ELb0ES3_PKiN6hipcub16HIPCUB_304000_NS21ConstantInputIteratorIilEEPiiNSB_3SumENSB_8EqualityEiEE10hipError_tPvRmT2_T3_T4_T5_mT6_T7_P12ihipStream_tbENKUlT_T0_E_clISt17integral_constantIbLb0EESW_IbLb1EEEEDaSS_ST_EUlSS_E_NS1_11comp_targetILNS1_3genE2ELNS1_11target_archE906ELNS1_3gpuE6ELNS1_3repE0EEENS1_30default_config_static_selectorELNS0_4arch9wavefront6targetE1EEEvT1_
	.globl	_ZN7rocprim17ROCPRIM_400000_NS6detail17trampoline_kernelINS0_14default_configENS1_27scan_by_key_config_selectorIiiEEZZNS1_16scan_by_key_implILNS1_25lookback_scan_determinismE0ELb0ES3_PKiN6hipcub16HIPCUB_304000_NS21ConstantInputIteratorIilEEPiiNSB_3SumENSB_8EqualityEiEE10hipError_tPvRmT2_T3_T4_T5_mT6_T7_P12ihipStream_tbENKUlT_T0_E_clISt17integral_constantIbLb0EESW_IbLb1EEEEDaSS_ST_EUlSS_E_NS1_11comp_targetILNS1_3genE2ELNS1_11target_archE906ELNS1_3gpuE6ELNS1_3repE0EEENS1_30default_config_static_selectorELNS0_4arch9wavefront6targetE1EEEvT1_
	.p2align	8
	.type	_ZN7rocprim17ROCPRIM_400000_NS6detail17trampoline_kernelINS0_14default_configENS1_27scan_by_key_config_selectorIiiEEZZNS1_16scan_by_key_implILNS1_25lookback_scan_determinismE0ELb0ES3_PKiN6hipcub16HIPCUB_304000_NS21ConstantInputIteratorIilEEPiiNSB_3SumENSB_8EqualityEiEE10hipError_tPvRmT2_T3_T4_T5_mT6_T7_P12ihipStream_tbENKUlT_T0_E_clISt17integral_constantIbLb0EESW_IbLb1EEEEDaSS_ST_EUlSS_E_NS1_11comp_targetILNS1_3genE2ELNS1_11target_archE906ELNS1_3gpuE6ELNS1_3repE0EEENS1_30default_config_static_selectorELNS0_4arch9wavefront6targetE1EEEvT1_,@function
_ZN7rocprim17ROCPRIM_400000_NS6detail17trampoline_kernelINS0_14default_configENS1_27scan_by_key_config_selectorIiiEEZZNS1_16scan_by_key_implILNS1_25lookback_scan_determinismE0ELb0ES3_PKiN6hipcub16HIPCUB_304000_NS21ConstantInputIteratorIilEEPiiNSB_3SumENSB_8EqualityEiEE10hipError_tPvRmT2_T3_T4_T5_mT6_T7_P12ihipStream_tbENKUlT_T0_E_clISt17integral_constantIbLb0EESW_IbLb1EEEEDaSS_ST_EUlSS_E_NS1_11comp_targetILNS1_3genE2ELNS1_11target_archE906ELNS1_3gpuE6ELNS1_3repE0EEENS1_30default_config_static_selectorELNS0_4arch9wavefront6targetE1EEEvT1_: ; @_ZN7rocprim17ROCPRIM_400000_NS6detail17trampoline_kernelINS0_14default_configENS1_27scan_by_key_config_selectorIiiEEZZNS1_16scan_by_key_implILNS1_25lookback_scan_determinismE0ELb0ES3_PKiN6hipcub16HIPCUB_304000_NS21ConstantInputIteratorIilEEPiiNSB_3SumENSB_8EqualityEiEE10hipError_tPvRmT2_T3_T4_T5_mT6_T7_P12ihipStream_tbENKUlT_T0_E_clISt17integral_constantIbLb0EESW_IbLb1EEEEDaSS_ST_EUlSS_E_NS1_11comp_targetILNS1_3genE2ELNS1_11target_archE906ELNS1_3gpuE6ELNS1_3repE0EEENS1_30default_config_static_selectorELNS0_4arch9wavefront6targetE1EEEvT1_
; %bb.0:
	.section	.rodata,"a",@progbits
	.p2align	6, 0x0
	.amdhsa_kernel _ZN7rocprim17ROCPRIM_400000_NS6detail17trampoline_kernelINS0_14default_configENS1_27scan_by_key_config_selectorIiiEEZZNS1_16scan_by_key_implILNS1_25lookback_scan_determinismE0ELb0ES3_PKiN6hipcub16HIPCUB_304000_NS21ConstantInputIteratorIilEEPiiNSB_3SumENSB_8EqualityEiEE10hipError_tPvRmT2_T3_T4_T5_mT6_T7_P12ihipStream_tbENKUlT_T0_E_clISt17integral_constantIbLb0EESW_IbLb1EEEEDaSS_ST_EUlSS_E_NS1_11comp_targetILNS1_3genE2ELNS1_11target_archE906ELNS1_3gpuE6ELNS1_3repE0EEENS1_30default_config_static_selectorELNS0_4arch9wavefront6targetE1EEEvT1_
		.amdhsa_group_segment_fixed_size 0
		.amdhsa_private_segment_fixed_size 0
		.amdhsa_kernarg_size 120
		.amdhsa_user_sgpr_count 2
		.amdhsa_user_sgpr_dispatch_ptr 0
		.amdhsa_user_sgpr_queue_ptr 0
		.amdhsa_user_sgpr_kernarg_segment_ptr 1
		.amdhsa_user_sgpr_dispatch_id 0
		.amdhsa_user_sgpr_kernarg_preload_length 0
		.amdhsa_user_sgpr_kernarg_preload_offset 0
		.amdhsa_user_sgpr_private_segment_size 0
		.amdhsa_uses_dynamic_stack 0
		.amdhsa_enable_private_segment 0
		.amdhsa_system_sgpr_workgroup_id_x 1
		.amdhsa_system_sgpr_workgroup_id_y 0
		.amdhsa_system_sgpr_workgroup_id_z 0
		.amdhsa_system_sgpr_workgroup_info 0
		.amdhsa_system_vgpr_workitem_id 0
		.amdhsa_next_free_vgpr 1
		.amdhsa_next_free_sgpr 0
		.amdhsa_accum_offset 4
		.amdhsa_reserve_vcc 0
		.amdhsa_float_round_mode_32 0
		.amdhsa_float_round_mode_16_64 0
		.amdhsa_float_denorm_mode_32 3
		.amdhsa_float_denorm_mode_16_64 3
		.amdhsa_dx10_clamp 1
		.amdhsa_ieee_mode 1
		.amdhsa_fp16_overflow 0
		.amdhsa_tg_split 0
		.amdhsa_exception_fp_ieee_invalid_op 0
		.amdhsa_exception_fp_denorm_src 0
		.amdhsa_exception_fp_ieee_div_zero 0
		.amdhsa_exception_fp_ieee_overflow 0
		.amdhsa_exception_fp_ieee_underflow 0
		.amdhsa_exception_fp_ieee_inexact 0
		.amdhsa_exception_int_div_zero 0
	.end_amdhsa_kernel
	.section	.text._ZN7rocprim17ROCPRIM_400000_NS6detail17trampoline_kernelINS0_14default_configENS1_27scan_by_key_config_selectorIiiEEZZNS1_16scan_by_key_implILNS1_25lookback_scan_determinismE0ELb0ES3_PKiN6hipcub16HIPCUB_304000_NS21ConstantInputIteratorIilEEPiiNSB_3SumENSB_8EqualityEiEE10hipError_tPvRmT2_T3_T4_T5_mT6_T7_P12ihipStream_tbENKUlT_T0_E_clISt17integral_constantIbLb0EESW_IbLb1EEEEDaSS_ST_EUlSS_E_NS1_11comp_targetILNS1_3genE2ELNS1_11target_archE906ELNS1_3gpuE6ELNS1_3repE0EEENS1_30default_config_static_selectorELNS0_4arch9wavefront6targetE1EEEvT1_,"axG",@progbits,_ZN7rocprim17ROCPRIM_400000_NS6detail17trampoline_kernelINS0_14default_configENS1_27scan_by_key_config_selectorIiiEEZZNS1_16scan_by_key_implILNS1_25lookback_scan_determinismE0ELb0ES3_PKiN6hipcub16HIPCUB_304000_NS21ConstantInputIteratorIilEEPiiNSB_3SumENSB_8EqualityEiEE10hipError_tPvRmT2_T3_T4_T5_mT6_T7_P12ihipStream_tbENKUlT_T0_E_clISt17integral_constantIbLb0EESW_IbLb1EEEEDaSS_ST_EUlSS_E_NS1_11comp_targetILNS1_3genE2ELNS1_11target_archE906ELNS1_3gpuE6ELNS1_3repE0EEENS1_30default_config_static_selectorELNS0_4arch9wavefront6targetE1EEEvT1_,comdat
.Lfunc_end48:
	.size	_ZN7rocprim17ROCPRIM_400000_NS6detail17trampoline_kernelINS0_14default_configENS1_27scan_by_key_config_selectorIiiEEZZNS1_16scan_by_key_implILNS1_25lookback_scan_determinismE0ELb0ES3_PKiN6hipcub16HIPCUB_304000_NS21ConstantInputIteratorIilEEPiiNSB_3SumENSB_8EqualityEiEE10hipError_tPvRmT2_T3_T4_T5_mT6_T7_P12ihipStream_tbENKUlT_T0_E_clISt17integral_constantIbLb0EESW_IbLb1EEEEDaSS_ST_EUlSS_E_NS1_11comp_targetILNS1_3genE2ELNS1_11target_archE906ELNS1_3gpuE6ELNS1_3repE0EEENS1_30default_config_static_selectorELNS0_4arch9wavefront6targetE1EEEvT1_, .Lfunc_end48-_ZN7rocprim17ROCPRIM_400000_NS6detail17trampoline_kernelINS0_14default_configENS1_27scan_by_key_config_selectorIiiEEZZNS1_16scan_by_key_implILNS1_25lookback_scan_determinismE0ELb0ES3_PKiN6hipcub16HIPCUB_304000_NS21ConstantInputIteratorIilEEPiiNSB_3SumENSB_8EqualityEiEE10hipError_tPvRmT2_T3_T4_T5_mT6_T7_P12ihipStream_tbENKUlT_T0_E_clISt17integral_constantIbLb0EESW_IbLb1EEEEDaSS_ST_EUlSS_E_NS1_11comp_targetILNS1_3genE2ELNS1_11target_archE906ELNS1_3gpuE6ELNS1_3repE0EEENS1_30default_config_static_selectorELNS0_4arch9wavefront6targetE1EEEvT1_
                                        ; -- End function
	.section	.AMDGPU.csdata,"",@progbits
; Kernel info:
; codeLenInByte = 0
; NumSgprs: 6
; NumVgprs: 0
; NumAgprs: 0
; TotalNumVgprs: 0
; ScratchSize: 0
; MemoryBound: 0
; FloatMode: 240
; IeeeMode: 1
; LDSByteSize: 0 bytes/workgroup (compile time only)
; SGPRBlocks: 0
; VGPRBlocks: 0
; NumSGPRsForWavesPerEU: 6
; NumVGPRsForWavesPerEU: 1
; AccumOffset: 4
; Occupancy: 8
; WaveLimiterHint : 0
; COMPUTE_PGM_RSRC2:SCRATCH_EN: 0
; COMPUTE_PGM_RSRC2:USER_SGPR: 2
; COMPUTE_PGM_RSRC2:TRAP_HANDLER: 0
; COMPUTE_PGM_RSRC2:TGID_X_EN: 1
; COMPUTE_PGM_RSRC2:TGID_Y_EN: 0
; COMPUTE_PGM_RSRC2:TGID_Z_EN: 0
; COMPUTE_PGM_RSRC2:TIDIG_COMP_CNT: 0
; COMPUTE_PGM_RSRC3_GFX90A:ACCUM_OFFSET: 0
; COMPUTE_PGM_RSRC3_GFX90A:TG_SPLIT: 0
	.section	.text._ZN7rocprim17ROCPRIM_400000_NS6detail17trampoline_kernelINS0_14default_configENS1_27scan_by_key_config_selectorIiiEEZZNS1_16scan_by_key_implILNS1_25lookback_scan_determinismE0ELb0ES3_PKiN6hipcub16HIPCUB_304000_NS21ConstantInputIteratorIilEEPiiNSB_3SumENSB_8EqualityEiEE10hipError_tPvRmT2_T3_T4_T5_mT6_T7_P12ihipStream_tbENKUlT_T0_E_clISt17integral_constantIbLb0EESW_IbLb1EEEEDaSS_ST_EUlSS_E_NS1_11comp_targetILNS1_3genE10ELNS1_11target_archE1200ELNS1_3gpuE4ELNS1_3repE0EEENS1_30default_config_static_selectorELNS0_4arch9wavefront6targetE1EEEvT1_,"axG",@progbits,_ZN7rocprim17ROCPRIM_400000_NS6detail17trampoline_kernelINS0_14default_configENS1_27scan_by_key_config_selectorIiiEEZZNS1_16scan_by_key_implILNS1_25lookback_scan_determinismE0ELb0ES3_PKiN6hipcub16HIPCUB_304000_NS21ConstantInputIteratorIilEEPiiNSB_3SumENSB_8EqualityEiEE10hipError_tPvRmT2_T3_T4_T5_mT6_T7_P12ihipStream_tbENKUlT_T0_E_clISt17integral_constantIbLb0EESW_IbLb1EEEEDaSS_ST_EUlSS_E_NS1_11comp_targetILNS1_3genE10ELNS1_11target_archE1200ELNS1_3gpuE4ELNS1_3repE0EEENS1_30default_config_static_selectorELNS0_4arch9wavefront6targetE1EEEvT1_,comdat
	.protected	_ZN7rocprim17ROCPRIM_400000_NS6detail17trampoline_kernelINS0_14default_configENS1_27scan_by_key_config_selectorIiiEEZZNS1_16scan_by_key_implILNS1_25lookback_scan_determinismE0ELb0ES3_PKiN6hipcub16HIPCUB_304000_NS21ConstantInputIteratorIilEEPiiNSB_3SumENSB_8EqualityEiEE10hipError_tPvRmT2_T3_T4_T5_mT6_T7_P12ihipStream_tbENKUlT_T0_E_clISt17integral_constantIbLb0EESW_IbLb1EEEEDaSS_ST_EUlSS_E_NS1_11comp_targetILNS1_3genE10ELNS1_11target_archE1200ELNS1_3gpuE4ELNS1_3repE0EEENS1_30default_config_static_selectorELNS0_4arch9wavefront6targetE1EEEvT1_ ; -- Begin function _ZN7rocprim17ROCPRIM_400000_NS6detail17trampoline_kernelINS0_14default_configENS1_27scan_by_key_config_selectorIiiEEZZNS1_16scan_by_key_implILNS1_25lookback_scan_determinismE0ELb0ES3_PKiN6hipcub16HIPCUB_304000_NS21ConstantInputIteratorIilEEPiiNSB_3SumENSB_8EqualityEiEE10hipError_tPvRmT2_T3_T4_T5_mT6_T7_P12ihipStream_tbENKUlT_T0_E_clISt17integral_constantIbLb0EESW_IbLb1EEEEDaSS_ST_EUlSS_E_NS1_11comp_targetILNS1_3genE10ELNS1_11target_archE1200ELNS1_3gpuE4ELNS1_3repE0EEENS1_30default_config_static_selectorELNS0_4arch9wavefront6targetE1EEEvT1_
	.globl	_ZN7rocprim17ROCPRIM_400000_NS6detail17trampoline_kernelINS0_14default_configENS1_27scan_by_key_config_selectorIiiEEZZNS1_16scan_by_key_implILNS1_25lookback_scan_determinismE0ELb0ES3_PKiN6hipcub16HIPCUB_304000_NS21ConstantInputIteratorIilEEPiiNSB_3SumENSB_8EqualityEiEE10hipError_tPvRmT2_T3_T4_T5_mT6_T7_P12ihipStream_tbENKUlT_T0_E_clISt17integral_constantIbLb0EESW_IbLb1EEEEDaSS_ST_EUlSS_E_NS1_11comp_targetILNS1_3genE10ELNS1_11target_archE1200ELNS1_3gpuE4ELNS1_3repE0EEENS1_30default_config_static_selectorELNS0_4arch9wavefront6targetE1EEEvT1_
	.p2align	8
	.type	_ZN7rocprim17ROCPRIM_400000_NS6detail17trampoline_kernelINS0_14default_configENS1_27scan_by_key_config_selectorIiiEEZZNS1_16scan_by_key_implILNS1_25lookback_scan_determinismE0ELb0ES3_PKiN6hipcub16HIPCUB_304000_NS21ConstantInputIteratorIilEEPiiNSB_3SumENSB_8EqualityEiEE10hipError_tPvRmT2_T3_T4_T5_mT6_T7_P12ihipStream_tbENKUlT_T0_E_clISt17integral_constantIbLb0EESW_IbLb1EEEEDaSS_ST_EUlSS_E_NS1_11comp_targetILNS1_3genE10ELNS1_11target_archE1200ELNS1_3gpuE4ELNS1_3repE0EEENS1_30default_config_static_selectorELNS0_4arch9wavefront6targetE1EEEvT1_,@function
_ZN7rocprim17ROCPRIM_400000_NS6detail17trampoline_kernelINS0_14default_configENS1_27scan_by_key_config_selectorIiiEEZZNS1_16scan_by_key_implILNS1_25lookback_scan_determinismE0ELb0ES3_PKiN6hipcub16HIPCUB_304000_NS21ConstantInputIteratorIilEEPiiNSB_3SumENSB_8EqualityEiEE10hipError_tPvRmT2_T3_T4_T5_mT6_T7_P12ihipStream_tbENKUlT_T0_E_clISt17integral_constantIbLb0EESW_IbLb1EEEEDaSS_ST_EUlSS_E_NS1_11comp_targetILNS1_3genE10ELNS1_11target_archE1200ELNS1_3gpuE4ELNS1_3repE0EEENS1_30default_config_static_selectorELNS0_4arch9wavefront6targetE1EEEvT1_: ; @_ZN7rocprim17ROCPRIM_400000_NS6detail17trampoline_kernelINS0_14default_configENS1_27scan_by_key_config_selectorIiiEEZZNS1_16scan_by_key_implILNS1_25lookback_scan_determinismE0ELb0ES3_PKiN6hipcub16HIPCUB_304000_NS21ConstantInputIteratorIilEEPiiNSB_3SumENSB_8EqualityEiEE10hipError_tPvRmT2_T3_T4_T5_mT6_T7_P12ihipStream_tbENKUlT_T0_E_clISt17integral_constantIbLb0EESW_IbLb1EEEEDaSS_ST_EUlSS_E_NS1_11comp_targetILNS1_3genE10ELNS1_11target_archE1200ELNS1_3gpuE4ELNS1_3repE0EEENS1_30default_config_static_selectorELNS0_4arch9wavefront6targetE1EEEvT1_
; %bb.0:
	.section	.rodata,"a",@progbits
	.p2align	6, 0x0
	.amdhsa_kernel _ZN7rocprim17ROCPRIM_400000_NS6detail17trampoline_kernelINS0_14default_configENS1_27scan_by_key_config_selectorIiiEEZZNS1_16scan_by_key_implILNS1_25lookback_scan_determinismE0ELb0ES3_PKiN6hipcub16HIPCUB_304000_NS21ConstantInputIteratorIilEEPiiNSB_3SumENSB_8EqualityEiEE10hipError_tPvRmT2_T3_T4_T5_mT6_T7_P12ihipStream_tbENKUlT_T0_E_clISt17integral_constantIbLb0EESW_IbLb1EEEEDaSS_ST_EUlSS_E_NS1_11comp_targetILNS1_3genE10ELNS1_11target_archE1200ELNS1_3gpuE4ELNS1_3repE0EEENS1_30default_config_static_selectorELNS0_4arch9wavefront6targetE1EEEvT1_
		.amdhsa_group_segment_fixed_size 0
		.amdhsa_private_segment_fixed_size 0
		.amdhsa_kernarg_size 120
		.amdhsa_user_sgpr_count 2
		.amdhsa_user_sgpr_dispatch_ptr 0
		.amdhsa_user_sgpr_queue_ptr 0
		.amdhsa_user_sgpr_kernarg_segment_ptr 1
		.amdhsa_user_sgpr_dispatch_id 0
		.amdhsa_user_sgpr_kernarg_preload_length 0
		.amdhsa_user_sgpr_kernarg_preload_offset 0
		.amdhsa_user_sgpr_private_segment_size 0
		.amdhsa_uses_dynamic_stack 0
		.amdhsa_enable_private_segment 0
		.amdhsa_system_sgpr_workgroup_id_x 1
		.amdhsa_system_sgpr_workgroup_id_y 0
		.amdhsa_system_sgpr_workgroup_id_z 0
		.amdhsa_system_sgpr_workgroup_info 0
		.amdhsa_system_vgpr_workitem_id 0
		.amdhsa_next_free_vgpr 1
		.amdhsa_next_free_sgpr 0
		.amdhsa_accum_offset 4
		.amdhsa_reserve_vcc 0
		.amdhsa_float_round_mode_32 0
		.amdhsa_float_round_mode_16_64 0
		.amdhsa_float_denorm_mode_32 3
		.amdhsa_float_denorm_mode_16_64 3
		.amdhsa_dx10_clamp 1
		.amdhsa_ieee_mode 1
		.amdhsa_fp16_overflow 0
		.amdhsa_tg_split 0
		.amdhsa_exception_fp_ieee_invalid_op 0
		.amdhsa_exception_fp_denorm_src 0
		.amdhsa_exception_fp_ieee_div_zero 0
		.amdhsa_exception_fp_ieee_overflow 0
		.amdhsa_exception_fp_ieee_underflow 0
		.amdhsa_exception_fp_ieee_inexact 0
		.amdhsa_exception_int_div_zero 0
	.end_amdhsa_kernel
	.section	.text._ZN7rocprim17ROCPRIM_400000_NS6detail17trampoline_kernelINS0_14default_configENS1_27scan_by_key_config_selectorIiiEEZZNS1_16scan_by_key_implILNS1_25lookback_scan_determinismE0ELb0ES3_PKiN6hipcub16HIPCUB_304000_NS21ConstantInputIteratorIilEEPiiNSB_3SumENSB_8EqualityEiEE10hipError_tPvRmT2_T3_T4_T5_mT6_T7_P12ihipStream_tbENKUlT_T0_E_clISt17integral_constantIbLb0EESW_IbLb1EEEEDaSS_ST_EUlSS_E_NS1_11comp_targetILNS1_3genE10ELNS1_11target_archE1200ELNS1_3gpuE4ELNS1_3repE0EEENS1_30default_config_static_selectorELNS0_4arch9wavefront6targetE1EEEvT1_,"axG",@progbits,_ZN7rocprim17ROCPRIM_400000_NS6detail17trampoline_kernelINS0_14default_configENS1_27scan_by_key_config_selectorIiiEEZZNS1_16scan_by_key_implILNS1_25lookback_scan_determinismE0ELb0ES3_PKiN6hipcub16HIPCUB_304000_NS21ConstantInputIteratorIilEEPiiNSB_3SumENSB_8EqualityEiEE10hipError_tPvRmT2_T3_T4_T5_mT6_T7_P12ihipStream_tbENKUlT_T0_E_clISt17integral_constantIbLb0EESW_IbLb1EEEEDaSS_ST_EUlSS_E_NS1_11comp_targetILNS1_3genE10ELNS1_11target_archE1200ELNS1_3gpuE4ELNS1_3repE0EEENS1_30default_config_static_selectorELNS0_4arch9wavefront6targetE1EEEvT1_,comdat
.Lfunc_end49:
	.size	_ZN7rocprim17ROCPRIM_400000_NS6detail17trampoline_kernelINS0_14default_configENS1_27scan_by_key_config_selectorIiiEEZZNS1_16scan_by_key_implILNS1_25lookback_scan_determinismE0ELb0ES3_PKiN6hipcub16HIPCUB_304000_NS21ConstantInputIteratorIilEEPiiNSB_3SumENSB_8EqualityEiEE10hipError_tPvRmT2_T3_T4_T5_mT6_T7_P12ihipStream_tbENKUlT_T0_E_clISt17integral_constantIbLb0EESW_IbLb1EEEEDaSS_ST_EUlSS_E_NS1_11comp_targetILNS1_3genE10ELNS1_11target_archE1200ELNS1_3gpuE4ELNS1_3repE0EEENS1_30default_config_static_selectorELNS0_4arch9wavefront6targetE1EEEvT1_, .Lfunc_end49-_ZN7rocprim17ROCPRIM_400000_NS6detail17trampoline_kernelINS0_14default_configENS1_27scan_by_key_config_selectorIiiEEZZNS1_16scan_by_key_implILNS1_25lookback_scan_determinismE0ELb0ES3_PKiN6hipcub16HIPCUB_304000_NS21ConstantInputIteratorIilEEPiiNSB_3SumENSB_8EqualityEiEE10hipError_tPvRmT2_T3_T4_T5_mT6_T7_P12ihipStream_tbENKUlT_T0_E_clISt17integral_constantIbLb0EESW_IbLb1EEEEDaSS_ST_EUlSS_E_NS1_11comp_targetILNS1_3genE10ELNS1_11target_archE1200ELNS1_3gpuE4ELNS1_3repE0EEENS1_30default_config_static_selectorELNS0_4arch9wavefront6targetE1EEEvT1_
                                        ; -- End function
	.section	.AMDGPU.csdata,"",@progbits
; Kernel info:
; codeLenInByte = 0
; NumSgprs: 6
; NumVgprs: 0
; NumAgprs: 0
; TotalNumVgprs: 0
; ScratchSize: 0
; MemoryBound: 0
; FloatMode: 240
; IeeeMode: 1
; LDSByteSize: 0 bytes/workgroup (compile time only)
; SGPRBlocks: 0
; VGPRBlocks: 0
; NumSGPRsForWavesPerEU: 6
; NumVGPRsForWavesPerEU: 1
; AccumOffset: 4
; Occupancy: 8
; WaveLimiterHint : 0
; COMPUTE_PGM_RSRC2:SCRATCH_EN: 0
; COMPUTE_PGM_RSRC2:USER_SGPR: 2
; COMPUTE_PGM_RSRC2:TRAP_HANDLER: 0
; COMPUTE_PGM_RSRC2:TGID_X_EN: 1
; COMPUTE_PGM_RSRC2:TGID_Y_EN: 0
; COMPUTE_PGM_RSRC2:TGID_Z_EN: 0
; COMPUTE_PGM_RSRC2:TIDIG_COMP_CNT: 0
; COMPUTE_PGM_RSRC3_GFX90A:ACCUM_OFFSET: 0
; COMPUTE_PGM_RSRC3_GFX90A:TG_SPLIT: 0
	.section	.text._ZN7rocprim17ROCPRIM_400000_NS6detail17trampoline_kernelINS0_14default_configENS1_27scan_by_key_config_selectorIiiEEZZNS1_16scan_by_key_implILNS1_25lookback_scan_determinismE0ELb0ES3_PKiN6hipcub16HIPCUB_304000_NS21ConstantInputIteratorIilEEPiiNSB_3SumENSB_8EqualityEiEE10hipError_tPvRmT2_T3_T4_T5_mT6_T7_P12ihipStream_tbENKUlT_T0_E_clISt17integral_constantIbLb0EESW_IbLb1EEEEDaSS_ST_EUlSS_E_NS1_11comp_targetILNS1_3genE9ELNS1_11target_archE1100ELNS1_3gpuE3ELNS1_3repE0EEENS1_30default_config_static_selectorELNS0_4arch9wavefront6targetE1EEEvT1_,"axG",@progbits,_ZN7rocprim17ROCPRIM_400000_NS6detail17trampoline_kernelINS0_14default_configENS1_27scan_by_key_config_selectorIiiEEZZNS1_16scan_by_key_implILNS1_25lookback_scan_determinismE0ELb0ES3_PKiN6hipcub16HIPCUB_304000_NS21ConstantInputIteratorIilEEPiiNSB_3SumENSB_8EqualityEiEE10hipError_tPvRmT2_T3_T4_T5_mT6_T7_P12ihipStream_tbENKUlT_T0_E_clISt17integral_constantIbLb0EESW_IbLb1EEEEDaSS_ST_EUlSS_E_NS1_11comp_targetILNS1_3genE9ELNS1_11target_archE1100ELNS1_3gpuE3ELNS1_3repE0EEENS1_30default_config_static_selectorELNS0_4arch9wavefront6targetE1EEEvT1_,comdat
	.protected	_ZN7rocprim17ROCPRIM_400000_NS6detail17trampoline_kernelINS0_14default_configENS1_27scan_by_key_config_selectorIiiEEZZNS1_16scan_by_key_implILNS1_25lookback_scan_determinismE0ELb0ES3_PKiN6hipcub16HIPCUB_304000_NS21ConstantInputIteratorIilEEPiiNSB_3SumENSB_8EqualityEiEE10hipError_tPvRmT2_T3_T4_T5_mT6_T7_P12ihipStream_tbENKUlT_T0_E_clISt17integral_constantIbLb0EESW_IbLb1EEEEDaSS_ST_EUlSS_E_NS1_11comp_targetILNS1_3genE9ELNS1_11target_archE1100ELNS1_3gpuE3ELNS1_3repE0EEENS1_30default_config_static_selectorELNS0_4arch9wavefront6targetE1EEEvT1_ ; -- Begin function _ZN7rocprim17ROCPRIM_400000_NS6detail17trampoline_kernelINS0_14default_configENS1_27scan_by_key_config_selectorIiiEEZZNS1_16scan_by_key_implILNS1_25lookback_scan_determinismE0ELb0ES3_PKiN6hipcub16HIPCUB_304000_NS21ConstantInputIteratorIilEEPiiNSB_3SumENSB_8EqualityEiEE10hipError_tPvRmT2_T3_T4_T5_mT6_T7_P12ihipStream_tbENKUlT_T0_E_clISt17integral_constantIbLb0EESW_IbLb1EEEEDaSS_ST_EUlSS_E_NS1_11comp_targetILNS1_3genE9ELNS1_11target_archE1100ELNS1_3gpuE3ELNS1_3repE0EEENS1_30default_config_static_selectorELNS0_4arch9wavefront6targetE1EEEvT1_
	.globl	_ZN7rocprim17ROCPRIM_400000_NS6detail17trampoline_kernelINS0_14default_configENS1_27scan_by_key_config_selectorIiiEEZZNS1_16scan_by_key_implILNS1_25lookback_scan_determinismE0ELb0ES3_PKiN6hipcub16HIPCUB_304000_NS21ConstantInputIteratorIilEEPiiNSB_3SumENSB_8EqualityEiEE10hipError_tPvRmT2_T3_T4_T5_mT6_T7_P12ihipStream_tbENKUlT_T0_E_clISt17integral_constantIbLb0EESW_IbLb1EEEEDaSS_ST_EUlSS_E_NS1_11comp_targetILNS1_3genE9ELNS1_11target_archE1100ELNS1_3gpuE3ELNS1_3repE0EEENS1_30default_config_static_selectorELNS0_4arch9wavefront6targetE1EEEvT1_
	.p2align	8
	.type	_ZN7rocprim17ROCPRIM_400000_NS6detail17trampoline_kernelINS0_14default_configENS1_27scan_by_key_config_selectorIiiEEZZNS1_16scan_by_key_implILNS1_25lookback_scan_determinismE0ELb0ES3_PKiN6hipcub16HIPCUB_304000_NS21ConstantInputIteratorIilEEPiiNSB_3SumENSB_8EqualityEiEE10hipError_tPvRmT2_T3_T4_T5_mT6_T7_P12ihipStream_tbENKUlT_T0_E_clISt17integral_constantIbLb0EESW_IbLb1EEEEDaSS_ST_EUlSS_E_NS1_11comp_targetILNS1_3genE9ELNS1_11target_archE1100ELNS1_3gpuE3ELNS1_3repE0EEENS1_30default_config_static_selectorELNS0_4arch9wavefront6targetE1EEEvT1_,@function
_ZN7rocprim17ROCPRIM_400000_NS6detail17trampoline_kernelINS0_14default_configENS1_27scan_by_key_config_selectorIiiEEZZNS1_16scan_by_key_implILNS1_25lookback_scan_determinismE0ELb0ES3_PKiN6hipcub16HIPCUB_304000_NS21ConstantInputIteratorIilEEPiiNSB_3SumENSB_8EqualityEiEE10hipError_tPvRmT2_T3_T4_T5_mT6_T7_P12ihipStream_tbENKUlT_T0_E_clISt17integral_constantIbLb0EESW_IbLb1EEEEDaSS_ST_EUlSS_E_NS1_11comp_targetILNS1_3genE9ELNS1_11target_archE1100ELNS1_3gpuE3ELNS1_3repE0EEENS1_30default_config_static_selectorELNS0_4arch9wavefront6targetE1EEEvT1_: ; @_ZN7rocprim17ROCPRIM_400000_NS6detail17trampoline_kernelINS0_14default_configENS1_27scan_by_key_config_selectorIiiEEZZNS1_16scan_by_key_implILNS1_25lookback_scan_determinismE0ELb0ES3_PKiN6hipcub16HIPCUB_304000_NS21ConstantInputIteratorIilEEPiiNSB_3SumENSB_8EqualityEiEE10hipError_tPvRmT2_T3_T4_T5_mT6_T7_P12ihipStream_tbENKUlT_T0_E_clISt17integral_constantIbLb0EESW_IbLb1EEEEDaSS_ST_EUlSS_E_NS1_11comp_targetILNS1_3genE9ELNS1_11target_archE1100ELNS1_3gpuE3ELNS1_3repE0EEENS1_30default_config_static_selectorELNS0_4arch9wavefront6targetE1EEEvT1_
; %bb.0:
	.section	.rodata,"a",@progbits
	.p2align	6, 0x0
	.amdhsa_kernel _ZN7rocprim17ROCPRIM_400000_NS6detail17trampoline_kernelINS0_14default_configENS1_27scan_by_key_config_selectorIiiEEZZNS1_16scan_by_key_implILNS1_25lookback_scan_determinismE0ELb0ES3_PKiN6hipcub16HIPCUB_304000_NS21ConstantInputIteratorIilEEPiiNSB_3SumENSB_8EqualityEiEE10hipError_tPvRmT2_T3_T4_T5_mT6_T7_P12ihipStream_tbENKUlT_T0_E_clISt17integral_constantIbLb0EESW_IbLb1EEEEDaSS_ST_EUlSS_E_NS1_11comp_targetILNS1_3genE9ELNS1_11target_archE1100ELNS1_3gpuE3ELNS1_3repE0EEENS1_30default_config_static_selectorELNS0_4arch9wavefront6targetE1EEEvT1_
		.amdhsa_group_segment_fixed_size 0
		.amdhsa_private_segment_fixed_size 0
		.amdhsa_kernarg_size 120
		.amdhsa_user_sgpr_count 2
		.amdhsa_user_sgpr_dispatch_ptr 0
		.amdhsa_user_sgpr_queue_ptr 0
		.amdhsa_user_sgpr_kernarg_segment_ptr 1
		.amdhsa_user_sgpr_dispatch_id 0
		.amdhsa_user_sgpr_kernarg_preload_length 0
		.amdhsa_user_sgpr_kernarg_preload_offset 0
		.amdhsa_user_sgpr_private_segment_size 0
		.amdhsa_uses_dynamic_stack 0
		.amdhsa_enable_private_segment 0
		.amdhsa_system_sgpr_workgroup_id_x 1
		.amdhsa_system_sgpr_workgroup_id_y 0
		.amdhsa_system_sgpr_workgroup_id_z 0
		.amdhsa_system_sgpr_workgroup_info 0
		.amdhsa_system_vgpr_workitem_id 0
		.amdhsa_next_free_vgpr 1
		.amdhsa_next_free_sgpr 0
		.amdhsa_accum_offset 4
		.amdhsa_reserve_vcc 0
		.amdhsa_float_round_mode_32 0
		.amdhsa_float_round_mode_16_64 0
		.amdhsa_float_denorm_mode_32 3
		.amdhsa_float_denorm_mode_16_64 3
		.amdhsa_dx10_clamp 1
		.amdhsa_ieee_mode 1
		.amdhsa_fp16_overflow 0
		.amdhsa_tg_split 0
		.amdhsa_exception_fp_ieee_invalid_op 0
		.amdhsa_exception_fp_denorm_src 0
		.amdhsa_exception_fp_ieee_div_zero 0
		.amdhsa_exception_fp_ieee_overflow 0
		.amdhsa_exception_fp_ieee_underflow 0
		.amdhsa_exception_fp_ieee_inexact 0
		.amdhsa_exception_int_div_zero 0
	.end_amdhsa_kernel
	.section	.text._ZN7rocprim17ROCPRIM_400000_NS6detail17trampoline_kernelINS0_14default_configENS1_27scan_by_key_config_selectorIiiEEZZNS1_16scan_by_key_implILNS1_25lookback_scan_determinismE0ELb0ES3_PKiN6hipcub16HIPCUB_304000_NS21ConstantInputIteratorIilEEPiiNSB_3SumENSB_8EqualityEiEE10hipError_tPvRmT2_T3_T4_T5_mT6_T7_P12ihipStream_tbENKUlT_T0_E_clISt17integral_constantIbLb0EESW_IbLb1EEEEDaSS_ST_EUlSS_E_NS1_11comp_targetILNS1_3genE9ELNS1_11target_archE1100ELNS1_3gpuE3ELNS1_3repE0EEENS1_30default_config_static_selectorELNS0_4arch9wavefront6targetE1EEEvT1_,"axG",@progbits,_ZN7rocprim17ROCPRIM_400000_NS6detail17trampoline_kernelINS0_14default_configENS1_27scan_by_key_config_selectorIiiEEZZNS1_16scan_by_key_implILNS1_25lookback_scan_determinismE0ELb0ES3_PKiN6hipcub16HIPCUB_304000_NS21ConstantInputIteratorIilEEPiiNSB_3SumENSB_8EqualityEiEE10hipError_tPvRmT2_T3_T4_T5_mT6_T7_P12ihipStream_tbENKUlT_T0_E_clISt17integral_constantIbLb0EESW_IbLb1EEEEDaSS_ST_EUlSS_E_NS1_11comp_targetILNS1_3genE9ELNS1_11target_archE1100ELNS1_3gpuE3ELNS1_3repE0EEENS1_30default_config_static_selectorELNS0_4arch9wavefront6targetE1EEEvT1_,comdat
.Lfunc_end50:
	.size	_ZN7rocprim17ROCPRIM_400000_NS6detail17trampoline_kernelINS0_14default_configENS1_27scan_by_key_config_selectorIiiEEZZNS1_16scan_by_key_implILNS1_25lookback_scan_determinismE0ELb0ES3_PKiN6hipcub16HIPCUB_304000_NS21ConstantInputIteratorIilEEPiiNSB_3SumENSB_8EqualityEiEE10hipError_tPvRmT2_T3_T4_T5_mT6_T7_P12ihipStream_tbENKUlT_T0_E_clISt17integral_constantIbLb0EESW_IbLb1EEEEDaSS_ST_EUlSS_E_NS1_11comp_targetILNS1_3genE9ELNS1_11target_archE1100ELNS1_3gpuE3ELNS1_3repE0EEENS1_30default_config_static_selectorELNS0_4arch9wavefront6targetE1EEEvT1_, .Lfunc_end50-_ZN7rocprim17ROCPRIM_400000_NS6detail17trampoline_kernelINS0_14default_configENS1_27scan_by_key_config_selectorIiiEEZZNS1_16scan_by_key_implILNS1_25lookback_scan_determinismE0ELb0ES3_PKiN6hipcub16HIPCUB_304000_NS21ConstantInputIteratorIilEEPiiNSB_3SumENSB_8EqualityEiEE10hipError_tPvRmT2_T3_T4_T5_mT6_T7_P12ihipStream_tbENKUlT_T0_E_clISt17integral_constantIbLb0EESW_IbLb1EEEEDaSS_ST_EUlSS_E_NS1_11comp_targetILNS1_3genE9ELNS1_11target_archE1100ELNS1_3gpuE3ELNS1_3repE0EEENS1_30default_config_static_selectorELNS0_4arch9wavefront6targetE1EEEvT1_
                                        ; -- End function
	.section	.AMDGPU.csdata,"",@progbits
; Kernel info:
; codeLenInByte = 0
; NumSgprs: 6
; NumVgprs: 0
; NumAgprs: 0
; TotalNumVgprs: 0
; ScratchSize: 0
; MemoryBound: 0
; FloatMode: 240
; IeeeMode: 1
; LDSByteSize: 0 bytes/workgroup (compile time only)
; SGPRBlocks: 0
; VGPRBlocks: 0
; NumSGPRsForWavesPerEU: 6
; NumVGPRsForWavesPerEU: 1
; AccumOffset: 4
; Occupancy: 8
; WaveLimiterHint : 0
; COMPUTE_PGM_RSRC2:SCRATCH_EN: 0
; COMPUTE_PGM_RSRC2:USER_SGPR: 2
; COMPUTE_PGM_RSRC2:TRAP_HANDLER: 0
; COMPUTE_PGM_RSRC2:TGID_X_EN: 1
; COMPUTE_PGM_RSRC2:TGID_Y_EN: 0
; COMPUTE_PGM_RSRC2:TGID_Z_EN: 0
; COMPUTE_PGM_RSRC2:TIDIG_COMP_CNT: 0
; COMPUTE_PGM_RSRC3_GFX90A:ACCUM_OFFSET: 0
; COMPUTE_PGM_RSRC3_GFX90A:TG_SPLIT: 0
	.section	.text._ZN7rocprim17ROCPRIM_400000_NS6detail17trampoline_kernelINS0_14default_configENS1_27scan_by_key_config_selectorIiiEEZZNS1_16scan_by_key_implILNS1_25lookback_scan_determinismE0ELb0ES3_PKiN6hipcub16HIPCUB_304000_NS21ConstantInputIteratorIilEEPiiNSB_3SumENSB_8EqualityEiEE10hipError_tPvRmT2_T3_T4_T5_mT6_T7_P12ihipStream_tbENKUlT_T0_E_clISt17integral_constantIbLb0EESW_IbLb1EEEEDaSS_ST_EUlSS_E_NS1_11comp_targetILNS1_3genE8ELNS1_11target_archE1030ELNS1_3gpuE2ELNS1_3repE0EEENS1_30default_config_static_selectorELNS0_4arch9wavefront6targetE1EEEvT1_,"axG",@progbits,_ZN7rocprim17ROCPRIM_400000_NS6detail17trampoline_kernelINS0_14default_configENS1_27scan_by_key_config_selectorIiiEEZZNS1_16scan_by_key_implILNS1_25lookback_scan_determinismE0ELb0ES3_PKiN6hipcub16HIPCUB_304000_NS21ConstantInputIteratorIilEEPiiNSB_3SumENSB_8EqualityEiEE10hipError_tPvRmT2_T3_T4_T5_mT6_T7_P12ihipStream_tbENKUlT_T0_E_clISt17integral_constantIbLb0EESW_IbLb1EEEEDaSS_ST_EUlSS_E_NS1_11comp_targetILNS1_3genE8ELNS1_11target_archE1030ELNS1_3gpuE2ELNS1_3repE0EEENS1_30default_config_static_selectorELNS0_4arch9wavefront6targetE1EEEvT1_,comdat
	.protected	_ZN7rocprim17ROCPRIM_400000_NS6detail17trampoline_kernelINS0_14default_configENS1_27scan_by_key_config_selectorIiiEEZZNS1_16scan_by_key_implILNS1_25lookback_scan_determinismE0ELb0ES3_PKiN6hipcub16HIPCUB_304000_NS21ConstantInputIteratorIilEEPiiNSB_3SumENSB_8EqualityEiEE10hipError_tPvRmT2_T3_T4_T5_mT6_T7_P12ihipStream_tbENKUlT_T0_E_clISt17integral_constantIbLb0EESW_IbLb1EEEEDaSS_ST_EUlSS_E_NS1_11comp_targetILNS1_3genE8ELNS1_11target_archE1030ELNS1_3gpuE2ELNS1_3repE0EEENS1_30default_config_static_selectorELNS0_4arch9wavefront6targetE1EEEvT1_ ; -- Begin function _ZN7rocprim17ROCPRIM_400000_NS6detail17trampoline_kernelINS0_14default_configENS1_27scan_by_key_config_selectorIiiEEZZNS1_16scan_by_key_implILNS1_25lookback_scan_determinismE0ELb0ES3_PKiN6hipcub16HIPCUB_304000_NS21ConstantInputIteratorIilEEPiiNSB_3SumENSB_8EqualityEiEE10hipError_tPvRmT2_T3_T4_T5_mT6_T7_P12ihipStream_tbENKUlT_T0_E_clISt17integral_constantIbLb0EESW_IbLb1EEEEDaSS_ST_EUlSS_E_NS1_11comp_targetILNS1_3genE8ELNS1_11target_archE1030ELNS1_3gpuE2ELNS1_3repE0EEENS1_30default_config_static_selectorELNS0_4arch9wavefront6targetE1EEEvT1_
	.globl	_ZN7rocprim17ROCPRIM_400000_NS6detail17trampoline_kernelINS0_14default_configENS1_27scan_by_key_config_selectorIiiEEZZNS1_16scan_by_key_implILNS1_25lookback_scan_determinismE0ELb0ES3_PKiN6hipcub16HIPCUB_304000_NS21ConstantInputIteratorIilEEPiiNSB_3SumENSB_8EqualityEiEE10hipError_tPvRmT2_T3_T4_T5_mT6_T7_P12ihipStream_tbENKUlT_T0_E_clISt17integral_constantIbLb0EESW_IbLb1EEEEDaSS_ST_EUlSS_E_NS1_11comp_targetILNS1_3genE8ELNS1_11target_archE1030ELNS1_3gpuE2ELNS1_3repE0EEENS1_30default_config_static_selectorELNS0_4arch9wavefront6targetE1EEEvT1_
	.p2align	8
	.type	_ZN7rocprim17ROCPRIM_400000_NS6detail17trampoline_kernelINS0_14default_configENS1_27scan_by_key_config_selectorIiiEEZZNS1_16scan_by_key_implILNS1_25lookback_scan_determinismE0ELb0ES3_PKiN6hipcub16HIPCUB_304000_NS21ConstantInputIteratorIilEEPiiNSB_3SumENSB_8EqualityEiEE10hipError_tPvRmT2_T3_T4_T5_mT6_T7_P12ihipStream_tbENKUlT_T0_E_clISt17integral_constantIbLb0EESW_IbLb1EEEEDaSS_ST_EUlSS_E_NS1_11comp_targetILNS1_3genE8ELNS1_11target_archE1030ELNS1_3gpuE2ELNS1_3repE0EEENS1_30default_config_static_selectorELNS0_4arch9wavefront6targetE1EEEvT1_,@function
_ZN7rocprim17ROCPRIM_400000_NS6detail17trampoline_kernelINS0_14default_configENS1_27scan_by_key_config_selectorIiiEEZZNS1_16scan_by_key_implILNS1_25lookback_scan_determinismE0ELb0ES3_PKiN6hipcub16HIPCUB_304000_NS21ConstantInputIteratorIilEEPiiNSB_3SumENSB_8EqualityEiEE10hipError_tPvRmT2_T3_T4_T5_mT6_T7_P12ihipStream_tbENKUlT_T0_E_clISt17integral_constantIbLb0EESW_IbLb1EEEEDaSS_ST_EUlSS_E_NS1_11comp_targetILNS1_3genE8ELNS1_11target_archE1030ELNS1_3gpuE2ELNS1_3repE0EEENS1_30default_config_static_selectorELNS0_4arch9wavefront6targetE1EEEvT1_: ; @_ZN7rocprim17ROCPRIM_400000_NS6detail17trampoline_kernelINS0_14default_configENS1_27scan_by_key_config_selectorIiiEEZZNS1_16scan_by_key_implILNS1_25lookback_scan_determinismE0ELb0ES3_PKiN6hipcub16HIPCUB_304000_NS21ConstantInputIteratorIilEEPiiNSB_3SumENSB_8EqualityEiEE10hipError_tPvRmT2_T3_T4_T5_mT6_T7_P12ihipStream_tbENKUlT_T0_E_clISt17integral_constantIbLb0EESW_IbLb1EEEEDaSS_ST_EUlSS_E_NS1_11comp_targetILNS1_3genE8ELNS1_11target_archE1030ELNS1_3gpuE2ELNS1_3repE0EEENS1_30default_config_static_selectorELNS0_4arch9wavefront6targetE1EEEvT1_
; %bb.0:
	.section	.rodata,"a",@progbits
	.p2align	6, 0x0
	.amdhsa_kernel _ZN7rocprim17ROCPRIM_400000_NS6detail17trampoline_kernelINS0_14default_configENS1_27scan_by_key_config_selectorIiiEEZZNS1_16scan_by_key_implILNS1_25lookback_scan_determinismE0ELb0ES3_PKiN6hipcub16HIPCUB_304000_NS21ConstantInputIteratorIilEEPiiNSB_3SumENSB_8EqualityEiEE10hipError_tPvRmT2_T3_T4_T5_mT6_T7_P12ihipStream_tbENKUlT_T0_E_clISt17integral_constantIbLb0EESW_IbLb1EEEEDaSS_ST_EUlSS_E_NS1_11comp_targetILNS1_3genE8ELNS1_11target_archE1030ELNS1_3gpuE2ELNS1_3repE0EEENS1_30default_config_static_selectorELNS0_4arch9wavefront6targetE1EEEvT1_
		.amdhsa_group_segment_fixed_size 0
		.amdhsa_private_segment_fixed_size 0
		.amdhsa_kernarg_size 120
		.amdhsa_user_sgpr_count 2
		.amdhsa_user_sgpr_dispatch_ptr 0
		.amdhsa_user_sgpr_queue_ptr 0
		.amdhsa_user_sgpr_kernarg_segment_ptr 1
		.amdhsa_user_sgpr_dispatch_id 0
		.amdhsa_user_sgpr_kernarg_preload_length 0
		.amdhsa_user_sgpr_kernarg_preload_offset 0
		.amdhsa_user_sgpr_private_segment_size 0
		.amdhsa_uses_dynamic_stack 0
		.amdhsa_enable_private_segment 0
		.amdhsa_system_sgpr_workgroup_id_x 1
		.amdhsa_system_sgpr_workgroup_id_y 0
		.amdhsa_system_sgpr_workgroup_id_z 0
		.amdhsa_system_sgpr_workgroup_info 0
		.amdhsa_system_vgpr_workitem_id 0
		.amdhsa_next_free_vgpr 1
		.amdhsa_next_free_sgpr 0
		.amdhsa_accum_offset 4
		.amdhsa_reserve_vcc 0
		.amdhsa_float_round_mode_32 0
		.amdhsa_float_round_mode_16_64 0
		.amdhsa_float_denorm_mode_32 3
		.amdhsa_float_denorm_mode_16_64 3
		.amdhsa_dx10_clamp 1
		.amdhsa_ieee_mode 1
		.amdhsa_fp16_overflow 0
		.amdhsa_tg_split 0
		.amdhsa_exception_fp_ieee_invalid_op 0
		.amdhsa_exception_fp_denorm_src 0
		.amdhsa_exception_fp_ieee_div_zero 0
		.amdhsa_exception_fp_ieee_overflow 0
		.amdhsa_exception_fp_ieee_underflow 0
		.amdhsa_exception_fp_ieee_inexact 0
		.amdhsa_exception_int_div_zero 0
	.end_amdhsa_kernel
	.section	.text._ZN7rocprim17ROCPRIM_400000_NS6detail17trampoline_kernelINS0_14default_configENS1_27scan_by_key_config_selectorIiiEEZZNS1_16scan_by_key_implILNS1_25lookback_scan_determinismE0ELb0ES3_PKiN6hipcub16HIPCUB_304000_NS21ConstantInputIteratorIilEEPiiNSB_3SumENSB_8EqualityEiEE10hipError_tPvRmT2_T3_T4_T5_mT6_T7_P12ihipStream_tbENKUlT_T0_E_clISt17integral_constantIbLb0EESW_IbLb1EEEEDaSS_ST_EUlSS_E_NS1_11comp_targetILNS1_3genE8ELNS1_11target_archE1030ELNS1_3gpuE2ELNS1_3repE0EEENS1_30default_config_static_selectorELNS0_4arch9wavefront6targetE1EEEvT1_,"axG",@progbits,_ZN7rocprim17ROCPRIM_400000_NS6detail17trampoline_kernelINS0_14default_configENS1_27scan_by_key_config_selectorIiiEEZZNS1_16scan_by_key_implILNS1_25lookback_scan_determinismE0ELb0ES3_PKiN6hipcub16HIPCUB_304000_NS21ConstantInputIteratorIilEEPiiNSB_3SumENSB_8EqualityEiEE10hipError_tPvRmT2_T3_T4_T5_mT6_T7_P12ihipStream_tbENKUlT_T0_E_clISt17integral_constantIbLb0EESW_IbLb1EEEEDaSS_ST_EUlSS_E_NS1_11comp_targetILNS1_3genE8ELNS1_11target_archE1030ELNS1_3gpuE2ELNS1_3repE0EEENS1_30default_config_static_selectorELNS0_4arch9wavefront6targetE1EEEvT1_,comdat
.Lfunc_end51:
	.size	_ZN7rocprim17ROCPRIM_400000_NS6detail17trampoline_kernelINS0_14default_configENS1_27scan_by_key_config_selectorIiiEEZZNS1_16scan_by_key_implILNS1_25lookback_scan_determinismE0ELb0ES3_PKiN6hipcub16HIPCUB_304000_NS21ConstantInputIteratorIilEEPiiNSB_3SumENSB_8EqualityEiEE10hipError_tPvRmT2_T3_T4_T5_mT6_T7_P12ihipStream_tbENKUlT_T0_E_clISt17integral_constantIbLb0EESW_IbLb1EEEEDaSS_ST_EUlSS_E_NS1_11comp_targetILNS1_3genE8ELNS1_11target_archE1030ELNS1_3gpuE2ELNS1_3repE0EEENS1_30default_config_static_selectorELNS0_4arch9wavefront6targetE1EEEvT1_, .Lfunc_end51-_ZN7rocprim17ROCPRIM_400000_NS6detail17trampoline_kernelINS0_14default_configENS1_27scan_by_key_config_selectorIiiEEZZNS1_16scan_by_key_implILNS1_25lookback_scan_determinismE0ELb0ES3_PKiN6hipcub16HIPCUB_304000_NS21ConstantInputIteratorIilEEPiiNSB_3SumENSB_8EqualityEiEE10hipError_tPvRmT2_T3_T4_T5_mT6_T7_P12ihipStream_tbENKUlT_T0_E_clISt17integral_constantIbLb0EESW_IbLb1EEEEDaSS_ST_EUlSS_E_NS1_11comp_targetILNS1_3genE8ELNS1_11target_archE1030ELNS1_3gpuE2ELNS1_3repE0EEENS1_30default_config_static_selectorELNS0_4arch9wavefront6targetE1EEEvT1_
                                        ; -- End function
	.section	.AMDGPU.csdata,"",@progbits
; Kernel info:
; codeLenInByte = 0
; NumSgprs: 6
; NumVgprs: 0
; NumAgprs: 0
; TotalNumVgprs: 0
; ScratchSize: 0
; MemoryBound: 0
; FloatMode: 240
; IeeeMode: 1
; LDSByteSize: 0 bytes/workgroup (compile time only)
; SGPRBlocks: 0
; VGPRBlocks: 0
; NumSGPRsForWavesPerEU: 6
; NumVGPRsForWavesPerEU: 1
; AccumOffset: 4
; Occupancy: 8
; WaveLimiterHint : 0
; COMPUTE_PGM_RSRC2:SCRATCH_EN: 0
; COMPUTE_PGM_RSRC2:USER_SGPR: 2
; COMPUTE_PGM_RSRC2:TRAP_HANDLER: 0
; COMPUTE_PGM_RSRC2:TGID_X_EN: 1
; COMPUTE_PGM_RSRC2:TGID_Y_EN: 0
; COMPUTE_PGM_RSRC2:TGID_Z_EN: 0
; COMPUTE_PGM_RSRC2:TIDIG_COMP_CNT: 0
; COMPUTE_PGM_RSRC3_GFX90A:ACCUM_OFFSET: 0
; COMPUTE_PGM_RSRC3_GFX90A:TG_SPLIT: 0
	.section	.text._ZN7rocprim17ROCPRIM_400000_NS6detail30init_device_scan_by_key_kernelINS1_19lookback_scan_stateINS0_5tupleIJibEEELb0ELb1EEEN6thrust23THRUST_200600_302600_NS16reverse_iteratorIPKiEEjNS1_16block_id_wrapperIjLb0EEEEEvT_jjPNSF_10value_typeET0_PNSt15iterator_traitsISI_E10value_typeEmT1_T2_,"axG",@progbits,_ZN7rocprim17ROCPRIM_400000_NS6detail30init_device_scan_by_key_kernelINS1_19lookback_scan_stateINS0_5tupleIJibEEELb0ELb1EEEN6thrust23THRUST_200600_302600_NS16reverse_iteratorIPKiEEjNS1_16block_id_wrapperIjLb0EEEEEvT_jjPNSF_10value_typeET0_PNSt15iterator_traitsISI_E10value_typeEmT1_T2_,comdat
	.protected	_ZN7rocprim17ROCPRIM_400000_NS6detail30init_device_scan_by_key_kernelINS1_19lookback_scan_stateINS0_5tupleIJibEEELb0ELb1EEEN6thrust23THRUST_200600_302600_NS16reverse_iteratorIPKiEEjNS1_16block_id_wrapperIjLb0EEEEEvT_jjPNSF_10value_typeET0_PNSt15iterator_traitsISI_E10value_typeEmT1_T2_ ; -- Begin function _ZN7rocprim17ROCPRIM_400000_NS6detail30init_device_scan_by_key_kernelINS1_19lookback_scan_stateINS0_5tupleIJibEEELb0ELb1EEEN6thrust23THRUST_200600_302600_NS16reverse_iteratorIPKiEEjNS1_16block_id_wrapperIjLb0EEEEEvT_jjPNSF_10value_typeET0_PNSt15iterator_traitsISI_E10value_typeEmT1_T2_
	.globl	_ZN7rocprim17ROCPRIM_400000_NS6detail30init_device_scan_by_key_kernelINS1_19lookback_scan_stateINS0_5tupleIJibEEELb0ELb1EEEN6thrust23THRUST_200600_302600_NS16reverse_iteratorIPKiEEjNS1_16block_id_wrapperIjLb0EEEEEvT_jjPNSF_10value_typeET0_PNSt15iterator_traitsISI_E10value_typeEmT1_T2_
	.p2align	8
	.type	_ZN7rocprim17ROCPRIM_400000_NS6detail30init_device_scan_by_key_kernelINS1_19lookback_scan_stateINS0_5tupleIJibEEELb0ELb1EEEN6thrust23THRUST_200600_302600_NS16reverse_iteratorIPKiEEjNS1_16block_id_wrapperIjLb0EEEEEvT_jjPNSF_10value_typeET0_PNSt15iterator_traitsISI_E10value_typeEmT1_T2_,@function
_ZN7rocprim17ROCPRIM_400000_NS6detail30init_device_scan_by_key_kernelINS1_19lookback_scan_stateINS0_5tupleIJibEEELb0ELb1EEEN6thrust23THRUST_200600_302600_NS16reverse_iteratorIPKiEEjNS1_16block_id_wrapperIjLb0EEEEEvT_jjPNSF_10value_typeET0_PNSt15iterator_traitsISI_E10value_typeEmT1_T2_: ; @_ZN7rocprim17ROCPRIM_400000_NS6detail30init_device_scan_by_key_kernelINS1_19lookback_scan_stateINS0_5tupleIJibEEELb0ELb1EEEN6thrust23THRUST_200600_302600_NS16reverse_iteratorIPKiEEjNS1_16block_id_wrapperIjLb0EEEEEvT_jjPNSF_10value_typeET0_PNSt15iterator_traitsISI_E10value_typeEmT1_T2_
; %bb.0:
	s_load_dword s3, s[0:1], 0x44
	s_load_dwordx8 s[4:11], s[0:1], 0x0
	s_load_dword s18, s[0:1], 0x38
	s_waitcnt lgkmcnt(0)
	s_and_b32 s19, s3, 0xffff
	s_mul_i32 s2, s2, s19
	s_cmp_eq_u64 s[8:9], 0
	v_add_u32_e32 v4, s2, v0
	s_cbranch_scc1 .LBB52_8
; %bb.1:
	s_cmp_lt_u32 s7, s6
	s_cselect_b32 s2, s7, 0
	s_mov_b32 s13, 0
	v_cmp_eq_u32_e32 vcc, s2, v4
	s_and_saveexec_b64 s[2:3], vcc
	s_cbranch_execz .LBB52_7
; %bb.2:
	s_add_i32 s12, s7, 64
	s_lshl_b64 s[12:13], s[12:13], 4
	s_add_u32 s16, s4, s12
	s_addc_u32 s17, s5, s13
	v_mov_b64_e32 v[0:1], s[16:17]
	;;#ASMSTART
	global_load_dwordx4 v[0:3], v[0:1] off sc1	
s_waitcnt vmcnt(0)
	;;#ASMEND
	v_mov_b32_e32 v7, 0
	v_and_b32_e32 v6, 0xff, v2
	s_mov_b64 s[14:15], 0
	v_cmp_eq_u64_e32 vcc, 0, v[6:7]
	s_and_saveexec_b64 s[12:13], vcc
	s_cbranch_execz .LBB52_6
; %bb.3:
	v_mov_b64_e32 v[8:9], s[16:17]
.LBB52_4:                               ; =>This Inner Loop Header: Depth=1
	;;#ASMSTART
	global_load_dwordx4 v[0:3], v[8:9] off sc1	
s_waitcnt vmcnt(0)
	;;#ASMEND
	s_nop 0
	v_and_b32_e32 v6, 0xff, v2
	v_cmp_ne_u64_e32 vcc, 0, v[6:7]
	s_or_b64 s[14:15], vcc, s[14:15]
	s_andn2_b64 exec, exec, s[14:15]
	s_cbranch_execnz .LBB52_4
; %bb.5:
	s_or_b64 exec, exec, s[14:15]
.LBB52_6:
	s_or_b64 exec, exec, s[12:13]
	v_mov_b32_e32 v2, 0
	global_store_dword v2, v0, s[8:9]
	global_store_byte v2, v1, s[8:9] offset:4
.LBB52_7:
	s_or_b64 exec, exec, s[2:3]
.LBB52_8:
	v_cmp_gt_u32_e32 vcc, s6, v4
	s_and_saveexec_b64 s[2:3], vcc
	s_cbranch_execz .LBB52_10
; %bb.9:
	v_add_u32_e32 v0, 64, v4
	v_mov_b32_e32 v1, 0
	v_lshl_add_u64 v[6:7], v[0:1], 4, s[4:5]
	v_mov_b32_e32 v0, v1
	v_mov_b32_e32 v2, v1
	;; [unrolled: 1-line block ×3, first 2 shown]
	global_store_dwordx4 v[6:7], v[0:3], off
.LBB52_10:
	s_or_b64 exec, exec, s[2:3]
	v_cmp_gt_u32_e32 vcc, 64, v4
	v_mov_b32_e32 v5, 0
	s_and_saveexec_b64 s[2:3], vcc
	s_cbranch_execz .LBB52_12
; %bb.11:
	v_lshl_add_u64 v[6:7], v[4:5], 4, s[4:5]
	v_mov_b32_e32 v2, 0xff
	v_mov_b32_e32 v0, v5
	;; [unrolled: 1-line block ×4, first 2 shown]
	global_store_dwordx4 v[6:7], v[0:3], off
.LBB52_12:
	s_or_b64 exec, exec, s[2:3]
	s_load_dwordx2 s[2:3], s[0:1], 0x28
	s_waitcnt lgkmcnt(0)
	v_cmp_gt_u64_e32 vcc, s[2:3], v[4:5]
	s_and_saveexec_b64 s[4:5], vcc
	s_cbranch_execz .LBB52_15
; %bb.13:
	s_load_dword s6, s[0:1], 0x30
	s_load_dwordx2 s[8:9], s[0:1], 0x20
	v_mov_b32_e32 v1, 0
	s_mul_i32 s0, s18, s19
	v_mov_b32_e32 v2, s11
	s_waitcnt lgkmcnt(0)
	s_add_i32 s4, s6, -1
	v_mov_b32_e32 v0, s4
	v_mad_u64_u32 v[0:1], s[4:5], s6, v4, v[0:1]
	v_lshlrev_b64 v[0:1], 2, v[0:1]
	s_mul_hi_u32 s5, s6, s0
	s_mul_i32 s4, s6, s0
	v_sub_co_u32_e32 v0, vcc, s10, v0
	s_lshl_b64 s[6:7], s[4:5], 2
	s_mov_b32 s1, 0
	v_subb_co_u32_e32 v1, vcc, v2, v1, vcc
	s_sub_u32 s6, 0, s6
	v_lshl_add_u64 v[0:1], v[0:1], 0, -4
	s_mov_b64 s[4:5], 0
	s_subb_u32 s7, 0, s7
	v_lshl_add_u64 v[2:3], v[4:5], 2, s[8:9]
	s_lshl_b64 s[8:9], s[0:1], 2
.LBB52_14:                              ; =>This Inner Loop Header: Depth=1
	global_load_dword v6, v[0:1], off
	v_lshl_add_u64 v[4:5], v[4:5], 0, s[0:1]
	v_cmp_le_u64_e32 vcc, s[2:3], v[4:5]
	v_lshl_add_u64 v[0:1], v[0:1], 0, s[6:7]
	s_or_b64 s[4:5], vcc, s[4:5]
	s_waitcnt vmcnt(0)
	global_store_dword v[2:3], v6, off
	v_lshl_add_u64 v[2:3], v[2:3], 0, s[8:9]
	s_andn2_b64 exec, exec, s[4:5]
	s_cbranch_execnz .LBB52_14
.LBB52_15:
	s_endpgm
	.section	.rodata,"a",@progbits
	.p2align	6, 0x0
	.amdhsa_kernel _ZN7rocprim17ROCPRIM_400000_NS6detail30init_device_scan_by_key_kernelINS1_19lookback_scan_stateINS0_5tupleIJibEEELb0ELb1EEEN6thrust23THRUST_200600_302600_NS16reverse_iteratorIPKiEEjNS1_16block_id_wrapperIjLb0EEEEEvT_jjPNSF_10value_typeET0_PNSt15iterator_traitsISI_E10value_typeEmT1_T2_
		.amdhsa_group_segment_fixed_size 0
		.amdhsa_private_segment_fixed_size 0
		.amdhsa_kernarg_size 312
		.amdhsa_user_sgpr_count 2
		.amdhsa_user_sgpr_dispatch_ptr 0
		.amdhsa_user_sgpr_queue_ptr 0
		.amdhsa_user_sgpr_kernarg_segment_ptr 1
		.amdhsa_user_sgpr_dispatch_id 0
		.amdhsa_user_sgpr_kernarg_preload_length 0
		.amdhsa_user_sgpr_kernarg_preload_offset 0
		.amdhsa_user_sgpr_private_segment_size 0
		.amdhsa_uses_dynamic_stack 0
		.amdhsa_enable_private_segment 0
		.amdhsa_system_sgpr_workgroup_id_x 1
		.amdhsa_system_sgpr_workgroup_id_y 0
		.amdhsa_system_sgpr_workgroup_id_z 0
		.amdhsa_system_sgpr_workgroup_info 0
		.amdhsa_system_vgpr_workitem_id 0
		.amdhsa_next_free_vgpr 10
		.amdhsa_next_free_sgpr 20
		.amdhsa_accum_offset 12
		.amdhsa_reserve_vcc 1
		.amdhsa_float_round_mode_32 0
		.amdhsa_float_round_mode_16_64 0
		.amdhsa_float_denorm_mode_32 3
		.amdhsa_float_denorm_mode_16_64 3
		.amdhsa_dx10_clamp 1
		.amdhsa_ieee_mode 1
		.amdhsa_fp16_overflow 0
		.amdhsa_tg_split 0
		.amdhsa_exception_fp_ieee_invalid_op 0
		.amdhsa_exception_fp_denorm_src 0
		.amdhsa_exception_fp_ieee_div_zero 0
		.amdhsa_exception_fp_ieee_overflow 0
		.amdhsa_exception_fp_ieee_underflow 0
		.amdhsa_exception_fp_ieee_inexact 0
		.amdhsa_exception_int_div_zero 0
	.end_amdhsa_kernel
	.section	.text._ZN7rocprim17ROCPRIM_400000_NS6detail30init_device_scan_by_key_kernelINS1_19lookback_scan_stateINS0_5tupleIJibEEELb0ELb1EEEN6thrust23THRUST_200600_302600_NS16reverse_iteratorIPKiEEjNS1_16block_id_wrapperIjLb0EEEEEvT_jjPNSF_10value_typeET0_PNSt15iterator_traitsISI_E10value_typeEmT1_T2_,"axG",@progbits,_ZN7rocprim17ROCPRIM_400000_NS6detail30init_device_scan_by_key_kernelINS1_19lookback_scan_stateINS0_5tupleIJibEEELb0ELb1EEEN6thrust23THRUST_200600_302600_NS16reverse_iteratorIPKiEEjNS1_16block_id_wrapperIjLb0EEEEEvT_jjPNSF_10value_typeET0_PNSt15iterator_traitsISI_E10value_typeEmT1_T2_,comdat
.Lfunc_end52:
	.size	_ZN7rocprim17ROCPRIM_400000_NS6detail30init_device_scan_by_key_kernelINS1_19lookback_scan_stateINS0_5tupleIJibEEELb0ELb1EEEN6thrust23THRUST_200600_302600_NS16reverse_iteratorIPKiEEjNS1_16block_id_wrapperIjLb0EEEEEvT_jjPNSF_10value_typeET0_PNSt15iterator_traitsISI_E10value_typeEmT1_T2_, .Lfunc_end52-_ZN7rocprim17ROCPRIM_400000_NS6detail30init_device_scan_by_key_kernelINS1_19lookback_scan_stateINS0_5tupleIJibEEELb0ELb1EEEN6thrust23THRUST_200600_302600_NS16reverse_iteratorIPKiEEjNS1_16block_id_wrapperIjLb0EEEEEvT_jjPNSF_10value_typeET0_PNSt15iterator_traitsISI_E10value_typeEmT1_T2_
                                        ; -- End function
	.section	.AMDGPU.csdata,"",@progbits
; Kernel info:
; codeLenInByte = 528
; NumSgprs: 26
; NumVgprs: 10
; NumAgprs: 0
; TotalNumVgprs: 10
; ScratchSize: 0
; MemoryBound: 0
; FloatMode: 240
; IeeeMode: 1
; LDSByteSize: 0 bytes/workgroup (compile time only)
; SGPRBlocks: 3
; VGPRBlocks: 1
; NumSGPRsForWavesPerEU: 26
; NumVGPRsForWavesPerEU: 10
; AccumOffset: 12
; Occupancy: 8
; WaveLimiterHint : 0
; COMPUTE_PGM_RSRC2:SCRATCH_EN: 0
; COMPUTE_PGM_RSRC2:USER_SGPR: 2
; COMPUTE_PGM_RSRC2:TRAP_HANDLER: 0
; COMPUTE_PGM_RSRC2:TGID_X_EN: 1
; COMPUTE_PGM_RSRC2:TGID_Y_EN: 0
; COMPUTE_PGM_RSRC2:TGID_Z_EN: 0
; COMPUTE_PGM_RSRC2:TIDIG_COMP_CNT: 0
; COMPUTE_PGM_RSRC3_GFX90A:ACCUM_OFFSET: 2
; COMPUTE_PGM_RSRC3_GFX90A:TG_SPLIT: 0
	.section	.text._ZN7rocprim17ROCPRIM_400000_NS6detail17trampoline_kernelINS0_14default_configENS1_27scan_by_key_config_selectorIiiEEZZNS1_16scan_by_key_implILNS1_25lookback_scan_determinismE0ELb0ES3_N6thrust23THRUST_200600_302600_NS16reverse_iteratorIPKiEESD_NSA_IPiEEiN6hipcub16HIPCUB_304000_NS3MaxENSH_8EqualityEiEE10hipError_tPvRmT2_T3_T4_T5_mT6_T7_P12ihipStream_tbENKUlT_T0_E_clISt17integral_constantIbLb0EES10_EEDaSV_SW_EUlSV_E_NS1_11comp_targetILNS1_3genE0ELNS1_11target_archE4294967295ELNS1_3gpuE0ELNS1_3repE0EEENS1_30default_config_static_selectorELNS0_4arch9wavefront6targetE1EEEvT1_,"axG",@progbits,_ZN7rocprim17ROCPRIM_400000_NS6detail17trampoline_kernelINS0_14default_configENS1_27scan_by_key_config_selectorIiiEEZZNS1_16scan_by_key_implILNS1_25lookback_scan_determinismE0ELb0ES3_N6thrust23THRUST_200600_302600_NS16reverse_iteratorIPKiEESD_NSA_IPiEEiN6hipcub16HIPCUB_304000_NS3MaxENSH_8EqualityEiEE10hipError_tPvRmT2_T3_T4_T5_mT6_T7_P12ihipStream_tbENKUlT_T0_E_clISt17integral_constantIbLb0EES10_EEDaSV_SW_EUlSV_E_NS1_11comp_targetILNS1_3genE0ELNS1_11target_archE4294967295ELNS1_3gpuE0ELNS1_3repE0EEENS1_30default_config_static_selectorELNS0_4arch9wavefront6targetE1EEEvT1_,comdat
	.protected	_ZN7rocprim17ROCPRIM_400000_NS6detail17trampoline_kernelINS0_14default_configENS1_27scan_by_key_config_selectorIiiEEZZNS1_16scan_by_key_implILNS1_25lookback_scan_determinismE0ELb0ES3_N6thrust23THRUST_200600_302600_NS16reverse_iteratorIPKiEESD_NSA_IPiEEiN6hipcub16HIPCUB_304000_NS3MaxENSH_8EqualityEiEE10hipError_tPvRmT2_T3_T4_T5_mT6_T7_P12ihipStream_tbENKUlT_T0_E_clISt17integral_constantIbLb0EES10_EEDaSV_SW_EUlSV_E_NS1_11comp_targetILNS1_3genE0ELNS1_11target_archE4294967295ELNS1_3gpuE0ELNS1_3repE0EEENS1_30default_config_static_selectorELNS0_4arch9wavefront6targetE1EEEvT1_ ; -- Begin function _ZN7rocprim17ROCPRIM_400000_NS6detail17trampoline_kernelINS0_14default_configENS1_27scan_by_key_config_selectorIiiEEZZNS1_16scan_by_key_implILNS1_25lookback_scan_determinismE0ELb0ES3_N6thrust23THRUST_200600_302600_NS16reverse_iteratorIPKiEESD_NSA_IPiEEiN6hipcub16HIPCUB_304000_NS3MaxENSH_8EqualityEiEE10hipError_tPvRmT2_T3_T4_T5_mT6_T7_P12ihipStream_tbENKUlT_T0_E_clISt17integral_constantIbLb0EES10_EEDaSV_SW_EUlSV_E_NS1_11comp_targetILNS1_3genE0ELNS1_11target_archE4294967295ELNS1_3gpuE0ELNS1_3repE0EEENS1_30default_config_static_selectorELNS0_4arch9wavefront6targetE1EEEvT1_
	.globl	_ZN7rocprim17ROCPRIM_400000_NS6detail17trampoline_kernelINS0_14default_configENS1_27scan_by_key_config_selectorIiiEEZZNS1_16scan_by_key_implILNS1_25lookback_scan_determinismE0ELb0ES3_N6thrust23THRUST_200600_302600_NS16reverse_iteratorIPKiEESD_NSA_IPiEEiN6hipcub16HIPCUB_304000_NS3MaxENSH_8EqualityEiEE10hipError_tPvRmT2_T3_T4_T5_mT6_T7_P12ihipStream_tbENKUlT_T0_E_clISt17integral_constantIbLb0EES10_EEDaSV_SW_EUlSV_E_NS1_11comp_targetILNS1_3genE0ELNS1_11target_archE4294967295ELNS1_3gpuE0ELNS1_3repE0EEENS1_30default_config_static_selectorELNS0_4arch9wavefront6targetE1EEEvT1_
	.p2align	8
	.type	_ZN7rocprim17ROCPRIM_400000_NS6detail17trampoline_kernelINS0_14default_configENS1_27scan_by_key_config_selectorIiiEEZZNS1_16scan_by_key_implILNS1_25lookback_scan_determinismE0ELb0ES3_N6thrust23THRUST_200600_302600_NS16reverse_iteratorIPKiEESD_NSA_IPiEEiN6hipcub16HIPCUB_304000_NS3MaxENSH_8EqualityEiEE10hipError_tPvRmT2_T3_T4_T5_mT6_T7_P12ihipStream_tbENKUlT_T0_E_clISt17integral_constantIbLb0EES10_EEDaSV_SW_EUlSV_E_NS1_11comp_targetILNS1_3genE0ELNS1_11target_archE4294967295ELNS1_3gpuE0ELNS1_3repE0EEENS1_30default_config_static_selectorELNS0_4arch9wavefront6targetE1EEEvT1_,@function
_ZN7rocprim17ROCPRIM_400000_NS6detail17trampoline_kernelINS0_14default_configENS1_27scan_by_key_config_selectorIiiEEZZNS1_16scan_by_key_implILNS1_25lookback_scan_determinismE0ELb0ES3_N6thrust23THRUST_200600_302600_NS16reverse_iteratorIPKiEESD_NSA_IPiEEiN6hipcub16HIPCUB_304000_NS3MaxENSH_8EqualityEiEE10hipError_tPvRmT2_T3_T4_T5_mT6_T7_P12ihipStream_tbENKUlT_T0_E_clISt17integral_constantIbLb0EES10_EEDaSV_SW_EUlSV_E_NS1_11comp_targetILNS1_3genE0ELNS1_11target_archE4294967295ELNS1_3gpuE0ELNS1_3repE0EEENS1_30default_config_static_selectorELNS0_4arch9wavefront6targetE1EEEvT1_: ; @_ZN7rocprim17ROCPRIM_400000_NS6detail17trampoline_kernelINS0_14default_configENS1_27scan_by_key_config_selectorIiiEEZZNS1_16scan_by_key_implILNS1_25lookback_scan_determinismE0ELb0ES3_N6thrust23THRUST_200600_302600_NS16reverse_iteratorIPKiEESD_NSA_IPiEEiN6hipcub16HIPCUB_304000_NS3MaxENSH_8EqualityEiEE10hipError_tPvRmT2_T3_T4_T5_mT6_T7_P12ihipStream_tbENKUlT_T0_E_clISt17integral_constantIbLb0EES10_EEDaSV_SW_EUlSV_E_NS1_11comp_targetILNS1_3genE0ELNS1_11target_archE4294967295ELNS1_3gpuE0ELNS1_3repE0EEENS1_30default_config_static_selectorELNS0_4arch9wavefront6targetE1EEEvT1_
; %bb.0:
	.section	.rodata,"a",@progbits
	.p2align	6, 0x0
	.amdhsa_kernel _ZN7rocprim17ROCPRIM_400000_NS6detail17trampoline_kernelINS0_14default_configENS1_27scan_by_key_config_selectorIiiEEZZNS1_16scan_by_key_implILNS1_25lookback_scan_determinismE0ELb0ES3_N6thrust23THRUST_200600_302600_NS16reverse_iteratorIPKiEESD_NSA_IPiEEiN6hipcub16HIPCUB_304000_NS3MaxENSH_8EqualityEiEE10hipError_tPvRmT2_T3_T4_T5_mT6_T7_P12ihipStream_tbENKUlT_T0_E_clISt17integral_constantIbLb0EES10_EEDaSV_SW_EUlSV_E_NS1_11comp_targetILNS1_3genE0ELNS1_11target_archE4294967295ELNS1_3gpuE0ELNS1_3repE0EEENS1_30default_config_static_selectorELNS0_4arch9wavefront6targetE1EEEvT1_
		.amdhsa_group_segment_fixed_size 0
		.amdhsa_private_segment_fixed_size 0
		.amdhsa_kernarg_size 112
		.amdhsa_user_sgpr_count 2
		.amdhsa_user_sgpr_dispatch_ptr 0
		.amdhsa_user_sgpr_queue_ptr 0
		.amdhsa_user_sgpr_kernarg_segment_ptr 1
		.amdhsa_user_sgpr_dispatch_id 0
		.amdhsa_user_sgpr_kernarg_preload_length 0
		.amdhsa_user_sgpr_kernarg_preload_offset 0
		.amdhsa_user_sgpr_private_segment_size 0
		.amdhsa_uses_dynamic_stack 0
		.amdhsa_enable_private_segment 0
		.amdhsa_system_sgpr_workgroup_id_x 1
		.amdhsa_system_sgpr_workgroup_id_y 0
		.amdhsa_system_sgpr_workgroup_id_z 0
		.amdhsa_system_sgpr_workgroup_info 0
		.amdhsa_system_vgpr_workitem_id 0
		.amdhsa_next_free_vgpr 1
		.amdhsa_next_free_sgpr 0
		.amdhsa_accum_offset 4
		.amdhsa_reserve_vcc 0
		.amdhsa_float_round_mode_32 0
		.amdhsa_float_round_mode_16_64 0
		.amdhsa_float_denorm_mode_32 3
		.amdhsa_float_denorm_mode_16_64 3
		.amdhsa_dx10_clamp 1
		.amdhsa_ieee_mode 1
		.amdhsa_fp16_overflow 0
		.amdhsa_tg_split 0
		.amdhsa_exception_fp_ieee_invalid_op 0
		.amdhsa_exception_fp_denorm_src 0
		.amdhsa_exception_fp_ieee_div_zero 0
		.amdhsa_exception_fp_ieee_overflow 0
		.amdhsa_exception_fp_ieee_underflow 0
		.amdhsa_exception_fp_ieee_inexact 0
		.amdhsa_exception_int_div_zero 0
	.end_amdhsa_kernel
	.section	.text._ZN7rocprim17ROCPRIM_400000_NS6detail17trampoline_kernelINS0_14default_configENS1_27scan_by_key_config_selectorIiiEEZZNS1_16scan_by_key_implILNS1_25lookback_scan_determinismE0ELb0ES3_N6thrust23THRUST_200600_302600_NS16reverse_iteratorIPKiEESD_NSA_IPiEEiN6hipcub16HIPCUB_304000_NS3MaxENSH_8EqualityEiEE10hipError_tPvRmT2_T3_T4_T5_mT6_T7_P12ihipStream_tbENKUlT_T0_E_clISt17integral_constantIbLb0EES10_EEDaSV_SW_EUlSV_E_NS1_11comp_targetILNS1_3genE0ELNS1_11target_archE4294967295ELNS1_3gpuE0ELNS1_3repE0EEENS1_30default_config_static_selectorELNS0_4arch9wavefront6targetE1EEEvT1_,"axG",@progbits,_ZN7rocprim17ROCPRIM_400000_NS6detail17trampoline_kernelINS0_14default_configENS1_27scan_by_key_config_selectorIiiEEZZNS1_16scan_by_key_implILNS1_25lookback_scan_determinismE0ELb0ES3_N6thrust23THRUST_200600_302600_NS16reverse_iteratorIPKiEESD_NSA_IPiEEiN6hipcub16HIPCUB_304000_NS3MaxENSH_8EqualityEiEE10hipError_tPvRmT2_T3_T4_T5_mT6_T7_P12ihipStream_tbENKUlT_T0_E_clISt17integral_constantIbLb0EES10_EEDaSV_SW_EUlSV_E_NS1_11comp_targetILNS1_3genE0ELNS1_11target_archE4294967295ELNS1_3gpuE0ELNS1_3repE0EEENS1_30default_config_static_selectorELNS0_4arch9wavefront6targetE1EEEvT1_,comdat
.Lfunc_end53:
	.size	_ZN7rocprim17ROCPRIM_400000_NS6detail17trampoline_kernelINS0_14default_configENS1_27scan_by_key_config_selectorIiiEEZZNS1_16scan_by_key_implILNS1_25lookback_scan_determinismE0ELb0ES3_N6thrust23THRUST_200600_302600_NS16reverse_iteratorIPKiEESD_NSA_IPiEEiN6hipcub16HIPCUB_304000_NS3MaxENSH_8EqualityEiEE10hipError_tPvRmT2_T3_T4_T5_mT6_T7_P12ihipStream_tbENKUlT_T0_E_clISt17integral_constantIbLb0EES10_EEDaSV_SW_EUlSV_E_NS1_11comp_targetILNS1_3genE0ELNS1_11target_archE4294967295ELNS1_3gpuE0ELNS1_3repE0EEENS1_30default_config_static_selectorELNS0_4arch9wavefront6targetE1EEEvT1_, .Lfunc_end53-_ZN7rocprim17ROCPRIM_400000_NS6detail17trampoline_kernelINS0_14default_configENS1_27scan_by_key_config_selectorIiiEEZZNS1_16scan_by_key_implILNS1_25lookback_scan_determinismE0ELb0ES3_N6thrust23THRUST_200600_302600_NS16reverse_iteratorIPKiEESD_NSA_IPiEEiN6hipcub16HIPCUB_304000_NS3MaxENSH_8EqualityEiEE10hipError_tPvRmT2_T3_T4_T5_mT6_T7_P12ihipStream_tbENKUlT_T0_E_clISt17integral_constantIbLb0EES10_EEDaSV_SW_EUlSV_E_NS1_11comp_targetILNS1_3genE0ELNS1_11target_archE4294967295ELNS1_3gpuE0ELNS1_3repE0EEENS1_30default_config_static_selectorELNS0_4arch9wavefront6targetE1EEEvT1_
                                        ; -- End function
	.section	.AMDGPU.csdata,"",@progbits
; Kernel info:
; codeLenInByte = 0
; NumSgprs: 6
; NumVgprs: 0
; NumAgprs: 0
; TotalNumVgprs: 0
; ScratchSize: 0
; MemoryBound: 0
; FloatMode: 240
; IeeeMode: 1
; LDSByteSize: 0 bytes/workgroup (compile time only)
; SGPRBlocks: 0
; VGPRBlocks: 0
; NumSGPRsForWavesPerEU: 6
; NumVGPRsForWavesPerEU: 1
; AccumOffset: 4
; Occupancy: 8
; WaveLimiterHint : 0
; COMPUTE_PGM_RSRC2:SCRATCH_EN: 0
; COMPUTE_PGM_RSRC2:USER_SGPR: 2
; COMPUTE_PGM_RSRC2:TRAP_HANDLER: 0
; COMPUTE_PGM_RSRC2:TGID_X_EN: 1
; COMPUTE_PGM_RSRC2:TGID_Y_EN: 0
; COMPUTE_PGM_RSRC2:TGID_Z_EN: 0
; COMPUTE_PGM_RSRC2:TIDIG_COMP_CNT: 0
; COMPUTE_PGM_RSRC3_GFX90A:ACCUM_OFFSET: 0
; COMPUTE_PGM_RSRC3_GFX90A:TG_SPLIT: 0
	.section	.text._ZN7rocprim17ROCPRIM_400000_NS6detail17trampoline_kernelINS0_14default_configENS1_27scan_by_key_config_selectorIiiEEZZNS1_16scan_by_key_implILNS1_25lookback_scan_determinismE0ELb0ES3_N6thrust23THRUST_200600_302600_NS16reverse_iteratorIPKiEESD_NSA_IPiEEiN6hipcub16HIPCUB_304000_NS3MaxENSH_8EqualityEiEE10hipError_tPvRmT2_T3_T4_T5_mT6_T7_P12ihipStream_tbENKUlT_T0_E_clISt17integral_constantIbLb0EES10_EEDaSV_SW_EUlSV_E_NS1_11comp_targetILNS1_3genE10ELNS1_11target_archE1201ELNS1_3gpuE5ELNS1_3repE0EEENS1_30default_config_static_selectorELNS0_4arch9wavefront6targetE1EEEvT1_,"axG",@progbits,_ZN7rocprim17ROCPRIM_400000_NS6detail17trampoline_kernelINS0_14default_configENS1_27scan_by_key_config_selectorIiiEEZZNS1_16scan_by_key_implILNS1_25lookback_scan_determinismE0ELb0ES3_N6thrust23THRUST_200600_302600_NS16reverse_iteratorIPKiEESD_NSA_IPiEEiN6hipcub16HIPCUB_304000_NS3MaxENSH_8EqualityEiEE10hipError_tPvRmT2_T3_T4_T5_mT6_T7_P12ihipStream_tbENKUlT_T0_E_clISt17integral_constantIbLb0EES10_EEDaSV_SW_EUlSV_E_NS1_11comp_targetILNS1_3genE10ELNS1_11target_archE1201ELNS1_3gpuE5ELNS1_3repE0EEENS1_30default_config_static_selectorELNS0_4arch9wavefront6targetE1EEEvT1_,comdat
	.protected	_ZN7rocprim17ROCPRIM_400000_NS6detail17trampoline_kernelINS0_14default_configENS1_27scan_by_key_config_selectorIiiEEZZNS1_16scan_by_key_implILNS1_25lookback_scan_determinismE0ELb0ES3_N6thrust23THRUST_200600_302600_NS16reverse_iteratorIPKiEESD_NSA_IPiEEiN6hipcub16HIPCUB_304000_NS3MaxENSH_8EqualityEiEE10hipError_tPvRmT2_T3_T4_T5_mT6_T7_P12ihipStream_tbENKUlT_T0_E_clISt17integral_constantIbLb0EES10_EEDaSV_SW_EUlSV_E_NS1_11comp_targetILNS1_3genE10ELNS1_11target_archE1201ELNS1_3gpuE5ELNS1_3repE0EEENS1_30default_config_static_selectorELNS0_4arch9wavefront6targetE1EEEvT1_ ; -- Begin function _ZN7rocprim17ROCPRIM_400000_NS6detail17trampoline_kernelINS0_14default_configENS1_27scan_by_key_config_selectorIiiEEZZNS1_16scan_by_key_implILNS1_25lookback_scan_determinismE0ELb0ES3_N6thrust23THRUST_200600_302600_NS16reverse_iteratorIPKiEESD_NSA_IPiEEiN6hipcub16HIPCUB_304000_NS3MaxENSH_8EqualityEiEE10hipError_tPvRmT2_T3_T4_T5_mT6_T7_P12ihipStream_tbENKUlT_T0_E_clISt17integral_constantIbLb0EES10_EEDaSV_SW_EUlSV_E_NS1_11comp_targetILNS1_3genE10ELNS1_11target_archE1201ELNS1_3gpuE5ELNS1_3repE0EEENS1_30default_config_static_selectorELNS0_4arch9wavefront6targetE1EEEvT1_
	.globl	_ZN7rocprim17ROCPRIM_400000_NS6detail17trampoline_kernelINS0_14default_configENS1_27scan_by_key_config_selectorIiiEEZZNS1_16scan_by_key_implILNS1_25lookback_scan_determinismE0ELb0ES3_N6thrust23THRUST_200600_302600_NS16reverse_iteratorIPKiEESD_NSA_IPiEEiN6hipcub16HIPCUB_304000_NS3MaxENSH_8EqualityEiEE10hipError_tPvRmT2_T3_T4_T5_mT6_T7_P12ihipStream_tbENKUlT_T0_E_clISt17integral_constantIbLb0EES10_EEDaSV_SW_EUlSV_E_NS1_11comp_targetILNS1_3genE10ELNS1_11target_archE1201ELNS1_3gpuE5ELNS1_3repE0EEENS1_30default_config_static_selectorELNS0_4arch9wavefront6targetE1EEEvT1_
	.p2align	8
	.type	_ZN7rocprim17ROCPRIM_400000_NS6detail17trampoline_kernelINS0_14default_configENS1_27scan_by_key_config_selectorIiiEEZZNS1_16scan_by_key_implILNS1_25lookback_scan_determinismE0ELb0ES3_N6thrust23THRUST_200600_302600_NS16reverse_iteratorIPKiEESD_NSA_IPiEEiN6hipcub16HIPCUB_304000_NS3MaxENSH_8EqualityEiEE10hipError_tPvRmT2_T3_T4_T5_mT6_T7_P12ihipStream_tbENKUlT_T0_E_clISt17integral_constantIbLb0EES10_EEDaSV_SW_EUlSV_E_NS1_11comp_targetILNS1_3genE10ELNS1_11target_archE1201ELNS1_3gpuE5ELNS1_3repE0EEENS1_30default_config_static_selectorELNS0_4arch9wavefront6targetE1EEEvT1_,@function
_ZN7rocprim17ROCPRIM_400000_NS6detail17trampoline_kernelINS0_14default_configENS1_27scan_by_key_config_selectorIiiEEZZNS1_16scan_by_key_implILNS1_25lookback_scan_determinismE0ELb0ES3_N6thrust23THRUST_200600_302600_NS16reverse_iteratorIPKiEESD_NSA_IPiEEiN6hipcub16HIPCUB_304000_NS3MaxENSH_8EqualityEiEE10hipError_tPvRmT2_T3_T4_T5_mT6_T7_P12ihipStream_tbENKUlT_T0_E_clISt17integral_constantIbLb0EES10_EEDaSV_SW_EUlSV_E_NS1_11comp_targetILNS1_3genE10ELNS1_11target_archE1201ELNS1_3gpuE5ELNS1_3repE0EEENS1_30default_config_static_selectorELNS0_4arch9wavefront6targetE1EEEvT1_: ; @_ZN7rocprim17ROCPRIM_400000_NS6detail17trampoline_kernelINS0_14default_configENS1_27scan_by_key_config_selectorIiiEEZZNS1_16scan_by_key_implILNS1_25lookback_scan_determinismE0ELb0ES3_N6thrust23THRUST_200600_302600_NS16reverse_iteratorIPKiEESD_NSA_IPiEEiN6hipcub16HIPCUB_304000_NS3MaxENSH_8EqualityEiEE10hipError_tPvRmT2_T3_T4_T5_mT6_T7_P12ihipStream_tbENKUlT_T0_E_clISt17integral_constantIbLb0EES10_EEDaSV_SW_EUlSV_E_NS1_11comp_targetILNS1_3genE10ELNS1_11target_archE1201ELNS1_3gpuE5ELNS1_3repE0EEENS1_30default_config_static_selectorELNS0_4arch9wavefront6targetE1EEEvT1_
; %bb.0:
	.section	.rodata,"a",@progbits
	.p2align	6, 0x0
	.amdhsa_kernel _ZN7rocprim17ROCPRIM_400000_NS6detail17trampoline_kernelINS0_14default_configENS1_27scan_by_key_config_selectorIiiEEZZNS1_16scan_by_key_implILNS1_25lookback_scan_determinismE0ELb0ES3_N6thrust23THRUST_200600_302600_NS16reverse_iteratorIPKiEESD_NSA_IPiEEiN6hipcub16HIPCUB_304000_NS3MaxENSH_8EqualityEiEE10hipError_tPvRmT2_T3_T4_T5_mT6_T7_P12ihipStream_tbENKUlT_T0_E_clISt17integral_constantIbLb0EES10_EEDaSV_SW_EUlSV_E_NS1_11comp_targetILNS1_3genE10ELNS1_11target_archE1201ELNS1_3gpuE5ELNS1_3repE0EEENS1_30default_config_static_selectorELNS0_4arch9wavefront6targetE1EEEvT1_
		.amdhsa_group_segment_fixed_size 0
		.amdhsa_private_segment_fixed_size 0
		.amdhsa_kernarg_size 112
		.amdhsa_user_sgpr_count 2
		.amdhsa_user_sgpr_dispatch_ptr 0
		.amdhsa_user_sgpr_queue_ptr 0
		.amdhsa_user_sgpr_kernarg_segment_ptr 1
		.amdhsa_user_sgpr_dispatch_id 0
		.amdhsa_user_sgpr_kernarg_preload_length 0
		.amdhsa_user_sgpr_kernarg_preload_offset 0
		.amdhsa_user_sgpr_private_segment_size 0
		.amdhsa_uses_dynamic_stack 0
		.amdhsa_enable_private_segment 0
		.amdhsa_system_sgpr_workgroup_id_x 1
		.amdhsa_system_sgpr_workgroup_id_y 0
		.amdhsa_system_sgpr_workgroup_id_z 0
		.amdhsa_system_sgpr_workgroup_info 0
		.amdhsa_system_vgpr_workitem_id 0
		.amdhsa_next_free_vgpr 1
		.amdhsa_next_free_sgpr 0
		.amdhsa_accum_offset 4
		.amdhsa_reserve_vcc 0
		.amdhsa_float_round_mode_32 0
		.amdhsa_float_round_mode_16_64 0
		.amdhsa_float_denorm_mode_32 3
		.amdhsa_float_denorm_mode_16_64 3
		.amdhsa_dx10_clamp 1
		.amdhsa_ieee_mode 1
		.amdhsa_fp16_overflow 0
		.amdhsa_tg_split 0
		.amdhsa_exception_fp_ieee_invalid_op 0
		.amdhsa_exception_fp_denorm_src 0
		.amdhsa_exception_fp_ieee_div_zero 0
		.amdhsa_exception_fp_ieee_overflow 0
		.amdhsa_exception_fp_ieee_underflow 0
		.amdhsa_exception_fp_ieee_inexact 0
		.amdhsa_exception_int_div_zero 0
	.end_amdhsa_kernel
	.section	.text._ZN7rocprim17ROCPRIM_400000_NS6detail17trampoline_kernelINS0_14default_configENS1_27scan_by_key_config_selectorIiiEEZZNS1_16scan_by_key_implILNS1_25lookback_scan_determinismE0ELb0ES3_N6thrust23THRUST_200600_302600_NS16reverse_iteratorIPKiEESD_NSA_IPiEEiN6hipcub16HIPCUB_304000_NS3MaxENSH_8EqualityEiEE10hipError_tPvRmT2_T3_T4_T5_mT6_T7_P12ihipStream_tbENKUlT_T0_E_clISt17integral_constantIbLb0EES10_EEDaSV_SW_EUlSV_E_NS1_11comp_targetILNS1_3genE10ELNS1_11target_archE1201ELNS1_3gpuE5ELNS1_3repE0EEENS1_30default_config_static_selectorELNS0_4arch9wavefront6targetE1EEEvT1_,"axG",@progbits,_ZN7rocprim17ROCPRIM_400000_NS6detail17trampoline_kernelINS0_14default_configENS1_27scan_by_key_config_selectorIiiEEZZNS1_16scan_by_key_implILNS1_25lookback_scan_determinismE0ELb0ES3_N6thrust23THRUST_200600_302600_NS16reverse_iteratorIPKiEESD_NSA_IPiEEiN6hipcub16HIPCUB_304000_NS3MaxENSH_8EqualityEiEE10hipError_tPvRmT2_T3_T4_T5_mT6_T7_P12ihipStream_tbENKUlT_T0_E_clISt17integral_constantIbLb0EES10_EEDaSV_SW_EUlSV_E_NS1_11comp_targetILNS1_3genE10ELNS1_11target_archE1201ELNS1_3gpuE5ELNS1_3repE0EEENS1_30default_config_static_selectorELNS0_4arch9wavefront6targetE1EEEvT1_,comdat
.Lfunc_end54:
	.size	_ZN7rocprim17ROCPRIM_400000_NS6detail17trampoline_kernelINS0_14default_configENS1_27scan_by_key_config_selectorIiiEEZZNS1_16scan_by_key_implILNS1_25lookback_scan_determinismE0ELb0ES3_N6thrust23THRUST_200600_302600_NS16reverse_iteratorIPKiEESD_NSA_IPiEEiN6hipcub16HIPCUB_304000_NS3MaxENSH_8EqualityEiEE10hipError_tPvRmT2_T3_T4_T5_mT6_T7_P12ihipStream_tbENKUlT_T0_E_clISt17integral_constantIbLb0EES10_EEDaSV_SW_EUlSV_E_NS1_11comp_targetILNS1_3genE10ELNS1_11target_archE1201ELNS1_3gpuE5ELNS1_3repE0EEENS1_30default_config_static_selectorELNS0_4arch9wavefront6targetE1EEEvT1_, .Lfunc_end54-_ZN7rocprim17ROCPRIM_400000_NS6detail17trampoline_kernelINS0_14default_configENS1_27scan_by_key_config_selectorIiiEEZZNS1_16scan_by_key_implILNS1_25lookback_scan_determinismE0ELb0ES3_N6thrust23THRUST_200600_302600_NS16reverse_iteratorIPKiEESD_NSA_IPiEEiN6hipcub16HIPCUB_304000_NS3MaxENSH_8EqualityEiEE10hipError_tPvRmT2_T3_T4_T5_mT6_T7_P12ihipStream_tbENKUlT_T0_E_clISt17integral_constantIbLb0EES10_EEDaSV_SW_EUlSV_E_NS1_11comp_targetILNS1_3genE10ELNS1_11target_archE1201ELNS1_3gpuE5ELNS1_3repE0EEENS1_30default_config_static_selectorELNS0_4arch9wavefront6targetE1EEEvT1_
                                        ; -- End function
	.section	.AMDGPU.csdata,"",@progbits
; Kernel info:
; codeLenInByte = 0
; NumSgprs: 6
; NumVgprs: 0
; NumAgprs: 0
; TotalNumVgprs: 0
; ScratchSize: 0
; MemoryBound: 0
; FloatMode: 240
; IeeeMode: 1
; LDSByteSize: 0 bytes/workgroup (compile time only)
; SGPRBlocks: 0
; VGPRBlocks: 0
; NumSGPRsForWavesPerEU: 6
; NumVGPRsForWavesPerEU: 1
; AccumOffset: 4
; Occupancy: 8
; WaveLimiterHint : 0
; COMPUTE_PGM_RSRC2:SCRATCH_EN: 0
; COMPUTE_PGM_RSRC2:USER_SGPR: 2
; COMPUTE_PGM_RSRC2:TRAP_HANDLER: 0
; COMPUTE_PGM_RSRC2:TGID_X_EN: 1
; COMPUTE_PGM_RSRC2:TGID_Y_EN: 0
; COMPUTE_PGM_RSRC2:TGID_Z_EN: 0
; COMPUTE_PGM_RSRC2:TIDIG_COMP_CNT: 0
; COMPUTE_PGM_RSRC3_GFX90A:ACCUM_OFFSET: 0
; COMPUTE_PGM_RSRC3_GFX90A:TG_SPLIT: 0
	.section	.text._ZN7rocprim17ROCPRIM_400000_NS6detail17trampoline_kernelINS0_14default_configENS1_27scan_by_key_config_selectorIiiEEZZNS1_16scan_by_key_implILNS1_25lookback_scan_determinismE0ELb0ES3_N6thrust23THRUST_200600_302600_NS16reverse_iteratorIPKiEESD_NSA_IPiEEiN6hipcub16HIPCUB_304000_NS3MaxENSH_8EqualityEiEE10hipError_tPvRmT2_T3_T4_T5_mT6_T7_P12ihipStream_tbENKUlT_T0_E_clISt17integral_constantIbLb0EES10_EEDaSV_SW_EUlSV_E_NS1_11comp_targetILNS1_3genE5ELNS1_11target_archE942ELNS1_3gpuE9ELNS1_3repE0EEENS1_30default_config_static_selectorELNS0_4arch9wavefront6targetE1EEEvT1_,"axG",@progbits,_ZN7rocprim17ROCPRIM_400000_NS6detail17trampoline_kernelINS0_14default_configENS1_27scan_by_key_config_selectorIiiEEZZNS1_16scan_by_key_implILNS1_25lookback_scan_determinismE0ELb0ES3_N6thrust23THRUST_200600_302600_NS16reverse_iteratorIPKiEESD_NSA_IPiEEiN6hipcub16HIPCUB_304000_NS3MaxENSH_8EqualityEiEE10hipError_tPvRmT2_T3_T4_T5_mT6_T7_P12ihipStream_tbENKUlT_T0_E_clISt17integral_constantIbLb0EES10_EEDaSV_SW_EUlSV_E_NS1_11comp_targetILNS1_3genE5ELNS1_11target_archE942ELNS1_3gpuE9ELNS1_3repE0EEENS1_30default_config_static_selectorELNS0_4arch9wavefront6targetE1EEEvT1_,comdat
	.protected	_ZN7rocprim17ROCPRIM_400000_NS6detail17trampoline_kernelINS0_14default_configENS1_27scan_by_key_config_selectorIiiEEZZNS1_16scan_by_key_implILNS1_25lookback_scan_determinismE0ELb0ES3_N6thrust23THRUST_200600_302600_NS16reverse_iteratorIPKiEESD_NSA_IPiEEiN6hipcub16HIPCUB_304000_NS3MaxENSH_8EqualityEiEE10hipError_tPvRmT2_T3_T4_T5_mT6_T7_P12ihipStream_tbENKUlT_T0_E_clISt17integral_constantIbLb0EES10_EEDaSV_SW_EUlSV_E_NS1_11comp_targetILNS1_3genE5ELNS1_11target_archE942ELNS1_3gpuE9ELNS1_3repE0EEENS1_30default_config_static_selectorELNS0_4arch9wavefront6targetE1EEEvT1_ ; -- Begin function _ZN7rocprim17ROCPRIM_400000_NS6detail17trampoline_kernelINS0_14default_configENS1_27scan_by_key_config_selectorIiiEEZZNS1_16scan_by_key_implILNS1_25lookback_scan_determinismE0ELb0ES3_N6thrust23THRUST_200600_302600_NS16reverse_iteratorIPKiEESD_NSA_IPiEEiN6hipcub16HIPCUB_304000_NS3MaxENSH_8EqualityEiEE10hipError_tPvRmT2_T3_T4_T5_mT6_T7_P12ihipStream_tbENKUlT_T0_E_clISt17integral_constantIbLb0EES10_EEDaSV_SW_EUlSV_E_NS1_11comp_targetILNS1_3genE5ELNS1_11target_archE942ELNS1_3gpuE9ELNS1_3repE0EEENS1_30default_config_static_selectorELNS0_4arch9wavefront6targetE1EEEvT1_
	.globl	_ZN7rocprim17ROCPRIM_400000_NS6detail17trampoline_kernelINS0_14default_configENS1_27scan_by_key_config_selectorIiiEEZZNS1_16scan_by_key_implILNS1_25lookback_scan_determinismE0ELb0ES3_N6thrust23THRUST_200600_302600_NS16reverse_iteratorIPKiEESD_NSA_IPiEEiN6hipcub16HIPCUB_304000_NS3MaxENSH_8EqualityEiEE10hipError_tPvRmT2_T3_T4_T5_mT6_T7_P12ihipStream_tbENKUlT_T0_E_clISt17integral_constantIbLb0EES10_EEDaSV_SW_EUlSV_E_NS1_11comp_targetILNS1_3genE5ELNS1_11target_archE942ELNS1_3gpuE9ELNS1_3repE0EEENS1_30default_config_static_selectorELNS0_4arch9wavefront6targetE1EEEvT1_
	.p2align	8
	.type	_ZN7rocprim17ROCPRIM_400000_NS6detail17trampoline_kernelINS0_14default_configENS1_27scan_by_key_config_selectorIiiEEZZNS1_16scan_by_key_implILNS1_25lookback_scan_determinismE0ELb0ES3_N6thrust23THRUST_200600_302600_NS16reverse_iteratorIPKiEESD_NSA_IPiEEiN6hipcub16HIPCUB_304000_NS3MaxENSH_8EqualityEiEE10hipError_tPvRmT2_T3_T4_T5_mT6_T7_P12ihipStream_tbENKUlT_T0_E_clISt17integral_constantIbLb0EES10_EEDaSV_SW_EUlSV_E_NS1_11comp_targetILNS1_3genE5ELNS1_11target_archE942ELNS1_3gpuE9ELNS1_3repE0EEENS1_30default_config_static_selectorELNS0_4arch9wavefront6targetE1EEEvT1_,@function
_ZN7rocprim17ROCPRIM_400000_NS6detail17trampoline_kernelINS0_14default_configENS1_27scan_by_key_config_selectorIiiEEZZNS1_16scan_by_key_implILNS1_25lookback_scan_determinismE0ELb0ES3_N6thrust23THRUST_200600_302600_NS16reverse_iteratorIPKiEESD_NSA_IPiEEiN6hipcub16HIPCUB_304000_NS3MaxENSH_8EqualityEiEE10hipError_tPvRmT2_T3_T4_T5_mT6_T7_P12ihipStream_tbENKUlT_T0_E_clISt17integral_constantIbLb0EES10_EEDaSV_SW_EUlSV_E_NS1_11comp_targetILNS1_3genE5ELNS1_11target_archE942ELNS1_3gpuE9ELNS1_3repE0EEENS1_30default_config_static_selectorELNS0_4arch9wavefront6targetE1EEEvT1_: ; @_ZN7rocprim17ROCPRIM_400000_NS6detail17trampoline_kernelINS0_14default_configENS1_27scan_by_key_config_selectorIiiEEZZNS1_16scan_by_key_implILNS1_25lookback_scan_determinismE0ELb0ES3_N6thrust23THRUST_200600_302600_NS16reverse_iteratorIPKiEESD_NSA_IPiEEiN6hipcub16HIPCUB_304000_NS3MaxENSH_8EqualityEiEE10hipError_tPvRmT2_T3_T4_T5_mT6_T7_P12ihipStream_tbENKUlT_T0_E_clISt17integral_constantIbLb0EES10_EEDaSV_SW_EUlSV_E_NS1_11comp_targetILNS1_3genE5ELNS1_11target_archE942ELNS1_3gpuE9ELNS1_3repE0EEENS1_30default_config_static_selectorELNS0_4arch9wavefront6targetE1EEEvT1_
; %bb.0:
	s_load_dwordx8 s[48:55], s[0:1], 0x0
	s_load_dwordx4 s[64:67], s[0:1], 0x28
	s_load_dwordx2 s[70:71], s[0:1], 0x38
	s_load_dword s3, s[0:1], 0x40
	s_load_dwordx8 s[56:63], s[0:1], 0x48
	s_waitcnt lgkmcnt(0)
	s_sub_u32 s68, 0, s50
	s_subb_u32 s69, 0, s51
	s_lshl_b64 s[0:1], s[50:51], 2
	s_sub_u32 s4, s48, s0
	s_subb_u32 s5, s49, s1
	s_sub_u32 s6, s52, s0
	s_subb_u32 s7, s53, s1
	s_mul_i32 s0, s71, s3
	s_mul_hi_u32 s1, s70, s3
	s_add_i32 s8, s1, s0
	s_cmp_eq_u64 s[60:61], 0
	s_mul_i32 s0, s2, 0x1700
	s_cselect_b64 s[72:73], -1, 0
	s_mov_b32 s1, 0
	s_sub_u32 s60, 0, s0
	s_subb_u32 s61, 0, 0
	s_lshl_b64 s[0:1], s[0:1], 2
	s_mul_i32 s9, s70, s3
	s_sub_u32 s3, s4, s0
	s_subb_u32 s67, s5, s1
	s_sub_u32 s52, s6, s0
	s_subb_u32 s53, s7, s1
	s_add_u32 s74, s9, s2
	s_addc_u32 s75, s8, 0
	s_add_u32 s4, s56, -1
	s_addc_u32 s5, s57, -1
	v_mov_b64_e32 v[2:3], s[4:5]
	v_cmp_ge_u64_e64 s[0:1], s[74:75], v[2:3]
	s_mov_b64 s[12:13], 0
	s_mov_b64 s[6:7], -1
	s_and_b64 vcc, exec, s[0:1]
	s_mul_i32 s33, s4, 0xffffe900
	s_barrier
	s_cbranch_vccz .LBB55_71
; %bb.1:
	v_mov_b32_e32 v1, s67
	v_add_co_u32_e64 v2, vcc, -4, s3
	s_add_i32 s80, s33, s66
	s_nop 0
	v_addc_co_u32_e32 v3, vcc, -1, v1, vcc
	flat_load_dword v1, v[2:3]
	s_add_u32 s76, s3, -4
	s_addc_u32 s77, s67, -1
	v_cmp_gt_u32_e32 vcc, s80, v0
	s_waitcnt vmcnt(0) lgkmcnt(0)
	v_mov_b32_e32 v4, v1
	s_and_saveexec_b64 s[6:7], vcc
	s_cbranch_execz .LBB55_3
; %bb.2:
	v_lshlrev_b32_e32 v2, 2, v0
	v_mov_b32_e32 v3, s77
	v_sub_co_u32_e64 v2, s[4:5], s76, v2
	s_nop 1
	v_subbrev_co_u32_e64 v3, s[4:5], 0, v3, s[4:5]
	flat_load_dword v4, v[2:3]
.LBB55_3:
	s_or_b64 exec, exec, s[6:7]
	v_or_b32_e32 v2, 0x100, v0
	v_cmp_gt_u32_e64 s[48:49], s80, v2
	v_lshlrev_b32_e32 v2, 2, v2
	v_mov_b32_e32 v5, v1
	s_and_saveexec_b64 s[6:7], s[48:49]
	s_cbranch_execz .LBB55_5
; %bb.4:
	v_mov_b32_e32 v3, s77
	v_sub_co_u32_e64 v6, s[4:5], s76, v2
	s_nop 1
	v_subbrev_co_u32_e64 v7, s[4:5], 0, v3, s[4:5]
	flat_load_dword v5, v[6:7]
.LBB55_5:
	s_or_b64 exec, exec, s[6:7]
	v_or_b32_e32 v3, 0x200, v0
	v_cmp_gt_u32_e64 s[4:5], s80, v3
	v_lshlrev_b32_e32 v3, 2, v3
	v_mov_b32_e32 v6, v1
	s_and_saveexec_b64 s[8:9], s[4:5]
	s_cbranch_execz .LBB55_7
; %bb.6:
	v_mov_b32_e32 v7, s77
	v_sub_co_u32_e64 v6, s[6:7], s76, v3
	s_nop 1
	v_subbrev_co_u32_e64 v7, s[6:7], 0, v7, s[6:7]
	flat_load_dword v6, v[6:7]
.LBB55_7:
	;; [unrolled: 14-line block ×21, first 2 shown]
	s_or_b64 exec, exec, s[50:51]
	v_or_b32_e32 v29, 0x1600, v0
	v_cmp_gt_u32_e64 s[46:47], s80, v29
	v_lshlrev_b32_e32 v30, 2, v29
	s_and_saveexec_b64 s[56:57], s[46:47]
	s_cbranch_execz .LBB55_47
; %bb.46:
	v_mov_b32_e32 v1, s77
	v_sub_co_u32_e64 v48, s[50:51], s76, v30
	s_nop 1
	v_subbrev_co_u32_e64 v49, s[50:51], 0, v1, s[50:51]
	flat_load_dword v1, v[48:49]
.LBB55_47:
	s_or_b64 exec, exec, s[56:57]
	s_lshl_b64 s[50:51], s[74:75], 2
	s_add_u32 s50, s62, s50
	s_addc_u32 s51, s63, s51
	s_add_u32 s56, s50, -4
	s_addc_u32 s57, s51, -1
	s_and_b64 s[50:51], s[72:73], exec
	s_cselect_b32 s50, s3, s56
	s_cselect_b32 s51, s67, s57
	s_cmp_eq_u64 s[74:75], 0
	v_lshlrev_b32_e32 v29, 2, v0
	s_cselect_b32 s51, s77, s51
	s_cselect_b32 s50, s76, s50
	s_waitcnt vmcnt(0) lgkmcnt(0)
	ds_write2st64_b32 v29, v4, v5 offset1:4
	ds_write2st64_b32 v29, v6, v7 offset0:8 offset1:12
	ds_write2st64_b32 v29, v8, v9 offset0:16 offset1:20
	;; [unrolled: 1-line block ×10, first 2 shown]
	ds_write_b32 v29, v1 offset:22528
	v_mov_b32_e32 v4, s50
	v_mov_b32_e32 v5, s51
	s_waitcnt lgkmcnt(0)
	s_barrier
	flat_load_dword v70, v[4:5]
	s_movk_i32 s50, 0x58
	v_mad_u32_u24 v1, v0, s50, v29
	s_movk_i32 s50, 0xffa8
	ds_read2_b32 v[68:69], v1 offset1:1
	ds_read2_b32 v[66:67], v1 offset0:2 offset1:3
	ds_read2_b32 v[64:65], v1 offset0:4 offset1:5
	ds_read2_b32 v[62:63], v1 offset0:6 offset1:7
	ds_read2_b32 v[8:9], v1 offset0:16 offset1:17
	ds_read2_b32 v[6:7], v1 offset0:18 offset1:19
	ds_read2_b32 v[4:5], v1 offset0:20 offset1:21
	ds_read_b32 v72, v1 offset:88
	ds_read2_b32 v[60:61], v1 offset0:8 offset1:9
	ds_read2_b32 v[58:59], v1 offset0:10 offset1:11
	;; [unrolled: 1-line block ×4, first 2 shown]
	v_mad_i32_i24 v31, v0, s50, v1
	v_cmp_ne_u32_e64 s[50:51], 0, v0
	s_waitcnt lgkmcnt(0)
	ds_write_b32 v31, v72 offset:23552
	s_waitcnt lgkmcnt(0)
	s_barrier
	s_and_saveexec_b64 s[56:57], s[50:51]
	s_cbranch_execz .LBB55_49
; %bb.48:
	v_mul_i32_i24_e32 v31, 0xffffffa8, v0
	v_add_u32_e32 v31, v1, v31
	s_waitcnt vmcnt(0)
	ds_read_b32 v70, v31 offset:23548
.LBB55_49:
	s_or_b64 exec, exec, s[56:57]
	s_add_u32 s56, s52, -4
	s_addc_u32 s57, s53, -1
	s_waitcnt lgkmcnt(0)
	s_barrier
	s_waitcnt lgkmcnt(0)
                                        ; implicit-def: $vgpr31
	s_and_saveexec_b64 s[50:51], vcc
	s_cbranch_execz .LBB55_72
; %bb.50:
	v_mov_b32_e32 v31, s57
	v_sub_co_u32_e32 v32, vcc, s56, v29
	s_nop 1
	v_subbrev_co_u32_e32 v33, vcc, 0, v31, vcc
	flat_load_dword v31, v[32:33]
	s_or_b64 exec, exec, s[50:51]
                                        ; implicit-def: $vgpr32
	s_and_saveexec_b64 s[50:51], s[48:49]
	s_cbranch_execnz .LBB55_73
.LBB55_51:
	s_or_b64 exec, exec, s[50:51]
                                        ; implicit-def: $vgpr2
	s_and_saveexec_b64 s[48:49], s[4:5]
	s_cbranch_execz .LBB55_74
.LBB55_52:
	v_mov_b32_e32 v33, s57
	v_sub_co_u32_e32 v2, vcc, s56, v3
	s_nop 1
	v_subbrev_co_u32_e32 v3, vcc, 0, v33, vcc
	flat_load_dword v2, v[2:3]
	s_or_b64 exec, exec, s[48:49]
                                        ; implicit-def: $vgpr3
	s_and_saveexec_b64 s[4:5], s[6:7]
	s_cbranch_execnz .LBB55_75
.LBB55_53:
	s_or_b64 exec, exec, s[4:5]
                                        ; implicit-def: $vgpr10
	s_and_saveexec_b64 s[4:5], s[8:9]
	s_cbranch_execz .LBB55_76
.LBB55_54:
	v_mov_b32_e32 v33, s57
	v_sub_co_u32_e32 v10, vcc, s56, v11
	s_nop 1
	v_subbrev_co_u32_e32 v11, vcc, 0, v33, vcc
	flat_load_dword v10, v[10:11]
	s_or_b64 exec, exec, s[4:5]
                                        ; implicit-def: $vgpr11
	s_and_saveexec_b64 s[4:5], s[10:11]
	s_cbranch_execnz .LBB55_77
.LBB55_55:
	s_or_b64 exec, exec, s[4:5]
                                        ; implicit-def: $vgpr12
	s_and_saveexec_b64 s[4:5], s[12:13]
	s_cbranch_execz .LBB55_78
.LBB55_56:
	v_mov_b32_e32 v33, s57
	v_sub_co_u32_e32 v12, vcc, s56, v13
	s_nop 1
	v_subbrev_co_u32_e32 v13, vcc, 0, v33, vcc
	flat_load_dword v12, v[12:13]
	s_or_b64 exec, exec, s[4:5]
                                        ; implicit-def: $vgpr13
	s_and_saveexec_b64 s[4:5], s[14:15]
	s_cbranch_execnz .LBB55_79
.LBB55_57:
	s_or_b64 exec, exec, s[4:5]
                                        ; implicit-def: $vgpr14
	s_and_saveexec_b64 s[4:5], s[16:17]
	s_cbranch_execz .LBB55_80
.LBB55_58:
	v_mov_b32_e32 v33, s57
	v_sub_co_u32_e32 v14, vcc, s56, v15
	s_nop 1
	v_subbrev_co_u32_e32 v15, vcc, 0, v33, vcc
	flat_load_dword v14, v[14:15]
	s_or_b64 exec, exec, s[4:5]
                                        ; implicit-def: $vgpr15
	s_and_saveexec_b64 s[4:5], s[18:19]
	s_cbranch_execnz .LBB55_81
.LBB55_59:
	s_or_b64 exec, exec, s[4:5]
                                        ; implicit-def: $vgpr16
	s_and_saveexec_b64 s[4:5], s[20:21]
	s_cbranch_execz .LBB55_82
.LBB55_60:
	v_mov_b32_e32 v33, s57
	v_sub_co_u32_e32 v16, vcc, s56, v17
	s_nop 1
	v_subbrev_co_u32_e32 v17, vcc, 0, v33, vcc
	flat_load_dword v16, v[16:17]
	s_or_b64 exec, exec, s[4:5]
                                        ; implicit-def: $vgpr17
	s_and_saveexec_b64 s[4:5], s[22:23]
	s_cbranch_execnz .LBB55_83
.LBB55_61:
	s_or_b64 exec, exec, s[4:5]
                                        ; implicit-def: $vgpr18
	s_and_saveexec_b64 s[4:5], s[24:25]
	s_cbranch_execz .LBB55_84
.LBB55_62:
	v_mov_b32_e32 v33, s57
	v_sub_co_u32_e32 v18, vcc, s56, v19
	s_nop 1
	v_subbrev_co_u32_e32 v19, vcc, 0, v33, vcc
	flat_load_dword v18, v[18:19]
	s_or_b64 exec, exec, s[4:5]
                                        ; implicit-def: $vgpr19
	s_and_saveexec_b64 s[4:5], s[26:27]
	s_cbranch_execnz .LBB55_85
.LBB55_63:
	s_or_b64 exec, exec, s[4:5]
                                        ; implicit-def: $vgpr20
	s_and_saveexec_b64 s[4:5], s[28:29]
	s_cbranch_execz .LBB55_86
.LBB55_64:
	v_mov_b32_e32 v33, s57
	v_sub_co_u32_e32 v20, vcc, s56, v21
	s_nop 1
	v_subbrev_co_u32_e32 v21, vcc, 0, v33, vcc
	flat_load_dword v20, v[20:21]
	s_or_b64 exec, exec, s[4:5]
                                        ; implicit-def: $vgpr21
	s_and_saveexec_b64 s[4:5], s[30:31]
	s_cbranch_execnz .LBB55_87
.LBB55_65:
	s_or_b64 exec, exec, s[4:5]
                                        ; implicit-def: $vgpr22
	s_and_saveexec_b64 s[4:5], s[34:35]
	s_cbranch_execz .LBB55_88
.LBB55_66:
	v_mov_b32_e32 v33, s57
	v_sub_co_u32_e32 v22, vcc, s56, v23
	s_nop 1
	v_subbrev_co_u32_e32 v23, vcc, 0, v33, vcc
	flat_load_dword v22, v[22:23]
	s_or_b64 exec, exec, s[4:5]
                                        ; implicit-def: $vgpr23
	s_and_saveexec_b64 s[4:5], s[36:37]
	s_cbranch_execnz .LBB55_89
.LBB55_67:
	s_or_b64 exec, exec, s[4:5]
                                        ; implicit-def: $vgpr24
	s_and_saveexec_b64 s[4:5], s[38:39]
	s_cbranch_execz .LBB55_90
.LBB55_68:
	v_mov_b32_e32 v33, s57
	v_sub_co_u32_e32 v24, vcc, s56, v25
	s_nop 1
	v_subbrev_co_u32_e32 v25, vcc, 0, v33, vcc
	flat_load_dword v24, v[24:25]
	s_or_b64 exec, exec, s[4:5]
                                        ; implicit-def: $vgpr25
	s_and_saveexec_b64 s[4:5], s[40:41]
	s_cbranch_execnz .LBB55_91
.LBB55_69:
	s_or_b64 exec, exec, s[4:5]
                                        ; implicit-def: $vgpr26
	s_and_saveexec_b64 s[4:5], s[42:43]
	s_cbranch_execz .LBB55_92
.LBB55_70:
	v_mov_b32_e32 v33, s57
	v_sub_co_u32_e32 v26, vcc, s56, v27
	s_nop 1
	v_subbrev_co_u32_e32 v27, vcc, 0, v33, vcc
	flat_load_dword v26, v[26:27]
	s_or_b64 exec, exec, s[4:5]
                                        ; implicit-def: $vgpr27
	s_and_saveexec_b64 s[4:5], s[44:45]
	s_cbranch_execz .LBB55_94
	s_branch .LBB55_93
.LBB55_71:
                                        ; implicit-def: $sgpr10_sgpr11
                                        ; implicit-def: $vgpr3
                                        ; implicit-def: $vgpr10_vgpr11
                                        ; implicit-def: $vgpr12_vgpr13
                                        ; implicit-def: $vgpr14_vgpr15
                                        ; implicit-def: $vgpr16_vgpr17
                                        ; implicit-def: $vgpr18_vgpr19
                                        ; implicit-def: $vgpr20_vgpr21
                                        ; implicit-def: $vgpr22_vgpr23
                                        ; implicit-def: $vgpr24_vgpr25
                                        ; implicit-def: $vgpr26_vgpr27
                                        ; implicit-def: $vgpr28_vgpr29
                                        ; implicit-def: $vgpr30_vgpr31
                                        ; implicit-def: $vgpr32_vgpr33
                                        ; implicit-def: $vgpr34_vgpr35
                                        ; implicit-def: $vgpr36_vgpr37
                                        ; implicit-def: $vgpr38_vgpr39
                                        ; implicit-def: $vgpr40_vgpr41
                                        ; implicit-def: $vgpr42_vgpr43
                                        ; implicit-def: $vgpr44_vgpr45
                                        ; implicit-def: $vgpr46_vgpr47
                                        ; implicit-def: $vgpr48_vgpr49
                                        ; implicit-def: $vgpr50_vgpr51
                                        ; implicit-def: $vgpr52_vgpr53
                                        ; implicit-def: $sgpr8_sgpr9
	s_and_b64 vcc, exec, s[6:7]
	v_lshlrev_b32_e32 v1, 2, v0
	v_cmp_ne_u32_e64 s[4:5], 0, v0
	s_cbranch_vccz .LBB55_144
	s_branch .LBB55_141
.LBB55_72:
	s_or_b64 exec, exec, s[50:51]
                                        ; implicit-def: $vgpr32
	s_and_saveexec_b64 s[50:51], s[48:49]
	s_cbranch_execz .LBB55_51
.LBB55_73:
	v_mov_b32_e32 v33, s57
	v_sub_co_u32_e32 v32, vcc, s56, v2
	s_nop 1
	v_subbrev_co_u32_e32 v33, vcc, 0, v33, vcc
	flat_load_dword v32, v[32:33]
	s_or_b64 exec, exec, s[50:51]
                                        ; implicit-def: $vgpr2
	s_and_saveexec_b64 s[48:49], s[4:5]
	s_cbranch_execnz .LBB55_52
.LBB55_74:
	s_or_b64 exec, exec, s[48:49]
                                        ; implicit-def: $vgpr3
	s_and_saveexec_b64 s[4:5], s[6:7]
	s_cbranch_execz .LBB55_53
.LBB55_75:
	v_mov_b32_e32 v3, s57
	v_sub_co_u32_e32 v34, vcc, s56, v10
	s_nop 1
	v_subbrev_co_u32_e32 v35, vcc, 0, v3, vcc
	flat_load_dword v3, v[34:35]
	s_or_b64 exec, exec, s[4:5]
                                        ; implicit-def: $vgpr10
	s_and_saveexec_b64 s[4:5], s[8:9]
	s_cbranch_execnz .LBB55_54
.LBB55_76:
	s_or_b64 exec, exec, s[4:5]
                                        ; implicit-def: $vgpr11
	s_and_saveexec_b64 s[4:5], s[10:11]
	s_cbranch_execz .LBB55_55
.LBB55_77:
	v_mov_b32_e32 v11, s57
	v_sub_co_u32_e32 v34, vcc, s56, v12
	s_nop 1
	v_subbrev_co_u32_e32 v35, vcc, 0, v11, vcc
	flat_load_dword v11, v[34:35]
	s_or_b64 exec, exec, s[4:5]
                                        ; implicit-def: $vgpr12
	s_and_saveexec_b64 s[4:5], s[12:13]
	s_cbranch_execnz .LBB55_56
.LBB55_78:
	s_or_b64 exec, exec, s[4:5]
                                        ; implicit-def: $vgpr13
	s_and_saveexec_b64 s[4:5], s[14:15]
	s_cbranch_execz .LBB55_57
.LBB55_79:
	v_mov_b32_e32 v13, s57
	v_sub_co_u32_e32 v34, vcc, s56, v14
	s_nop 1
	v_subbrev_co_u32_e32 v35, vcc, 0, v13, vcc
	flat_load_dword v13, v[34:35]
	s_or_b64 exec, exec, s[4:5]
                                        ; implicit-def: $vgpr14
	s_and_saveexec_b64 s[4:5], s[16:17]
	s_cbranch_execnz .LBB55_58
.LBB55_80:
	s_or_b64 exec, exec, s[4:5]
                                        ; implicit-def: $vgpr15
	s_and_saveexec_b64 s[4:5], s[18:19]
	s_cbranch_execz .LBB55_59
.LBB55_81:
	v_mov_b32_e32 v15, s57
	v_sub_co_u32_e32 v34, vcc, s56, v16
	s_nop 1
	v_subbrev_co_u32_e32 v35, vcc, 0, v15, vcc
	flat_load_dword v15, v[34:35]
	s_or_b64 exec, exec, s[4:5]
                                        ; implicit-def: $vgpr16
	s_and_saveexec_b64 s[4:5], s[20:21]
	s_cbranch_execnz .LBB55_60
.LBB55_82:
	s_or_b64 exec, exec, s[4:5]
                                        ; implicit-def: $vgpr17
	s_and_saveexec_b64 s[4:5], s[22:23]
	s_cbranch_execz .LBB55_61
.LBB55_83:
	v_mov_b32_e32 v17, s57
	v_sub_co_u32_e32 v34, vcc, s56, v18
	s_nop 1
	v_subbrev_co_u32_e32 v35, vcc, 0, v17, vcc
	flat_load_dword v17, v[34:35]
	s_or_b64 exec, exec, s[4:5]
                                        ; implicit-def: $vgpr18
	s_and_saveexec_b64 s[4:5], s[24:25]
	s_cbranch_execnz .LBB55_62
.LBB55_84:
	s_or_b64 exec, exec, s[4:5]
                                        ; implicit-def: $vgpr19
	s_and_saveexec_b64 s[4:5], s[26:27]
	s_cbranch_execz .LBB55_63
.LBB55_85:
	v_mov_b32_e32 v19, s57
	v_sub_co_u32_e32 v34, vcc, s56, v20
	s_nop 1
	v_subbrev_co_u32_e32 v35, vcc, 0, v19, vcc
	flat_load_dword v19, v[34:35]
	s_or_b64 exec, exec, s[4:5]
                                        ; implicit-def: $vgpr20
	s_and_saveexec_b64 s[4:5], s[28:29]
	s_cbranch_execnz .LBB55_64
.LBB55_86:
	s_or_b64 exec, exec, s[4:5]
                                        ; implicit-def: $vgpr21
	s_and_saveexec_b64 s[4:5], s[30:31]
	s_cbranch_execz .LBB55_65
.LBB55_87:
	v_mov_b32_e32 v21, s57
	v_sub_co_u32_e32 v34, vcc, s56, v22
	s_nop 1
	v_subbrev_co_u32_e32 v35, vcc, 0, v21, vcc
	flat_load_dword v21, v[34:35]
	s_or_b64 exec, exec, s[4:5]
                                        ; implicit-def: $vgpr22
	s_and_saveexec_b64 s[4:5], s[34:35]
	s_cbranch_execnz .LBB55_66
.LBB55_88:
	s_or_b64 exec, exec, s[4:5]
                                        ; implicit-def: $vgpr23
	s_and_saveexec_b64 s[4:5], s[36:37]
	s_cbranch_execz .LBB55_67
.LBB55_89:
	v_mov_b32_e32 v23, s57
	v_sub_co_u32_e32 v34, vcc, s56, v24
	s_nop 1
	v_subbrev_co_u32_e32 v35, vcc, 0, v23, vcc
	flat_load_dword v23, v[34:35]
	s_or_b64 exec, exec, s[4:5]
                                        ; implicit-def: $vgpr24
	s_and_saveexec_b64 s[4:5], s[38:39]
	s_cbranch_execnz .LBB55_68
.LBB55_90:
	s_or_b64 exec, exec, s[4:5]
                                        ; implicit-def: $vgpr25
	s_and_saveexec_b64 s[4:5], s[40:41]
	s_cbranch_execz .LBB55_69
.LBB55_91:
	v_mov_b32_e32 v25, s57
	v_sub_co_u32_e32 v34, vcc, s56, v26
	s_nop 1
	v_subbrev_co_u32_e32 v35, vcc, 0, v25, vcc
	flat_load_dword v25, v[34:35]
	s_or_b64 exec, exec, s[4:5]
                                        ; implicit-def: $vgpr26
	s_and_saveexec_b64 s[4:5], s[42:43]
	s_cbranch_execnz .LBB55_70
.LBB55_92:
	s_or_b64 exec, exec, s[4:5]
                                        ; implicit-def: $vgpr27
	s_and_saveexec_b64 s[4:5], s[44:45]
	s_cbranch_execz .LBB55_94
.LBB55_93:
	v_mov_b32_e32 v27, s57
	v_sub_co_u32_e32 v34, vcc, s56, v28
	s_nop 1
	v_subbrev_co_u32_e32 v35, vcc, 0, v27, vcc
	flat_load_dword v27, v[34:35]
.LBB55_94:
	s_or_b64 exec, exec, s[4:5]
	v_mul_u32_u24_e32 v73, 23, v0
                                        ; implicit-def: $vgpr28
	s_and_saveexec_b64 s[4:5], s[46:47]
	s_cbranch_execz .LBB55_96
; %bb.95:
	v_mov_b32_e32 v28, s57
	v_sub_co_u32_e32 v34, vcc, s56, v30
	s_nop 1
	v_subbrev_co_u32_e32 v35, vcc, 0, v28, vcc
	flat_load_dword v28, v[34:35]
.LBB55_96:
	s_or_b64 exec, exec, s[4:5]
	s_waitcnt vmcnt(0) lgkmcnt(0)
	ds_write2st64_b32 v29, v31, v32 offset1:4
	ds_write2st64_b32 v29, v2, v3 offset0:8 offset1:12
	ds_write2st64_b32 v29, v10, v11 offset0:16 offset1:20
	ds_write2st64_b32 v29, v12, v13 offset0:24 offset1:28
	ds_write2st64_b32 v29, v14, v15 offset0:32 offset1:36
	ds_write2st64_b32 v29, v16, v17 offset0:40 offset1:44
	ds_write2st64_b32 v29, v18, v19 offset0:48 offset1:52
	ds_write2st64_b32 v29, v20, v21 offset0:56 offset1:60
	ds_write2st64_b32 v29, v22, v23 offset0:64 offset1:68
	ds_write2st64_b32 v29, v24, v25 offset0:72 offset1:76
	ds_write2st64_b32 v29, v26, v27 offset0:80 offset1:84
	ds_write_b32 v29, v28 offset:22528
	v_mov_b64_e32 v[10:11], 0
	v_cmp_gt_u32_e32 vcc, s80, v73
	s_mov_b64 s[12:13], 0
	s_mov_b64 s[6:7], 0
	v_mov_b64_e32 v[12:13], v[10:11]
	v_mov_b64_e32 v[14:15], v[10:11]
	;; [unrolled: 1-line block ×21, first 2 shown]
	s_waitcnt lgkmcnt(0)
	s_barrier
	s_waitcnt lgkmcnt(0)
                                        ; implicit-def: $sgpr10_sgpr11
                                        ; implicit-def: $vgpr3
	s_and_saveexec_b64 s[8:9], vcc
	s_cbranch_execz .LBB55_140
; %bb.97:
	ds_read_b32 v10, v1
	v_add_u32_e32 v2, 1, v73
	v_cmp_ne_u32_e32 vcc, v70, v68
	v_mov_b64_e32 v[12:13], 0
	s_mov_b64 s[4:5], 0
	v_cndmask_b32_e64 v11, 0, 1, vcc
	v_cmp_gt_u32_e32 vcc, s80, v2
	v_mov_b64_e32 v[14:15], v[12:13]
	v_mov_b64_e32 v[16:17], v[12:13]
	;; [unrolled: 1-line block ×20, first 2 shown]
                                        ; implicit-def: $sgpr14_sgpr15
                                        ; implicit-def: $vgpr3
	s_and_saveexec_b64 s[10:11], vcc
	s_cbranch_execz .LBB55_139
; %bb.98:
	ds_read2_b32 v[70:71], v1 offset0:1 offset1:2
	v_add_u32_e32 v2, 2, v73
	v_cmp_ne_u32_e32 vcc, v68, v69
	v_mov_b64_e32 v[14:15], 0
	s_mov_b64 s[16:17], 0
	v_cndmask_b32_e64 v13, 0, 1, vcc
	v_cmp_gt_u32_e32 vcc, s80, v2
	s_waitcnt lgkmcnt(0)
	v_mov_b32_e32 v12, v70
	v_mov_b64_e32 v[16:17], v[14:15]
	v_mov_b64_e32 v[18:19], v[14:15]
	;; [unrolled: 1-line block ×19, first 2 shown]
                                        ; implicit-def: $sgpr14_sgpr15
                                        ; implicit-def: $vgpr3
	s_and_saveexec_b64 s[12:13], vcc
	s_cbranch_execz .LBB55_138
; %bb.99:
	v_add_u32_e32 v2, 3, v73
	v_cmp_ne_u32_e32 vcc, v69, v66
	v_mov_b64_e32 v[16:17], 0
	v_mov_b32_e32 v14, v71
	v_cndmask_b32_e64 v15, 0, 1, vcc
	v_cmp_gt_u32_e32 vcc, s80, v2
	v_mov_b64_e32 v[18:19], v[16:17]
	v_mov_b64_e32 v[20:21], v[16:17]
	;; [unrolled: 1-line block ×18, first 2 shown]
                                        ; implicit-def: $sgpr18_sgpr19
                                        ; implicit-def: $vgpr3
	s_and_saveexec_b64 s[14:15], vcc
	s_cbranch_execz .LBB55_137
; %bb.100:
	ds_read2_b32 v[68:69], v1 offset0:3 offset1:4
	v_add_u32_e32 v2, 4, v73
	v_cmp_ne_u32_e32 vcc, v66, v67
	v_mov_b64_e32 v[18:19], 0
	s_mov_b64 s[20:21], 0
	v_cndmask_b32_e64 v17, 0, 1, vcc
	v_cmp_gt_u32_e32 vcc, s80, v2
	s_waitcnt lgkmcnt(0)
	v_mov_b32_e32 v16, v68
	v_mov_b64_e32 v[20:21], v[18:19]
	v_mov_b64_e32 v[22:23], v[18:19]
	;; [unrolled: 1-line block ×17, first 2 shown]
                                        ; implicit-def: $sgpr18_sgpr19
                                        ; implicit-def: $vgpr3
	s_and_saveexec_b64 s[16:17], vcc
	s_cbranch_execz .LBB55_136
; %bb.101:
	v_add_u32_e32 v2, 5, v73
	v_cmp_ne_u32_e32 vcc, v67, v64
	v_mov_b64_e32 v[20:21], 0
	v_mov_b32_e32 v18, v69
	v_cndmask_b32_e64 v19, 0, 1, vcc
	v_cmp_gt_u32_e32 vcc, s80, v2
	v_mov_b64_e32 v[22:23], v[20:21]
	v_mov_b64_e32 v[24:25], v[20:21]
	;; [unrolled: 1-line block ×16, first 2 shown]
                                        ; implicit-def: $sgpr22_sgpr23
                                        ; implicit-def: $vgpr3
	s_and_saveexec_b64 s[18:19], vcc
	s_cbranch_execz .LBB55_135
; %bb.102:
	ds_read2_b32 v[66:67], v1 offset0:5 offset1:6
	v_add_u32_e32 v2, 6, v73
	v_cmp_ne_u32_e32 vcc, v64, v65
	v_mov_b64_e32 v[22:23], 0
	s_mov_b64 s[24:25], 0
	v_cndmask_b32_e64 v21, 0, 1, vcc
	v_cmp_gt_u32_e32 vcc, s80, v2
	s_waitcnt lgkmcnt(0)
	v_mov_b32_e32 v20, v66
	v_mov_b64_e32 v[24:25], v[22:23]
	v_mov_b64_e32 v[26:27], v[22:23]
	;; [unrolled: 1-line block ×15, first 2 shown]
                                        ; implicit-def: $sgpr22_sgpr23
                                        ; implicit-def: $vgpr3
	s_and_saveexec_b64 s[20:21], vcc
	s_cbranch_execz .LBB55_134
; %bb.103:
	v_add_u32_e32 v2, 7, v73
	v_cmp_ne_u32_e32 vcc, v65, v62
	v_mov_b64_e32 v[24:25], 0
	v_mov_b32_e32 v22, v67
	v_cndmask_b32_e64 v23, 0, 1, vcc
	v_cmp_gt_u32_e32 vcc, s80, v2
	v_mov_b64_e32 v[26:27], v[24:25]
	v_mov_b64_e32 v[28:29], v[24:25]
	;; [unrolled: 1-line block ×14, first 2 shown]
                                        ; implicit-def: $sgpr26_sgpr27
                                        ; implicit-def: $vgpr3
	s_and_saveexec_b64 s[22:23], vcc
	s_cbranch_execz .LBB55_133
; %bb.104:
	ds_read2_b32 v[64:65], v1 offset0:7 offset1:8
	v_add_u32_e32 v2, 8, v73
	v_cmp_ne_u32_e32 vcc, v62, v63
	v_mov_b64_e32 v[26:27], 0
	s_mov_b64 s[28:29], 0
	v_cndmask_b32_e64 v25, 0, 1, vcc
	v_cmp_gt_u32_e32 vcc, s80, v2
	s_waitcnt lgkmcnt(0)
	v_mov_b32_e32 v24, v64
	v_mov_b64_e32 v[28:29], v[26:27]
	v_mov_b64_e32 v[30:31], v[26:27]
	;; [unrolled: 1-line block ×13, first 2 shown]
                                        ; implicit-def: $sgpr26_sgpr27
                                        ; implicit-def: $vgpr3
	s_and_saveexec_b64 s[24:25], vcc
	s_cbranch_execz .LBB55_132
; %bb.105:
	v_add_u32_e32 v2, 9, v73
	v_cmp_ne_u32_e32 vcc, v63, v60
	v_mov_b64_e32 v[28:29], 0
	v_mov_b32_e32 v26, v65
	v_cndmask_b32_e64 v27, 0, 1, vcc
	v_cmp_gt_u32_e32 vcc, s80, v2
	v_mov_b64_e32 v[30:31], v[28:29]
	v_mov_b64_e32 v[32:33], v[28:29]
	;; [unrolled: 1-line block ×12, first 2 shown]
                                        ; implicit-def: $sgpr30_sgpr31
                                        ; implicit-def: $vgpr3
	s_and_saveexec_b64 s[26:27], vcc
	s_cbranch_execz .LBB55_131
; %bb.106:
	ds_read2_b32 v[62:63], v1 offset0:9 offset1:10
	v_add_u32_e32 v2, 10, v73
	v_cmp_ne_u32_e32 vcc, v60, v61
	v_mov_b64_e32 v[30:31], 0
	s_mov_b64 s[34:35], 0
	v_cndmask_b32_e64 v29, 0, 1, vcc
	v_cmp_gt_u32_e32 vcc, s80, v2
	s_waitcnt lgkmcnt(0)
	v_mov_b32_e32 v28, v62
	v_mov_b64_e32 v[32:33], v[30:31]
	v_mov_b64_e32 v[34:35], v[30:31]
	;; [unrolled: 1-line block ×11, first 2 shown]
                                        ; implicit-def: $sgpr30_sgpr31
                                        ; implicit-def: $vgpr3
	s_and_saveexec_b64 s[28:29], vcc
	s_cbranch_execz .LBB55_130
; %bb.107:
	v_add_u32_e32 v2, 11, v73
	v_cmp_ne_u32_e32 vcc, v61, v58
	v_mov_b64_e32 v[32:33], 0
	v_mov_b32_e32 v30, v63
	v_cndmask_b32_e64 v31, 0, 1, vcc
	v_cmp_gt_u32_e32 vcc, s80, v2
	v_mov_b64_e32 v[34:35], v[32:33]
	v_mov_b64_e32 v[36:37], v[32:33]
	v_mov_b64_e32 v[38:39], v[32:33]
	v_mov_b64_e32 v[40:41], v[32:33]
	v_mov_b64_e32 v[42:43], v[32:33]
	v_mov_b64_e32 v[44:45], v[32:33]
	v_mov_b64_e32 v[46:47], v[32:33]
	v_mov_b64_e32 v[48:49], v[32:33]
	v_mov_b64_e32 v[50:51], v[32:33]
	v_mov_b64_e32 v[52:53], v[32:33]
                                        ; implicit-def: $sgpr36_sgpr37
                                        ; implicit-def: $vgpr3
	s_and_saveexec_b64 s[30:31], vcc
	s_cbranch_execz .LBB55_129
; %bb.108:
	ds_read2_b32 v[60:61], v1 offset0:11 offset1:12
	v_add_u32_e32 v2, 12, v73
	v_cmp_ne_u32_e32 vcc, v58, v59
	v_mov_b64_e32 v[34:35], 0
	s_mov_b64 s[38:39], 0
	v_cndmask_b32_e64 v33, 0, 1, vcc
	v_cmp_gt_u32_e32 vcc, s80, v2
	s_waitcnt lgkmcnt(0)
	v_mov_b32_e32 v32, v60
	v_mov_b64_e32 v[36:37], v[34:35]
	v_mov_b64_e32 v[38:39], v[34:35]
	;; [unrolled: 1-line block ×9, first 2 shown]
                                        ; implicit-def: $sgpr36_sgpr37
                                        ; implicit-def: $vgpr3
	s_and_saveexec_b64 s[34:35], vcc
	s_cbranch_execz .LBB55_128
; %bb.109:
	v_add_u32_e32 v2, 13, v73
	v_cmp_ne_u32_e32 vcc, v59, v56
	v_mov_b64_e32 v[36:37], 0
	v_mov_b32_e32 v34, v61
	v_cndmask_b32_e64 v35, 0, 1, vcc
	v_cmp_gt_u32_e32 vcc, s80, v2
	v_mov_b64_e32 v[38:39], v[36:37]
	v_mov_b64_e32 v[40:41], v[36:37]
	;; [unrolled: 1-line block ×8, first 2 shown]
                                        ; implicit-def: $sgpr40_sgpr41
                                        ; implicit-def: $vgpr3
	s_and_saveexec_b64 s[36:37], vcc
	s_cbranch_execz .LBB55_127
; %bb.110:
	ds_read2_b32 v[58:59], v1 offset0:13 offset1:14
	v_add_u32_e32 v2, 14, v73
	v_cmp_ne_u32_e32 vcc, v56, v57
	v_mov_b64_e32 v[38:39], 0
	s_mov_b64 s[42:43], 0
	v_cndmask_b32_e64 v37, 0, 1, vcc
	v_cmp_gt_u32_e32 vcc, s80, v2
	s_waitcnt lgkmcnt(0)
	v_mov_b32_e32 v36, v58
	v_mov_b64_e32 v[40:41], v[38:39]
	v_mov_b64_e32 v[42:43], v[38:39]
	;; [unrolled: 1-line block ×7, first 2 shown]
                                        ; implicit-def: $sgpr40_sgpr41
                                        ; implicit-def: $vgpr3
	s_and_saveexec_b64 s[38:39], vcc
	s_cbranch_execz .LBB55_126
; %bb.111:
	v_add_u32_e32 v2, 15, v73
	v_cmp_ne_u32_e32 vcc, v57, v54
	v_mov_b64_e32 v[40:41], 0
	v_mov_b32_e32 v38, v59
	v_cndmask_b32_e64 v39, 0, 1, vcc
	v_cmp_gt_u32_e32 vcc, s80, v2
	v_mov_b64_e32 v[42:43], v[40:41]
	v_mov_b64_e32 v[44:45], v[40:41]
	;; [unrolled: 1-line block ×6, first 2 shown]
                                        ; implicit-def: $sgpr44_sgpr45
                                        ; implicit-def: $vgpr3
	s_and_saveexec_b64 s[40:41], vcc
	s_cbranch_execz .LBB55_125
; %bb.112:
	ds_read2_b32 v[56:57], v1 offset0:15 offset1:16
	v_add_u32_e32 v2, 16, v73
	v_cmp_ne_u32_e32 vcc, v54, v55
	v_mov_b64_e32 v[42:43], 0
	s_mov_b64 s[46:47], 0
	v_cndmask_b32_e64 v41, 0, 1, vcc
	v_cmp_gt_u32_e32 vcc, s80, v2
	s_waitcnt lgkmcnt(0)
	v_mov_b32_e32 v40, v56
	v_mov_b64_e32 v[44:45], v[42:43]
	v_mov_b64_e32 v[46:47], v[42:43]
	;; [unrolled: 1-line block ×5, first 2 shown]
                                        ; implicit-def: $sgpr44_sgpr45
                                        ; implicit-def: $vgpr3
	s_and_saveexec_b64 s[42:43], vcc
	s_cbranch_execz .LBB55_124
; %bb.113:
	v_add_u32_e32 v2, 17, v73
	v_cmp_ne_u32_e32 vcc, v55, v8
	v_mov_b64_e32 v[44:45], 0
	v_mov_b32_e32 v42, v57
	v_cndmask_b32_e64 v43, 0, 1, vcc
	v_cmp_gt_u32_e32 vcc, s80, v2
	v_mov_b64_e32 v[46:47], v[44:45]
	v_mov_b64_e32 v[48:49], v[44:45]
	;; [unrolled: 1-line block ×4, first 2 shown]
                                        ; implicit-def: $sgpr48_sgpr49
                                        ; implicit-def: $vgpr3
	s_and_saveexec_b64 s[44:45], vcc
	s_cbranch_execz .LBB55_123
; %bb.114:
	ds_read2_b32 v[54:55], v1 offset0:17 offset1:18
	v_add_u32_e32 v2, 18, v73
	v_cmp_ne_u32_e32 vcc, v8, v9
	v_mov_b64_e32 v[46:47], 0
	s_mov_b64 s[50:51], 0
	v_cndmask_b32_e64 v45, 0, 1, vcc
	v_cmp_gt_u32_e32 vcc, s80, v2
	s_waitcnt lgkmcnt(0)
	v_mov_b32_e32 v44, v54
	v_mov_b64_e32 v[48:49], v[46:47]
	v_mov_b64_e32 v[50:51], v[46:47]
	;; [unrolled: 1-line block ×3, first 2 shown]
                                        ; implicit-def: $sgpr48_sgpr49
                                        ; implicit-def: $vgpr3
	s_and_saveexec_b64 s[46:47], vcc
	s_cbranch_execz .LBB55_122
; %bb.115:
	v_add_u32_e32 v2, 19, v73
	v_cmp_ne_u32_e32 vcc, v9, v6
	v_mov_b64_e32 v[48:49], 0
	v_mov_b32_e32 v46, v55
	v_cndmask_b32_e64 v47, 0, 1, vcc
	v_cmp_gt_u32_e32 vcc, s80, v2
	v_mov_b64_e32 v[50:51], v[48:49]
	v_mov_b64_e32 v[52:53], v[48:49]
                                        ; implicit-def: $sgpr56_sgpr57
                                        ; implicit-def: $vgpr3
	s_and_saveexec_b64 s[48:49], vcc
	s_cbranch_execz .LBB55_121
; %bb.116:
	ds_read2_b32 v[8:9], v1 offset0:19 offset1:20
	v_add_u32_e32 v2, 20, v73
	v_cmp_ne_u32_e32 vcc, v6, v7
	v_mov_b64_e32 v[50:51], 0
	s_mov_b64 s[56:57], 0
	v_cndmask_b32_e64 v49, 0, 1, vcc
	v_cmp_gt_u32_e32 vcc, s80, v2
	s_waitcnt lgkmcnt(0)
	v_mov_b32_e32 v48, v8
	v_mov_b64_e32 v[52:53], v[50:51]
                                        ; implicit-def: $sgpr76_sgpr77
                                        ; implicit-def: $vgpr3
	s_and_saveexec_b64 s[50:51], vcc
	s_cbranch_execz .LBB55_120
; %bb.117:
	v_add_u32_e32 v2, 21, v73
	v_cmp_ne_u32_e32 vcc, v7, v4
	v_mov_b32_e32 v50, v9
	v_mov_b64_e32 v[52:53], 0
	v_cndmask_b32_e64 v51, 0, 1, vcc
	v_cmp_gt_u32_e32 vcc, s80, v2
                                        ; implicit-def: $sgpr76_sgpr77
                                        ; implicit-def: $vgpr3
	s_and_saveexec_b64 s[4:5], vcc
	s_xor_b64 s[78:79], exec, s[4:5]
	s_cbranch_execz .LBB55_119
; %bb.118:
	ds_read2_b32 v[2:3], v1 offset0:21 offset1:22
	v_add_u32_e32 v1, 22, v73
	v_cmp_ne_u32_e64 s[4:5], v4, v5
	v_cmp_ne_u32_e32 vcc, v5, v72
	s_and_b64 s[76:77], vcc, exec
	v_cndmask_b32_e64 v53, 0, 1, s[4:5]
	v_cmp_gt_u32_e64 s[4:5], s80, v1
	s_waitcnt lgkmcnt(0)
	v_mov_b32_e32 v52, v2
	s_and_b64 s[56:57], s[4:5], exec
.LBB55_119:
	s_or_b64 exec, exec, s[78:79]
	s_and_b64 s[76:77], s[76:77], exec
	s_and_b64 s[4:5], s[56:57], exec
.LBB55_120:
	s_or_b64 exec, exec, s[50:51]
	s_and_b64 s[56:57], s[76:77], exec
	s_and_b64 s[50:51], s[4:5], exec
.LBB55_121:
	s_or_b64 exec, exec, s[48:49]
	s_and_b64 s[48:49], s[56:57], exec
	s_and_b64 s[4:5], s[50:51], exec
.LBB55_122:
	s_or_b64 exec, exec, s[46:47]
	s_and_b64 s[48:49], s[48:49], exec
	s_and_b64 s[46:47], s[4:5], exec
.LBB55_123:
	s_or_b64 exec, exec, s[44:45]
	s_and_b64 s[44:45], s[48:49], exec
	s_and_b64 s[4:5], s[46:47], exec
.LBB55_124:
	s_or_b64 exec, exec, s[42:43]
	s_and_b64 s[44:45], s[44:45], exec
	s_and_b64 s[42:43], s[4:5], exec
.LBB55_125:
	s_or_b64 exec, exec, s[40:41]
	s_and_b64 s[40:41], s[44:45], exec
	s_and_b64 s[4:5], s[42:43], exec
.LBB55_126:
	s_or_b64 exec, exec, s[38:39]
	s_and_b64 s[40:41], s[40:41], exec
	s_and_b64 s[38:39], s[4:5], exec
.LBB55_127:
	s_or_b64 exec, exec, s[36:37]
	s_and_b64 s[36:37], s[40:41], exec
	s_and_b64 s[4:5], s[38:39], exec
.LBB55_128:
	s_or_b64 exec, exec, s[34:35]
	s_and_b64 s[36:37], s[36:37], exec
	s_and_b64 s[34:35], s[4:5], exec
.LBB55_129:
	s_or_b64 exec, exec, s[30:31]
	s_and_b64 s[30:31], s[36:37], exec
	s_and_b64 s[4:5], s[34:35], exec
.LBB55_130:
	s_or_b64 exec, exec, s[28:29]
	s_and_b64 s[30:31], s[30:31], exec
	s_and_b64 s[28:29], s[4:5], exec
.LBB55_131:
	s_or_b64 exec, exec, s[26:27]
	s_and_b64 s[26:27], s[30:31], exec
	s_and_b64 s[4:5], s[28:29], exec
.LBB55_132:
	s_or_b64 exec, exec, s[24:25]
	s_and_b64 s[26:27], s[26:27], exec
	s_and_b64 s[24:25], s[4:5], exec
.LBB55_133:
	s_or_b64 exec, exec, s[22:23]
	s_and_b64 s[22:23], s[26:27], exec
	s_and_b64 s[4:5], s[24:25], exec
.LBB55_134:
	s_or_b64 exec, exec, s[20:21]
	s_and_b64 s[22:23], s[22:23], exec
	s_and_b64 s[20:21], s[4:5], exec
.LBB55_135:
	s_or_b64 exec, exec, s[18:19]
	s_and_b64 s[18:19], s[22:23], exec
	s_and_b64 s[4:5], s[20:21], exec
.LBB55_136:
	s_or_b64 exec, exec, s[16:17]
	s_and_b64 s[18:19], s[18:19], exec
	s_and_b64 s[16:17], s[4:5], exec
.LBB55_137:
	s_or_b64 exec, exec, s[14:15]
	s_and_b64 s[14:15], s[18:19], exec
	s_and_b64 s[4:5], s[16:17], exec
.LBB55_138:
	s_or_b64 exec, exec, s[12:13]
	s_and_b64 s[14:15], s[14:15], exec
	s_and_b64 s[12:13], s[4:5], exec
.LBB55_139:
	s_or_b64 exec, exec, s[10:11]
	s_and_b64 s[10:11], s[14:15], exec
	s_and_b64 s[12:13], s[12:13], exec
.LBB55_140:
	s_or_b64 exec, exec, s[8:9]
	s_mov_b64 s[8:9], 0
	s_and_b64 vcc, exec, s[6:7]
	v_lshlrev_b32_e32 v1, 2, v0
	v_cmp_ne_u32_e64 s[4:5], 0, v0
	s_cbranch_vccz .LBB55_144
.LBB55_141:
	v_mov_b32_e32 v2, s67
	v_sub_co_u32_e32 v18, vcc, s3, v1
	s_add_u32 s8, s3, -4
	s_nop 0
	v_subbrev_co_u32_e32 v19, vcc, 0, v2, vcc
	v_add_co_u32_e32 v2, vcc, -4, v18
	s_addc_u32 s9, s67, -1
	s_nop 0
	v_addc_co_u32_e32 v3, vcc, -1, v19, vcc
	v_add_co_u32_e32 v4, vcc, 0xfffffbfc, v18
	s_lshl_b64 s[6:7], s[74:75], 2
	s_nop 0
	v_addc_co_u32_e32 v5, vcc, -1, v19, vcc
	v_add_co_u32_e32 v6, vcc, 0xfffff7fc, v18
	s_add_u32 s6, s62, s6
	s_nop 0
	v_addc_co_u32_e32 v7, vcc, -1, v19, vcc
	v_add_co_u32_e32 v8, vcc, 0xfffff3fc, v18
	s_addc_u32 s7, s63, s7
	s_nop 0
	v_addc_co_u32_e32 v9, vcc, -1, v19, vcc
	s_waitcnt lgkmcnt(0)
	v_add_co_u32_e32 v10, vcc, 0xffffeffc, v18
	s_add_u32 s10, s6, -4
	s_nop 0
	v_addc_co_u32_e32 v11, vcc, -1, v19, vcc
	v_add_co_u32_e32 v12, vcc, 0xffffebfc, v18
	s_addc_u32 s11, s7, -1
	s_nop 0
	v_addc_co_u32_e32 v13, vcc, -1, v19, vcc
	v_add_co_u32_e32 v14, vcc, 0xffffe7fc, v18
	s_and_b64 s[6:7], s[72:73], exec
	s_nop 0
	v_addc_co_u32_e32 v15, vcc, -1, v19, vcc
	v_add_co_u32_e32 v16, vcc, 0xffffe3fc, v18
	s_cselect_b32 s3, s3, s10
	s_nop 0
	v_addc_co_u32_e32 v17, vcc, -1, v19, vcc
	flat_load_dword v20, v[2:3]
	flat_load_dword v21, v[4:5]
	;; [unrolled: 1-line block ×8, first 2 shown]
	v_add_co_u32_e32 v2, vcc, 0xffffdffc, v18
	s_cselect_b32 s6, s67, s11
	s_nop 0
	v_addc_co_u32_e32 v3, vcc, -1, v19, vcc
	v_add_co_u32_e32 v4, vcc, 0xffffdbfc, v18
	s_cmp_eq_u64 s[74:75], 0
	s_nop 0
	v_addc_co_u32_e32 v5, vcc, -1, v19, vcc
	v_add_co_u32_e32 v6, vcc, 0xffffd7fc, v18
	s_cselect_b32 s6, s9, s6
	s_nop 0
	v_addc_co_u32_e32 v7, vcc, -1, v19, vcc
	v_add_co_u32_e32 v8, vcc, 0xffffd3fc, v18
	s_cselect_b32 s3, s8, s3
	s_nop 0
	v_addc_co_u32_e32 v9, vcc, -1, v19, vcc
	v_add_co_u32_e32 v10, vcc, 0xffffcffc, v18
	s_movk_i32 s12, 0xf3fc
	s_nop 0
	v_addc_co_u32_e32 v11, vcc, -1, v19, vcc
	v_add_co_u32_e32 v12, vcc, 0xffffcbfc, v18
	s_movk_i32 s11, 0xe3fc
	;; [unrolled: 4-line block ×4, first 2 shown]
	s_nop 0
	v_addc_co_u32_e32 v17, vcc, -1, v19, vcc
	flat_load_dword v28, v[2:3]
	flat_load_dword v29, v[4:5]
	;; [unrolled: 1-line block ×8, first 2 shown]
	v_add_co_u32_e32 v2, vcc, 0xffffbffc, v18
	s_movk_i32 s8, 0xb3fc
	s_nop 0
	v_addc_co_u32_e32 v3, vcc, -1, v19, vcc
	v_add_co_u32_e32 v4, vcc, 0xffffbbfc, v18
	s_nop 1
	v_addc_co_u32_e32 v5, vcc, -1, v19, vcc
	v_add_co_u32_e32 v6, vcc, 0xffffb7fc, v18
	s_nop 1
	v_addc_co_u32_e32 v7, vcc, -1, v19, vcc
	v_add_co_u32_e32 v8, vcc, 0xffffb3fc, v18
	s_nop 1
	v_addc_co_u32_e32 v9, vcc, -1, v19, vcc
	v_add_co_u32_e32 v10, vcc, 0xffffaffc, v18
	s_nop 1
	v_addc_co_u32_e32 v11, vcc, -1, v19, vcc
	v_add_co_u32_e32 v12, vcc, 0xffffabfc, v18
	s_nop 1
	v_addc_co_u32_e32 v13, vcc, -1, v19, vcc
	v_add_co_u32_e32 v14, vcc, 0xffffa7fc, v18
	s_nop 1
	v_addc_co_u32_e32 v15, vcc, -1, v19, vcc
	flat_load_dword v16, v[2:3]
	flat_load_dword v17, v[4:5]
	;; [unrolled: 1-line block ×7, first 2 shown]
	v_mov_b32_e32 v2, s3
	v_mov_b32_e32 v3, s6
	v_sub_co_u32_e32 v10, vcc, 0, v0
	s_waitcnt vmcnt(0) lgkmcnt(0)
	ds_write2st64_b32 v1, v20, v21 offset1:4
	ds_write2st64_b32 v1, v22, v23 offset0:8 offset1:12
	ds_write2st64_b32 v1, v24, v25 offset0:16 offset1:20
	;; [unrolled: 1-line block ×10, first 2 shown]
	ds_write_b32 v1, v38 offset:22528
	s_waitcnt lgkmcnt(0)
	s_barrier
	flat_load_dword v13, v[2:3]
	v_subb_co_u32_e64 v11, s[6:7], 0, 0, vcc
	s_movk_i32 s6, 0x58
	s_nop 0
	v_mad_u32_u24 v12, v0, s6, v1
	s_movk_i32 s6, 0xffa8
	s_movk_i32 s3, 0xa7fc
	ds_read2_b32 v[2:3], v12 offset1:1
	ds_read2_b32 v[18:19], v12 offset0:2 offset1:3
	ds_read2_b32 v[22:23], v12 offset0:4 offset1:5
	;; [unrolled: 1-line block ×6, first 2 shown]
	ds_read_b32 v14, v12 offset:88
	ds_read2_b32 v[30:31], v12 offset0:8 offset1:9
	ds_read2_b32 v[34:35], v12 offset0:10 offset1:11
	;; [unrolled: 1-line block ×4, first 2 shown]
	v_mad_i32_i24 v15, v0, s6, v12
	s_waitcnt lgkmcnt(0)
	ds_write_b32 v15, v14 offset:23552
	s_waitcnt lgkmcnt(0)
	s_barrier
	s_and_saveexec_b64 s[6:7], s[4:5]
	s_cbranch_execz .LBB55_143
; %bb.142:
	s_waitcnt vmcnt(0)
	v_mul_i32_i24_e32 v13, 0xffffffa8, v0
	v_add_u32_e32 v13, v12, v13
	ds_read_b32 v13, v13 offset:23548
.LBB55_143:
	s_or_b64 exec, exec, s[6:7]
	v_lshl_add_u64 v[10:11], v[10:11], 2, s[52:53]
	v_add_co_u32_e32 v16, vcc, s12, v10
	s_waitcnt lgkmcnt(0)
	s_nop 0
	v_addc_co_u32_e32 v17, vcc, -1, v11, vcc
	v_add_co_u32_e32 v20, vcc, s11, v10
	s_barrier
	s_nop 0
	v_addc_co_u32_e32 v21, vcc, -1, v11, vcc
	flat_load_dword v24, v[20:21] offset:3072
	flat_load_dword v25, v[20:21] offset:2048
	;; [unrolled: 1-line block ×3, first 2 shown]
	flat_load_dword v29, v[20:21]
	flat_load_dword v32, v[16:17] offset:3072
	flat_load_dword v33, v[16:17] offset:2048
	;; [unrolled: 1-line block ×3, first 2 shown]
	flat_load_dword v37, v[16:17]
	v_add_co_u32_e32 v16, vcc, s10, v10
	v_cmp_ne_u32_e64 s[10:11], v5, v14
	s_nop 0
	v_addc_co_u32_e32 v17, vcc, -1, v11, vcc
	v_add_co_u32_e32 v20, vcc, s9, v10
	s_mov_b64 s[12:13], -1
	s_nop 0
	v_addc_co_u32_e32 v21, vcc, -1, v11, vcc
	flat_load_dword v40, v[20:21] offset:3072
	flat_load_dword v41, v[20:21] offset:2048
	;; [unrolled: 1-line block ×3, first 2 shown]
	flat_load_dword v45, v[20:21]
	flat_load_dword v46, v[16:17] offset:3072
	flat_load_dword v47, v[16:17] offset:2048
	;; [unrolled: 1-line block ×3, first 2 shown]
	flat_load_dword v49, v[16:17]
	v_add_co_u32_e32 v16, vcc, s8, v10
                                        ; implicit-def: $sgpr8_sgpr9
	s_nop 1
	v_addc_co_u32_e32 v17, vcc, -1, v11, vcc
	v_add_co_u32_e32 v10, vcc, s3, v10
	s_nop 1
	v_addc_co_u32_e32 v11, vcc, -1, v11, vcc
	flat_load_dword v20, v[10:11]
	flat_load_dword v21, v[16:17] offset:3072
	flat_load_dword v50, v[16:17] offset:2048
	;; [unrolled: 1-line block ×3, first 2 shown]
	flat_load_dword v52, v[16:17]
	flat_load_dword v53, v[10:11] offset:2048
	flat_load_dword v54, v[10:11] offset:1024
	s_waitcnt vmcnt(0)
	v_cmp_ne_u32_e32 vcc, v13, v2
	s_waitcnt lgkmcnt(0)
	ds_write2st64_b32 v1, v32, v33 offset1:4
	ds_write2st64_b32 v1, v36, v37 offset0:8 offset1:12
	ds_write2st64_b32 v1, v24, v25 offset0:16 offset1:20
	;; [unrolled: 1-line block ×10, first 2 shown]
	ds_write_b32 v1, v20 offset:22528
	v_cndmask_b32_e64 v11, 0, 1, vcc
	v_cmp_ne_u32_e32 vcc, v2, v3
	s_waitcnt lgkmcnt(0)
	s_barrier
	v_cndmask_b32_e64 v13, 0, 1, vcc
	v_cmp_ne_u32_e32 vcc, v3, v18
	ds_read2_b32 v[16:17], v12 offset1:1
	ds_read2_b32 v[20:21], v12 offset0:2 offset1:3
	ds_read2_b32 v[24:25], v12 offset0:4 offset1:5
	;; [unrolled: 1-line block ×10, first 2 shown]
	ds_read_b32 v3, v12 offset:88
	v_cndmask_b32_e64 v15, 0, 1, vcc
	v_cmp_ne_u32_e32 vcc, v18, v19
	s_waitcnt lgkmcnt(11)
	v_mov_b32_e32 v12, v17
	v_mov_b32_e32 v10, v16
	v_cndmask_b32_e64 v17, 0, 1, vcc
	v_cmp_ne_u32_e32 vcc, v19, v22
	s_waitcnt lgkmcnt(10)
	v_mov_b32_e32 v16, v21
	v_mov_b32_e32 v14, v20
	;; [unrolled: 5-line block ×5, first 2 shown]
	v_cndmask_b32_e64 v25, 0, 1, vcc
	v_cmp_ne_u32_e32 vcc, v27, v30
	s_waitcnt lgkmcnt(6)
	v_mov_b32_e32 v32, v37
	s_waitcnt lgkmcnt(2)
	v_mov_b32_e32 v48, v51
	v_cndmask_b32_e64 v27, 0, 1, vcc
	v_cmp_ne_u32_e32 vcc, v30, v31
	v_mov_b32_e32 v30, v36
	v_mov_b32_e32 v36, v41
	v_cndmask_b32_e64 v29, 0, 1, vcc
	v_cmp_ne_u32_e32 vcc, v31, v34
	s_waitcnt lgkmcnt(1)
	v_mov_b32_e32 v52, v55
	v_cndmask_b32_e64 v31, 0, 1, vcc
	v_cmp_ne_u32_e32 vcc, v34, v35
	v_mov_b32_e32 v34, v40
	v_mov_b32_e32 v40, v45
	v_cndmask_b32_e64 v33, 0, 1, vcc
	v_cmp_ne_u32_e32 vcc, v35, v38
	s_nop 1
	v_cndmask_b32_e64 v35, 0, 1, vcc
	v_cmp_ne_u32_e32 vcc, v38, v39
	v_mov_b32_e32 v38, v44
	v_mov_b32_e32 v44, v47
	v_cndmask_b32_e64 v37, 0, 1, vcc
	v_cmp_ne_u32_e32 vcc, v39, v42
	s_nop 1
	v_cndmask_b32_e64 v39, 0, 1, vcc
	v_cmp_ne_u32_e32 vcc, v42, v43
	v_mov_b32_e32 v42, v46
	v_mov_b32_e32 v46, v50
	v_cndmask_b32_e64 v41, 0, 1, vcc
	v_cmp_ne_u32_e32 vcc, v43, v8
	v_mov_b32_e32 v50, v54
	s_nop 0
	v_cndmask_b32_e64 v43, 0, 1, vcc
	v_cmp_ne_u32_e32 vcc, v8, v9
	s_nop 1
	v_cndmask_b32_e64 v45, 0, 1, vcc
	v_cmp_ne_u32_e32 vcc, v9, v6
	;; [unrolled: 3-line block ×5, first 2 shown]
	s_nop 1
	v_cndmask_b32_e64 v53, 0, 1, vcc
.LBB55_144:
	v_mov_b64_e32 v[54:55], s[8:9]
	s_and_saveexec_b64 s[4:5], s[12:13]
	s_cbranch_execz .LBB55_146
; %bb.145:
	v_cndmask_b32_e64 v55, 0, 1, s[10:11]
	s_waitcnt lgkmcnt(0)
	v_mov_b32_e32 v54, v3
.LBB55_146:
	s_or_b64 exec, exec, s[4:5]
	s_mov_b32 s46, 0
	s_cmp_lg_u32 s2, 0
	v_or_b32_e32 v61, v55, v53
	v_lshrrev_b32_e32 v60, 5, v0
	v_cmp_gt_u32_e32 vcc, 64, v0
	s_waitcnt lgkmcnt(0)
	s_barrier
	s_cbranch_scc0 .LBB55_205
; %bb.147:
	s_mov_b32 s47, 1
	v_max_i32_e32 v2, v12, v10
	v_cmp_gt_u64_e64 s[52:53], s[46:47], v[12:13]
	v_cmp_gt_u64_e64 s[4:5], s[46:47], v[14:15]
	v_cmp_gt_u64_e64 s[6:7], s[46:47], v[16:17]
	v_cndmask_b32_e64 v2, v12, v2, s[52:53]
	v_max_i32_e32 v2, v14, v2
	v_cndmask_b32_e64 v2, v14, v2, s[4:5]
	v_max_i32_e32 v2, v16, v2
	v_cndmask_b32_e64 v2, v16, v2, s[6:7]
	v_max_i32_e32 v2, v18, v2
	v_cmp_gt_u64_e64 s[8:9], s[46:47], v[18:19]
	v_cmp_gt_u64_e64 s[10:11], s[46:47], v[20:21]
	v_cmp_gt_u64_e64 s[12:13], s[46:47], v[22:23]
	v_cndmask_b32_e64 v2, v18, v2, s[8:9]
	v_max_i32_e32 v2, v20, v2
	v_cndmask_b32_e64 v2, v20, v2, s[10:11]
	v_max_i32_e32 v2, v22, v2
	v_cndmask_b32_e64 v2, v22, v2, s[12:13]
	;; [unrolled: 9-line block ×7, first 2 shown]
	v_max_i32_e32 v2, v54, v2
	v_cmp_gt_u64_e64 s[46:47], s[46:47], v[54:55]
	s_nop 1
	v_cndmask_b32_e64 v62, v54, v2, s[46:47]
	v_or3_b32 v2, v61, v51, v49
	v_or3_b32 v2, v2, v47, v45
	;; [unrolled: 1-line block ×10, first 2 shown]
	v_and_b32_e32 v2, 1, v2
	v_cmp_eq_u32_e64 s[48:49], 1, v2
	v_add_lshl_u32 v2, v60, v0, 3
	s_nop 0
	v_cndmask_b32_e64 v63, v11, 1, s[48:49]
	ds_write_b32 v2, v62
	ds_write_b8 v2, v63 offset:4
	s_waitcnt lgkmcnt(0)
	s_barrier
	s_and_saveexec_b64 s[50:51], vcc
	s_cbranch_execz .LBB55_161
; %bb.148:
	v_lshrrev_b32_e32 v2, 3, v0
	v_add_lshl_u32 v4, v2, v1, 3
	ds_read2_b32 v[6:7], v4 offset0:2 offset1:4
	ds_read_b64 v[2:3], v4
	ds_read_u8 v8, v4 offset:12
	ds_read_u8 v9, v4 offset:20
	ds_read_b32 v56, v4 offset:24
	ds_read_u8 v57, v4 offset:28
	v_mov_b32_e32 v58, 0
	s_waitcnt lgkmcnt(4)
	v_max_i32_e32 v59, v6, v2
	s_waitcnt lgkmcnt(3)
	v_cmp_eq_u16_sdwa s[48:49], v8, v58 src0_sel:BYTE_0 src1_sel:DWORD
	v_and_b32_e32 v5, 1, v3
	s_nop 0
	v_cndmask_b32_e64 v6, v6, v59, s[48:49]
	v_max_i32_e32 v6, v7, v6
	s_waitcnt lgkmcnt(2)
	v_cmp_eq_u16_sdwa s[48:49], v9, v58 src0_sel:BYTE_0 src1_sel:DWORD
	s_nop 1
	v_cndmask_b32_e64 v6, v7, v6, s[48:49]
	s_waitcnt lgkmcnt(0)
	v_or_b32_e32 v7, v57, v9
	v_or_b32_e32 v7, v7, v8
	v_max_i32_e32 v6, v56, v6
	v_cmp_eq_u16_e64 s[48:49], 0, v57
	v_and_b32_e32 v7, 1, v7
	v_mbcnt_lo_u32_b32 v8, -1, 0
	v_cndmask_b32_e64 v6, v56, v6, s[48:49]
	v_cmp_eq_u32_e64 s[48:49], 1, v7
	v_and_b32_e32 v7, 0xffffff00, v3
	v_mbcnt_hi_u32_b32 v8, -1, v8
	v_cndmask_b32_e64 v9, v5, 1, s[48:49]
	v_and_b32_e32 v57, 15, v8
	v_or_b32_sdwa v56, v7, v9 dst_sel:DWORD dst_unused:UNUSED_PAD src0_sel:DWORD src1_sel:WORD_0
	v_mov_b32_dpp v59, v6 row_shr:1 row_mask:0xf bank_mask:0xf
	v_cmp_ne_u32_e64 s[48:49], 0, v57
	v_mov_b32_dpp v58, v56 row_shr:1 row_mask:0xf bank_mask:0xf
	s_and_saveexec_b64 s[56:57], s[48:49]
; %bb.149:
	v_max_i32_e32 v56, v6, v59
	v_cmp_eq_u16_e64 s[48:49], 0, v9
	v_and_b32_e32 v9, 1, v9
	s_nop 0
	v_cndmask_b32_e64 v6, v6, v56, s[48:49]
	v_and_b32_e32 v56, 1, v58
	v_cmp_eq_u32_e64 s[48:49], 1, v9
	s_nop 1
	v_cndmask_b32_e64 v9, v56, 1, s[48:49]
	v_or_b32_sdwa v56, v7, v9 dst_sel:DWORD dst_unused:UNUSED_PAD src0_sel:DWORD src1_sel:WORD_0
; %bb.150:
	s_or_b64 exec, exec, s[56:57]
	v_mov_b32_dpp v59, v6 row_shr:2 row_mask:0xf bank_mask:0xf
	v_mov_b32_dpp v58, v56 row_shr:2 row_mask:0xf bank_mask:0xf
	v_cmp_lt_u32_e64 s[48:49], 1, v57
	s_and_saveexec_b64 s[56:57], s[48:49]
; %bb.151:
	v_max_i32_e32 v56, v6, v59
	v_cmp_eq_u16_e64 s[48:49], 0, v9
	v_and_b32_e32 v9, 1, v9
	s_nop 0
	v_cndmask_b32_e64 v6, v6, v56, s[48:49]
	v_and_b32_e32 v56, 1, v58
	v_cmp_eq_u32_e64 s[48:49], 1, v9
	s_nop 1
	v_cndmask_b32_e64 v9, v56, 1, s[48:49]
	v_or_b32_sdwa v56, v7, v9 dst_sel:DWORD dst_unused:UNUSED_PAD src0_sel:DWORD src1_sel:WORD_0
; %bb.152:
	s_or_b64 exec, exec, s[56:57]
	v_mov_b32_dpp v59, v6 row_shr:4 row_mask:0xf bank_mask:0xf
	v_mov_b32_dpp v58, v56 row_shr:4 row_mask:0xf bank_mask:0xf
	v_cmp_lt_u32_e64 s[48:49], 3, v57
	;; [unrolled: 17-line block ×3, first 2 shown]
	s_and_saveexec_b64 s[56:57], s[48:49]
; %bb.155:
	v_max_i32_e32 v56, v6, v59
	v_cmp_eq_u16_e64 s[48:49], 0, v9
	v_and_b32_e32 v9, 1, v9
	s_nop 0
	v_cndmask_b32_e64 v6, v6, v56, s[48:49]
	v_and_b32_e32 v56, 1, v58
	v_cmp_eq_u32_e64 s[48:49], 1, v9
	s_nop 1
	v_cndmask_b32_e64 v9, v56, 1, s[48:49]
	v_or_b32_sdwa v56, v7, v9 dst_sel:DWORD dst_unused:UNUSED_PAD src0_sel:DWORD src1_sel:WORD_0
; %bb.156:
	s_or_b64 exec, exec, s[56:57]
	v_and_b32_e32 v59, 16, v8
	v_mov_b32_dpp v58, v6 row_bcast:15 row_mask:0xf bank_mask:0xf
	v_mov_b32_dpp v57, v56 row_bcast:15 row_mask:0xf bank_mask:0xf
	v_cmp_ne_u32_e64 s[48:49], 0, v59
	s_and_saveexec_b64 s[56:57], s[48:49]
; %bb.157:
	v_max_i32_e32 v56, v6, v58
	v_cmp_eq_u16_e64 s[48:49], 0, v9
	v_and_b32_e32 v9, 1, v9
	s_nop 0
	v_cndmask_b32_e64 v6, v6, v56, s[48:49]
	v_and_b32_e32 v56, 1, v57
	v_cmp_eq_u32_e64 s[48:49], 1, v9
	s_nop 1
	v_cndmask_b32_e64 v9, v56, 1, s[48:49]
	v_or_b32_sdwa v56, v7, v9 dst_sel:DWORD dst_unused:UNUSED_PAD src0_sel:DWORD src1_sel:WORD_0
; %bb.158:
	s_or_b64 exec, exec, s[56:57]
	v_mov_b32_dpp v57, v6 row_bcast:31 row_mask:0xf bank_mask:0xf
	v_mov_b32_dpp v56, v56 row_bcast:31 row_mask:0xf bank_mask:0xf
	v_cmp_lt_u32_e64 s[48:49], 31, v8
	s_and_saveexec_b64 s[56:57], s[48:49]
; %bb.159:
	v_max_i32_e32 v57, v6, v57
	v_cmp_eq_u16_e64 s[48:49], 0, v9
	v_and_b32_e32 v9, 1, v9
	v_and_b32_e32 v56, 1, v56
	v_cndmask_b32_e64 v6, v6, v57, s[48:49]
	v_cmp_eq_u32_e64 s[48:49], 1, v9
	s_nop 1
	v_cndmask_b32_e64 v9, v56, 1, s[48:49]
; %bb.160:
	s_or_b64 exec, exec, s[56:57]
	v_add_u32_e32 v56, -1, v8
	v_and_b32_e32 v57, 64, v8
	v_cmp_lt_i32_e64 s[48:49], v56, v57
	v_or_b32_sdwa v7, v7, v9 dst_sel:DWORD dst_unused:UNUSED_PAD src0_sel:DWORD src1_sel:WORD_0
	s_nop 0
	v_cndmask_b32_e64 v8, v56, v8, s[48:49]
	v_lshlrev_b32_e32 v8, 2, v8
	ds_bpermute_b32 v6, v8, v6
	ds_bpermute_b32 v7, v8, v7
	v_mov_b32_e32 v8, 0
	v_cmp_eq_u16_sdwa s[48:49], v3, v8 src0_sel:BYTE_0 src1_sel:DWORD
	; wave barrier
	s_waitcnt lgkmcnt(1)
	v_max_i32_e32 v6, v2, v6
	v_cndmask_b32_e64 v2, v2, v6, s[48:49]
	s_waitcnt lgkmcnt(0)
	v_and_b32_e32 v3, 1, v7
	v_cmp_eq_u32_e64 s[48:49], 1, v5
	s_nop 1
	v_cndmask_b32_e64 v3, v3, 1, s[48:49]
	v_cmp_eq_u32_e64 s[48:49], 0, v0
	s_nop 1
	v_cndmask_b32_e64 v5, v2, v62, s[48:49]
	v_cndmask_b32_e64 v6, v3, v63, s[48:49]
	ds_write_b32 v4, v5
	ds_write_b8 v4, v6 offset:4
	; wave barrier
	ds_read2_b32 v[2:3], v4 offset0:2 offset1:4
	ds_read_u8 v7, v4 offset:12
	ds_read_u8 v8, v4 offset:20
	ds_read_b32 v9, v4 offset:24
	ds_read_u8 v56, v4 offset:28
	s_waitcnt lgkmcnt(4)
	v_max_i32_e32 v5, v2, v5
	s_waitcnt lgkmcnt(3)
	v_cmp_eq_u16_e64 s[48:49], 0, v7
	s_nop 1
	v_cndmask_b32_e64 v2, v2, v5, s[48:49]
	v_and_b32_e32 v5, 1, v7
	v_cmp_eq_u32_e64 s[48:49], 1, v5
	s_nop 1
	v_cndmask_b32_e64 v5, v6, 1, s[48:49]
	v_max_i32_e32 v6, v3, v2
	s_waitcnt lgkmcnt(2)
	v_cmp_eq_u16_e64 s[48:49], 0, v8
	ds_write_b8 v4, v5 offset:12
	s_nop 0
	v_cndmask_b32_e64 v3, v3, v6, s[48:49]
	v_and_b32_e32 v6, 1, v8
	v_cmp_eq_u32_e64 s[48:49], 1, v6
	s_nop 1
	v_cndmask_b32_e64 v5, v5, 1, s[48:49]
	ds_write2_b32 v4, v2, v3 offset0:2 offset1:4
	ds_write_b8 v4, v5 offset:20
	s_waitcnt lgkmcnt(4)
	v_max_i32_e32 v2, v9, v3
	s_waitcnt lgkmcnt(3)
	v_cmp_eq_u16_e64 s[48:49], 0, v56
	v_and_b32_e32 v3, 1, v56
	s_nop 0
	v_cndmask_b32_e64 v2, v9, v2, s[48:49]
	v_cmp_eq_u32_e64 s[48:49], 1, v3
	s_nop 1
	v_cndmask_b32_e64 v3, v5, 1, s[48:49]
	ds_write_b32 v4, v2 offset:24
	ds_write_b8 v4, v3 offset:28
.LBB55_161:
	s_or_b64 exec, exec, s[50:51]
	v_cmp_eq_u32_e64 s[48:49], 0, v0
	v_cmp_ne_u32_e64 s[50:51], 0, v0
	s_waitcnt lgkmcnt(0)
	s_barrier
	s_and_saveexec_b64 s[56:57], s[50:51]
	s_cbranch_execz .LBB55_163
; %bb.162:
	v_add_u32_e32 v2, -1, v0
	v_lshrrev_b32_e32 v3, 5, v2
	v_add_lshl_u32 v2, v3, v2, 3
	ds_read_b32 v62, v2
	ds_read_u8 v63, v2 offset:4
.LBB55_163:
	s_or_b64 exec, exec, s[56:57]
	s_and_saveexec_b64 s[56:57], vcc
	s_cbranch_execz .LBB55_204
; %bb.164:
	v_mov_b32_e32 v5, 0
	ds_read_b64 v[2:3], v5 offset:2096
	v_mbcnt_lo_u32_b32 v4, -1, 0
	v_mbcnt_hi_u32_b32 v57, -1, v4
	s_mov_b32 s73, 0
	v_cmp_eq_u32_e64 s[50:51], 0, v57
	s_waitcnt lgkmcnt(0)
	v_readfirstlane_b32 s3, v3
	s_and_saveexec_b64 s[62:63], s[50:51]
	s_cbranch_execz .LBB55_166
; %bb.165:
	s_add_i32 s72, s2, 64
	s_lshl_b64 s[74:75], s[72:73], 4
	s_add_u32 s74, s64, s74
	s_addc_u32 s75, s65, s75
	s_and_b32 s77, s3, 0xff000000
	s_mov_b32 s76, s73
	s_and_b32 s79, s3, 0xff0000
	s_mov_b32 s78, s73
	s_or_b64 s[76:77], s[78:79], s[76:77]
	s_and_b32 s79, s3, 0xff00
	s_or_b64 s[76:77], s[76:77], s[78:79]
	s_and_b32 s79, s3, 0xff
	s_or_b64 s[72:73], s[76:77], s[78:79]
	v_mov_b32_e32 v3, s73
	v_mov_b32_e32 v4, 1
	v_mov_b64_e32 v[6:7], s[74:75]
	;;#ASMSTART
	global_store_dwordx4 v[6:7], v[2:5] off sc1	
s_waitcnt vmcnt(0)
	;;#ASMEND
.LBB55_166:
	s_or_b64 exec, exec, s[62:63]
	v_xad_u32 v56, v57, -1, s2
	v_add_u32_e32 v4, 64, v56
	v_lshl_add_u64 v[58:59], v[4:5], 4, s[64:65]
	;;#ASMSTART
	global_load_dwordx4 v[6:9], v[58:59] off sc1	
s_waitcnt vmcnt(0)
	;;#ASMEND
	s_nop 0
	v_and_b32_e32 v3, 0xff0000, v6
	v_and_b32_e32 v4, 0xff000000, v6
	;; [unrolled: 1-line block ×3, first 2 shown]
	v_or_b32_sdwa v3, v6, v3 dst_sel:DWORD dst_unused:UNUSED_PAD src0_sel:WORD_0 src1_sel:DWORD
	v_or3_b32 v7, 0, 0, v7
	v_or3_b32 v6, v3, v4, 0
	v_cmp_eq_u16_sdwa s[72:73], v8, v5 src0_sel:BYTE_0 src1_sel:DWORD
	s_and_saveexec_b64 s[62:63], s[72:73]
	s_cbranch_execz .LBB55_170
; %bb.167:
	s_mov_b64 s[72:73], 0
	v_mov_b32_e32 v3, 0
.LBB55_168:                             ; =>This Inner Loop Header: Depth=1
	;;#ASMSTART
	global_load_dwordx4 v[6:9], v[58:59] off sc1	
s_waitcnt vmcnt(0)
	;;#ASMEND
	s_nop 0
	v_cmp_ne_u16_sdwa s[74:75], v8, v3 src0_sel:BYTE_0 src1_sel:DWORD
	s_or_b64 s[72:73], s[74:75], s[72:73]
	s_andn2_b64 exec, exec, s[72:73]
	s_cbranch_execnz .LBB55_168
; %bb.169:
	s_or_b64 exec, exec, s[72:73]
	v_and_b32_e32 v7, 0xff, v7
.LBB55_170:
	s_or_b64 exec, exec, s[62:63]
	v_mov_b32_e32 v3, 2
	v_cmp_eq_u16_sdwa s[62:63], v8, v3 src0_sel:BYTE_0 src1_sel:DWORD
	v_lshlrev_b64 v[4:5], v57, -1
	s_mov_b32 s72, 0
	v_and_b32_e32 v3, s63, v5
	v_or_b32_e32 v3, 0x80000000, v3
	v_ffbl_b32_e32 v3, v3
	v_add_u32_e32 v58, 32, v3
	v_and_b32_e32 v3, 63, v57
	v_cmp_ne_u32_e32 vcc, 63, v3
	v_and_b32_e32 v9, s62, v4
	v_ffbl_b32_e32 v9, v9
	v_addc_co_u32_e32 v59, vcc, 0, v57, vcc
	v_lshlrev_b32_e32 v64, 2, v59
	ds_bpermute_b32 v65, v64, v6
	ds_bpermute_b32 v59, v64, v7
	v_min_u32_e32 v9, v9, v58
	v_cmp_lt_u32_e32 vcc, v3, v9
	v_mov_b32_e32 v58, v7
	s_and_saveexec_b64 s[62:63], vcc
	s_cbranch_execz .LBB55_172
; %bb.171:
	s_mov_b32 s73, 1
	s_waitcnt lgkmcnt(1)
	v_max_i32_e32 v58, v6, v65
	v_cmp_gt_u64_e32 vcc, s[72:73], v[6:7]
	v_and_b32_e32 v7, 1, v7
	s_nop 0
	v_cndmask_b32_e32 v6, v6, v58, vcc
	s_waitcnt lgkmcnt(0)
	v_and_b32_e32 v58, 1, v59
	v_cmp_eq_u32_e32 vcc, 1, v7
	s_nop 1
	v_cndmask_b32_e64 v7, v58, 1, vcc
	v_and_b32_e32 v58, 0xffff, v7
.LBB55_172:
	s_or_b64 exec, exec, s[62:63]
	v_cmp_gt_u32_e32 vcc, 62, v3
	v_add_u32_e32 v66, 2, v3
	s_waitcnt lgkmcnt(0)
	v_cndmask_b32_e64 v59, 0, 1, vcc
	v_lshlrev_b32_e32 v59, 1, v59
	v_add_lshl_u32 v65, v59, v57, 2
	ds_bpermute_b32 v67, v65, v6
	ds_bpermute_b32 v59, v65, v58
	v_cmp_le_u32_e32 vcc, v66, v9
	s_and_saveexec_b64 s[62:63], vcc
	s_cbranch_execz .LBB55_174
; %bb.173:
	s_waitcnt lgkmcnt(1)
	v_max_i32_e32 v58, v6, v67
	v_cmp_eq_u16_e32 vcc, 0, v7
	v_and_b32_e32 v7, 1, v7
	s_nop 0
	v_cndmask_b32_e32 v6, v6, v58, vcc
	s_waitcnt lgkmcnt(0)
	v_and_b32_e32 v58, 1, v59
	v_cmp_eq_u32_e32 vcc, 1, v7
	s_nop 1
	v_cndmask_b32_e64 v7, v58, 1, vcc
	v_and_b32_e32 v58, 0xffff, v7
.LBB55_174:
	s_or_b64 exec, exec, s[62:63]
	v_cmp_gt_u32_e32 vcc, 60, v3
	v_add_u32_e32 v68, 4, v3
	s_waitcnt lgkmcnt(0)
	v_cndmask_b32_e64 v59, 0, 1, vcc
	v_lshlrev_b32_e32 v59, 2, v59
	v_add_lshl_u32 v67, v59, v57, 2
	ds_bpermute_b32 v69, v67, v6
	ds_bpermute_b32 v59, v67, v58
	v_cmp_le_u32_e32 vcc, v68, v9
	s_and_saveexec_b64 s[62:63], vcc
	s_cbranch_execz .LBB55_176
; %bb.175:
	s_waitcnt lgkmcnt(1)
	v_max_i32_e32 v58, v6, v69
	v_cmp_eq_u16_e32 vcc, 0, v7
	v_and_b32_e32 v7, 1, v7
	s_nop 0
	v_cndmask_b32_e32 v6, v6, v58, vcc
	s_waitcnt lgkmcnt(0)
	v_and_b32_e32 v58, 1, v59
	v_cmp_eq_u32_e32 vcc, 1, v7
	s_nop 1
	v_cndmask_b32_e64 v7, v58, 1, vcc
	v_and_b32_e32 v58, 0xffff, v7
.LBB55_176:
	;; [unrolled: 26-line block ×4, first 2 shown]
	s_or_b64 exec, exec, s[62:63]
	v_cmp_gt_u32_e32 vcc, 32, v3
	v_add_u32_e32 v75, 32, v3
	s_waitcnt lgkmcnt(0)
	v_cndmask_b32_e64 v59, 0, 1, vcc
	v_lshlrev_b32_e32 v59, 5, v59
	v_add_lshl_u32 v74, v59, v57, 2
	ds_bpermute_b32 v59, v74, v6
	ds_bpermute_b32 v57, v74, v58
	v_cmp_le_u32_e32 vcc, v75, v9
	s_and_saveexec_b64 s[62:63], vcc
	s_cbranch_execz .LBB55_182
; %bb.181:
	s_waitcnt lgkmcnt(1)
	v_max_i32_e32 v9, v6, v59
	v_cmp_eq_u16_e32 vcc, 0, v7
	v_and_b32_e32 v7, 1, v7
	s_nop 0
	v_cndmask_b32_e32 v6, v6, v9, vcc
	s_waitcnt lgkmcnt(0)
	v_and_b32_e32 v9, 1, v57
	v_cmp_eq_u32_e32 vcc, 1, v7
	s_nop 1
	v_cndmask_b32_e64 v7, v9, 1, vcc
.LBB55_182:
	s_or_b64 exec, exec, s[62:63]
	s_mov_b32 s62, 0
	s_mov_b32 s63, 1
	s_waitcnt lgkmcnt(0)
	v_mov_b32_e32 v57, 0
	v_mov_b32_e32 v77, 2
	s_branch .LBB55_184
.LBB55_183:                             ;   in Loop: Header=BB55_184 Depth=1
	s_or_b64 exec, exec, s[72:73]
	s_waitcnt lgkmcnt(0)
	ds_bpermute_b32 v59, v74, v6
	ds_bpermute_b32 v58, v74, v58
	v_and_b32_e32 v78, 1, v7
	v_cmp_eq_u16_e32 vcc, 0, v7
	v_subrev_u32_e32 v56, 64, v56
	s_waitcnt lgkmcnt(1)
	v_max_i32_e32 v59, v6, v59
	v_cndmask_b32_e32 v59, v6, v59, vcc
	v_cmp_eq_u32_e32 vcc, 1, v78
	s_waitcnt lgkmcnt(0)
	s_nop 0
	v_cndmask_b32_e64 v58, v58, 1, vcc
	v_cmp_gt_u32_e32 vcc, v75, v9
	v_and_b32_e32 v9, 1, v73
	s_nop 0
	v_cndmask_b32_e32 v6, v59, v6, vcc
	v_cndmask_b32_e32 v7, v58, v7, vcc
	v_max_i32_e32 v6, v76, v6
	v_cmp_eq_u16_sdwa vcc, v73, v57 src0_sel:BYTE_0 src1_sel:DWORD
	v_and_b32_e32 v7, 1, v7
	s_nop 0
	v_cndmask_b32_e32 v6, v76, v6, vcc
	v_cmp_eq_u32_e32 vcc, 1, v9
	s_nop 1
	v_cndmask_b32_e64 v7, v7, 1, vcc
.LBB55_184:                             ; =>This Loop Header: Depth=1
                                        ;     Child Loop BB55_187 Depth 2
	v_cmp_ne_u16_sdwa s[72:73], v8, v77 src0_sel:BYTE_0 src1_sel:DWORD
	v_mov_b32_e32 v73, v7
	v_mov_b32_e32 v76, v6
	v_cndmask_b32_e64 v7, 0, 1, s[72:73]
	;;#ASMSTART
	;;#ASMEND
	s_nop 0
	v_cmp_ne_u32_e32 vcc, 0, v7
	s_cmp_lg_u64 vcc, exec
	s_cbranch_scc1 .LBB55_199
; %bb.185:                              ;   in Loop: Header=BB55_184 Depth=1
	v_lshl_add_u64 v[58:59], v[56:57], 4, s[64:65]
	;;#ASMSTART
	global_load_dwordx4 v[6:9], v[58:59] off sc1	
s_waitcnt vmcnt(0)
	;;#ASMEND
	s_nop 0
	v_and_b32_e32 v9, 0xff0000, v6
	v_and_b32_e32 v78, 0xff000000, v6
	;; [unrolled: 1-line block ×3, first 2 shown]
	v_or_b32_sdwa v6, v6, v9 dst_sel:DWORD dst_unused:UNUSED_PAD src0_sel:WORD_0 src1_sel:DWORD
	v_or3_b32 v7, 0, 0, v7
	v_or3_b32 v6, v6, v78, 0
	v_cmp_eq_u16_sdwa s[74:75], v8, v57 src0_sel:BYTE_0 src1_sel:DWORD
	s_and_saveexec_b64 s[72:73], s[74:75]
	s_cbranch_execz .LBB55_189
; %bb.186:                              ;   in Loop: Header=BB55_184 Depth=1
	s_mov_b64 s[74:75], 0
.LBB55_187:                             ;   Parent Loop BB55_184 Depth=1
                                        ; =>  This Inner Loop Header: Depth=2
	;;#ASMSTART
	global_load_dwordx4 v[6:9], v[58:59] off sc1	
s_waitcnt vmcnt(0)
	;;#ASMEND
	s_nop 0
	v_cmp_ne_u16_sdwa s[76:77], v8, v57 src0_sel:BYTE_0 src1_sel:DWORD
	s_or_b64 s[74:75], s[76:77], s[74:75]
	s_andn2_b64 exec, exec, s[74:75]
	s_cbranch_execnz .LBB55_187
; %bb.188:                              ;   in Loop: Header=BB55_184 Depth=1
	s_or_b64 exec, exec, s[74:75]
	v_and_b32_e32 v7, 0xff, v7
.LBB55_189:                             ;   in Loop: Header=BB55_184 Depth=1
	s_or_b64 exec, exec, s[72:73]
	v_cmp_eq_u16_sdwa s[72:73], v8, v77 src0_sel:BYTE_0 src1_sel:DWORD
	ds_bpermute_b32 v78, v64, v6
	ds_bpermute_b32 v59, v64, v7
	v_and_b32_e32 v9, s73, v5
	v_or_b32_e32 v9, 0x80000000, v9
	v_and_b32_e32 v58, s72, v4
	v_ffbl_b32_e32 v9, v9
	v_add_u32_e32 v9, 32, v9
	v_ffbl_b32_e32 v58, v58
	v_min_u32_e32 v9, v58, v9
	v_cmp_lt_u32_e32 vcc, v3, v9
	v_mov_b32_e32 v58, v7
	s_and_saveexec_b64 s[72:73], vcc
	s_cbranch_execz .LBB55_191
; %bb.190:                              ;   in Loop: Header=BB55_184 Depth=1
	s_waitcnt lgkmcnt(1)
	v_max_i32_e32 v58, v6, v78
	v_cmp_gt_u64_e32 vcc, s[62:63], v[6:7]
	v_and_b32_e32 v7, 1, v7
	s_nop 0
	v_cndmask_b32_e32 v6, v6, v58, vcc
	s_waitcnt lgkmcnt(0)
	v_and_b32_e32 v58, 1, v59
	v_cmp_eq_u32_e32 vcc, 1, v7
	s_nop 1
	v_cndmask_b32_e64 v7, v58, 1, vcc
	v_and_b32_e32 v58, 0xffff, v7
.LBB55_191:                             ;   in Loop: Header=BB55_184 Depth=1
	s_or_b64 exec, exec, s[72:73]
	s_waitcnt lgkmcnt(1)
	ds_bpermute_b32 v78, v65, v6
	s_waitcnt lgkmcnt(1)
	ds_bpermute_b32 v59, v65, v58
	v_cmp_le_u32_e32 vcc, v66, v9
	s_and_saveexec_b64 s[72:73], vcc
	s_cbranch_execz .LBB55_193
; %bb.192:                              ;   in Loop: Header=BB55_184 Depth=1
	s_waitcnt lgkmcnt(1)
	v_max_i32_e32 v58, v6, v78
	v_cmp_eq_u16_e32 vcc, 0, v7
	v_and_b32_e32 v7, 1, v7
	s_nop 0
	v_cndmask_b32_e32 v6, v6, v58, vcc
	s_waitcnt lgkmcnt(0)
	v_and_b32_e32 v58, 1, v59
	v_cmp_eq_u32_e32 vcc, 1, v7
	s_nop 1
	v_cndmask_b32_e64 v7, v58, 1, vcc
	v_and_b32_e32 v58, 0xffff, v7
.LBB55_193:                             ;   in Loop: Header=BB55_184 Depth=1
	s_or_b64 exec, exec, s[72:73]
	s_waitcnt lgkmcnt(1)
	ds_bpermute_b32 v78, v67, v6
	s_waitcnt lgkmcnt(1)
	ds_bpermute_b32 v59, v67, v58
	v_cmp_le_u32_e32 vcc, v68, v9
	s_and_saveexec_b64 s[72:73], vcc
	s_cbranch_execz .LBB55_195
; %bb.194:                              ;   in Loop: Header=BB55_184 Depth=1
	s_waitcnt lgkmcnt(1)
	v_max_i32_e32 v58, v6, v78
	v_cmp_eq_u16_e32 vcc, 0, v7
	v_and_b32_e32 v7, 1, v7
	s_nop 0
	v_cndmask_b32_e32 v6, v6, v58, vcc
	s_waitcnt lgkmcnt(0)
	v_and_b32_e32 v58, 1, v59
	v_cmp_eq_u32_e32 vcc, 1, v7
	s_nop 1
	v_cndmask_b32_e64 v7, v58, 1, vcc
	v_and_b32_e32 v58, 0xffff, v7
.LBB55_195:                             ;   in Loop: Header=BB55_184 Depth=1
	;; [unrolled: 22-line block ×3, first 2 shown]
	s_or_b64 exec, exec, s[72:73]
	s_waitcnt lgkmcnt(1)
	ds_bpermute_b32 v78, v71, v6
	s_waitcnt lgkmcnt(1)
	ds_bpermute_b32 v59, v71, v58
	v_cmp_le_u32_e32 vcc, v72, v9
	s_and_saveexec_b64 s[72:73], vcc
	s_cbranch_execz .LBB55_183
; %bb.198:                              ;   in Loop: Header=BB55_184 Depth=1
	s_waitcnt lgkmcnt(1)
	v_max_i32_e32 v58, v6, v78
	v_cmp_eq_u16_e32 vcc, 0, v7
	v_and_b32_e32 v7, 1, v7
	s_nop 0
	v_cndmask_b32_e32 v6, v6, v58, vcc
	s_waitcnt lgkmcnt(0)
	v_and_b32_e32 v58, 1, v59
	v_cmp_eq_u32_e32 vcc, 1, v7
	s_nop 1
	v_cndmask_b32_e64 v7, v58, 1, vcc
	v_and_b32_e32 v58, 0xffff, v7
	s_branch .LBB55_183
.LBB55_199:                             ;   in Loop: Header=BB55_184 Depth=1
                                        ; implicit-def: $vgpr7
	s_cbranch_execz .LBB55_184
; %bb.200:
	s_and_saveexec_b64 s[62:63], s[50:51]
	s_cbranch_execz .LBB55_202
; %bb.201:
	s_and_b32 s50, s3, 0xff
	s_cmp_eq_u32 s50, 0
	s_cselect_b64 vcc, -1, 0
	s_bitcmp1_b32 s3, 0
	s_mov_b32 s51, 0
	s_cselect_b64 s[72:73], -1, 0
	s_add_i32 s50, s2, 64
	s_lshl_b64 s[2:3], s[50:51], 4
	v_max_i32_e32 v3, v2, v76
	s_add_u32 s2, s64, s2
	v_cndmask_b32_e32 v2, v2, v3, vcc
	v_and_b32_e32 v3, 1, v73
	s_addc_u32 s3, s65, s3
	v_cndmask_b32_e64 v3, v3, 1, s[72:73]
	v_mov_b32_e32 v4, 2
	v_mov_b32_e32 v5, 0
	v_mov_b64_e32 v[6:7], s[2:3]
	;;#ASMSTART
	global_store_dwordx4 v[6:7], v[2:5] off sc1	
s_waitcnt vmcnt(0)
	;;#ASMEND
.LBB55_202:
	s_or_b64 exec, exec, s[62:63]
	s_and_b64 exec, exec, s[48:49]
	s_cbranch_execz .LBB55_204
; %bb.203:
	v_mov_b32_e32 v2, 0
	ds_write_b32 v2, v76
	ds_write_b8 v2, v73 offset:4
.LBB55_204:
	s_or_b64 exec, exec, s[56:57]
	v_mov_b32_e32 v2, 0
	s_waitcnt lgkmcnt(0)
	s_barrier
	ds_read_b32 v3, v2
	s_mov_b32 s2, 0
	v_and_b32_e32 v4, 1, v11
	s_mov_b32 s3, 1
	v_and_b32_e32 v5, 1, v63
	v_cmp_eq_u32_e32 vcc, 1, v4
	s_nop 1
	v_cndmask_b32_e64 v4, v5, 1, vcc
	v_max_i32_e32 v5, v10, v62
	v_cmp_gt_u64_e32 vcc, s[2:3], v[10:11]
	v_cndmask_b32_e64 v4, v4, v11, s[48:49]
	s_nop 0
	v_cndmask_b32_e32 v5, v10, v5, vcc
	v_cndmask_b32_e64 v5, v5, v10, s[48:49]
	s_waitcnt lgkmcnt(0)
	v_max_i32_e32 v3, v5, v3
	v_cmp_eq_u16_sdwa vcc, v4, v2 src0_sel:BYTE_0 src1_sel:DWORD
	s_nop 1
	v_cndmask_b32_e32 v80, v5, v3, vcc
	v_max_i32_e32 v2, v12, v80
	v_cndmask_b32_e64 v56, v12, v2, s[52:53]
	v_max_i32_e32 v2, v14, v56
	v_cndmask_b32_e64 v57, v14, v2, s[4:5]
	;; [unrolled: 2-line block ×22, first 2 shown]
	s_branch .LBB55_227
.LBB55_205:
                                        ; implicit-def: $vgpr78
                                        ; implicit-def: $vgpr77
                                        ; implicit-def: $vgpr76
                                        ; implicit-def: $vgpr75
                                        ; implicit-def: $vgpr74
                                        ; implicit-def: $vgpr73
                                        ; implicit-def: $vgpr72
                                        ; implicit-def: $vgpr71
                                        ; implicit-def: $vgpr70
                                        ; implicit-def: $vgpr69
                                        ; implicit-def: $vgpr68
                                        ; implicit-def: $vgpr67
                                        ; implicit-def: $vgpr66
                                        ; implicit-def: $vgpr65
                                        ; implicit-def: $vgpr64
                                        ; implicit-def: $vgpr63
                                        ; implicit-def: $vgpr62
                                        ; implicit-def: $vgpr59
                                        ; implicit-def: $vgpr58
                                        ; implicit-def: $vgpr57
                                        ; implicit-def: $vgpr56
                                        ; implicit-def: $vgpr80
                                        ; implicit-def: $vgpr79
	s_cbranch_execz .LBB55_227
; %bb.206:
	s_cmp_lg_u64 s[70:71], 0
	s_cselect_b32 s5, s59, 0
	s_cselect_b32 s4, s58, 0
	s_cmp_lg_u64 s[4:5], 0
	s_cselect_b64 s[6:7], -1, 0
	v_cmp_eq_u32_e32 vcc, 0, v0
	s_mov_b32 s48, 0
	v_cmp_ne_u32_e64 s[2:3], 0, v0
	s_and_b64 s[8:9], vcc, s[6:7]
	s_and_saveexec_b64 s[6:7], s[8:9]
	s_cbranch_execz .LBB55_208
; %bb.207:
	v_mov_b32_e32 v2, 0
	global_load_dword v4, v2, s[4:5]
	global_load_ubyte v5, v2, s[4:5] offset:4
	s_mov_b32 s49, 1
	v_and_b32_e32 v3, 1, v11
	v_cmp_gt_u64_e64 s[4:5], s[48:49], v[10:11]
	s_waitcnt vmcnt(1)
	v_max_i32_e32 v4, v10, v4
	s_waitcnt vmcnt(0)
	v_and_b32_e32 v5, 1, v5
	v_cndmask_b32_e64 v10, v10, v4, s[4:5]
	v_cmp_eq_u64_e64 s[4:5], 0, v[2:3]
	s_nop 1
	v_cndmask_b32_e64 v11, 1, v5, s[4:5]
.LBB55_208:
	s_or_b64 exec, exec, s[6:7]
	s_mov_b32 s49, 1
	v_max_i32_e32 v2, v12, v10
	v_cmp_gt_u64_e64 s[4:5], s[48:49], v[12:13]
	v_cmp_gt_u64_e64 s[6:7], s[48:49], v[14:15]
	v_cmp_gt_u64_e64 s[8:9], s[48:49], v[16:17]
	v_cndmask_b32_e64 v56, v12, v2, s[4:5]
	v_max_i32_e32 v2, v14, v56
	v_cndmask_b32_e64 v57, v14, v2, s[6:7]
	v_max_i32_e32 v2, v16, v57
	v_cndmask_b32_e64 v58, v16, v2, s[8:9]
	v_max_i32_e32 v2, v18, v58
	v_cmp_gt_u64_e64 s[10:11], s[48:49], v[18:19]
	v_cmp_gt_u64_e64 s[12:13], s[48:49], v[20:21]
	v_cmp_gt_u64_e64 s[14:15], s[48:49], v[22:23]
	v_cndmask_b32_e64 v59, v18, v2, s[10:11]
	v_max_i32_e32 v2, v20, v59
	v_cndmask_b32_e64 v62, v20, v2, s[12:13]
	v_max_i32_e32 v2, v22, v62
	v_cndmask_b32_e64 v63, v22, v2, s[14:15]
	;; [unrolled: 9-line block ×7, first 2 shown]
	v_max_i32_e32 v2, v54, v78
	v_cmp_gt_u64_e64 s[48:49], s[48:49], v[54:55]
	s_nop 1
	v_cndmask_b32_e64 v79, v54, v2, s[48:49]
	v_or3_b32 v2, v61, v51, v49
	v_or3_b32 v2, v2, v47, v45
	;; [unrolled: 1-line block ×10, first 2 shown]
	v_and_b32_e32 v2, 1, v2
	v_cmp_eq_u32_e64 s[50:51], 1, v2
	v_add_lshl_u32 v2, v60, v0, 3
	s_nop 0
	v_cndmask_b32_e64 v5, v11, 1, s[50:51]
	v_cmp_gt_u32_e64 s[50:51], 64, v0
	ds_write_b32 v2, v79
	ds_write_b8 v2, v5 offset:4
	s_waitcnt lgkmcnt(0)
	s_barrier
	s_and_saveexec_b64 s[52:53], s[50:51]
	s_cbranch_execz .LBB55_222
; %bb.209:
	v_lshrrev_b32_e32 v2, 3, v0
	v_add_lshl_u32 v4, v2, v1, 3
	ds_read2_b32 v[8:9], v4 offset0:2 offset1:4
	ds_read_b64 v[2:3], v4
	ds_read_u8 v13, v4 offset:12
	ds_read_u8 v15, v4 offset:20
	ds_read_b32 v7, v4 offset:24
	ds_read_u8 v17, v4 offset:28
	v_mov_b32_e32 v19, 0
	s_waitcnt lgkmcnt(4)
	v_max_i32_e32 v21, v8, v2
	s_waitcnt lgkmcnt(3)
	v_cmp_eq_u16_sdwa s[50:51], v13, v19 src0_sel:BYTE_0 src1_sel:DWORD
	v_and_b32_e32 v6, 1, v3
	s_nop 0
	v_cndmask_b32_e64 v8, v8, v21, s[50:51]
	v_max_i32_e32 v8, v9, v8
	s_waitcnt lgkmcnt(2)
	v_cmp_eq_u16_sdwa s[50:51], v15, v19 src0_sel:BYTE_0 src1_sel:DWORD
	s_nop 1
	v_cndmask_b32_e64 v8, v9, v8, s[50:51]
	s_waitcnt lgkmcnt(1)
	v_max_i32_e32 v8, v7, v8
	s_waitcnt lgkmcnt(0)
	v_cmp_eq_u16_e64 s[50:51], 0, v17
	v_mbcnt_lo_u32_b32 v9, -1, 0
	v_mbcnt_hi_u32_b32 v9, -1, v9
	v_cndmask_b32_e64 v7, v7, v8, s[50:51]
	v_or_b32_e32 v8, v17, v15
	v_or_b32_e32 v8, v8, v13
	v_and_b32_e32 v8, 1, v8
	v_cmp_eq_u32_e64 s[50:51], 1, v8
	v_and_b32_e32 v8, 0xffffff00, v3
	v_and_b32_e32 v17, 15, v9
	v_cndmask_b32_e64 v13, v6, 1, s[50:51]
	v_or_b32_sdwa v15, v8, v13 dst_sel:DWORD dst_unused:UNUSED_PAD src0_sel:DWORD src1_sel:WORD_0
	v_mov_b32_dpp v21, v7 row_shr:1 row_mask:0xf bank_mask:0xf
	v_cmp_ne_u32_e64 s[50:51], 0, v17
	v_mov_b32_dpp v19, v15 row_shr:1 row_mask:0xf bank_mask:0xf
	s_and_saveexec_b64 s[56:57], s[50:51]
; %bb.210:
	v_max_i32_e32 v15, v7, v21
	v_cmp_eq_u16_e64 s[50:51], 0, v13
	v_and_b32_e32 v13, 1, v13
	s_nop 0
	v_cndmask_b32_e64 v7, v7, v15, s[50:51]
	v_and_b32_e32 v15, 1, v19
	v_cmp_eq_u32_e64 s[50:51], 1, v13
	s_nop 1
	v_cndmask_b32_e64 v13, v15, 1, s[50:51]
	v_or_b32_sdwa v15, v8, v13 dst_sel:DWORD dst_unused:UNUSED_PAD src0_sel:DWORD src1_sel:WORD_0
; %bb.211:
	s_or_b64 exec, exec, s[56:57]
	v_mov_b32_dpp v21, v7 row_shr:2 row_mask:0xf bank_mask:0xf
	v_mov_b32_dpp v19, v15 row_shr:2 row_mask:0xf bank_mask:0xf
	v_cmp_lt_u32_e64 s[50:51], 1, v17
	s_and_saveexec_b64 s[56:57], s[50:51]
; %bb.212:
	v_max_i32_e32 v15, v7, v21
	v_cmp_eq_u16_e64 s[50:51], 0, v13
	v_and_b32_e32 v13, 1, v13
	s_nop 0
	v_cndmask_b32_e64 v7, v7, v15, s[50:51]
	v_and_b32_e32 v15, 1, v19
	v_cmp_eq_u32_e64 s[50:51], 1, v13
	s_nop 1
	v_cndmask_b32_e64 v13, v15, 1, s[50:51]
	v_or_b32_sdwa v15, v8, v13 dst_sel:DWORD dst_unused:UNUSED_PAD src0_sel:DWORD src1_sel:WORD_0
; %bb.213:
	s_or_b64 exec, exec, s[56:57]
	v_mov_b32_dpp v21, v7 row_shr:4 row_mask:0xf bank_mask:0xf
	v_mov_b32_dpp v19, v15 row_shr:4 row_mask:0xf bank_mask:0xf
	v_cmp_lt_u32_e64 s[50:51], 3, v17
	s_and_saveexec_b64 s[56:57], s[50:51]
; %bb.214:
	v_max_i32_e32 v15, v7, v21
	v_cmp_eq_u16_e64 s[50:51], 0, v13
	v_and_b32_e32 v13, 1, v13
	s_nop 0
	v_cndmask_b32_e64 v7, v7, v15, s[50:51]
	v_and_b32_e32 v15, 1, v19
	v_cmp_eq_u32_e64 s[50:51], 1, v13
	s_nop 1
	v_cndmask_b32_e64 v13, v15, 1, s[50:51]
	v_or_b32_sdwa v15, v8, v13 dst_sel:DWORD dst_unused:UNUSED_PAD src0_sel:DWORD src1_sel:WORD_0
; %bb.215:
	s_or_b64 exec, exec, s[56:57]
	v_mov_b32_dpp v21, v7 row_shr:8 row_mask:0xf bank_mask:0xf
	v_mov_b32_dpp v19, v15 row_shr:8 row_mask:0xf bank_mask:0xf
	v_cmp_lt_u32_e64 s[50:51], 7, v17
	s_and_saveexec_b64 s[56:57], s[50:51]
; %bb.216:
	v_max_i32_e32 v15, v7, v21
	v_cmp_eq_u16_e64 s[50:51], 0, v13
	v_and_b32_e32 v13, 1, v13
	s_nop 0
	v_cndmask_b32_e64 v7, v7, v15, s[50:51]
	v_and_b32_e32 v15, 1, v19
	v_cmp_eq_u32_e64 s[50:51], 1, v13
	s_nop 1
	v_cndmask_b32_e64 v13, v15, 1, s[50:51]
	v_or_b32_sdwa v15, v8, v13 dst_sel:DWORD dst_unused:UNUSED_PAD src0_sel:DWORD src1_sel:WORD_0
; %bb.217:
	s_or_b64 exec, exec, s[56:57]
	v_and_b32_e32 v21, 16, v9
	v_mov_b32_dpp v19, v7 row_bcast:15 row_mask:0xf bank_mask:0xf
	v_mov_b32_dpp v17, v15 row_bcast:15 row_mask:0xf bank_mask:0xf
	v_cmp_ne_u32_e64 s[50:51], 0, v21
	s_and_saveexec_b64 s[56:57], s[50:51]
; %bb.218:
	v_max_i32_e32 v15, v7, v19
	v_cmp_eq_u16_e64 s[50:51], 0, v13
	v_and_b32_e32 v13, 1, v13
	s_nop 0
	v_cndmask_b32_e64 v7, v7, v15, s[50:51]
	v_and_b32_e32 v15, 1, v17
	v_cmp_eq_u32_e64 s[50:51], 1, v13
	s_nop 1
	v_cndmask_b32_e64 v13, v15, 1, s[50:51]
	v_or_b32_sdwa v15, v8, v13 dst_sel:DWORD dst_unused:UNUSED_PAD src0_sel:DWORD src1_sel:WORD_0
; %bb.219:
	s_or_b64 exec, exec, s[56:57]
	v_mov_b32_dpp v17, v7 row_bcast:31 row_mask:0xf bank_mask:0xf
	v_mov_b32_dpp v15, v15 row_bcast:31 row_mask:0xf bank_mask:0xf
	v_cmp_lt_u32_e64 s[50:51], 31, v9
	s_and_saveexec_b64 s[56:57], s[50:51]
; %bb.220:
	v_max_i32_e32 v17, v7, v17
	v_cmp_eq_u16_e64 s[50:51], 0, v13
	v_and_b32_e32 v13, 1, v13
	v_and_b32_e32 v15, 1, v15
	v_cndmask_b32_e64 v7, v7, v17, s[50:51]
	v_cmp_eq_u32_e64 s[50:51], 1, v13
	s_nop 1
	v_cndmask_b32_e64 v13, v15, 1, s[50:51]
; %bb.221:
	s_or_b64 exec, exec, s[56:57]
	v_add_u32_e32 v15, -1, v9
	v_and_b32_e32 v17, 64, v9
	v_cmp_lt_i32_e64 s[50:51], v15, v17
	v_or_b32_sdwa v8, v8, v13 dst_sel:DWORD dst_unused:UNUSED_PAD src0_sel:DWORD src1_sel:WORD_0
	s_nop 0
	v_cndmask_b32_e64 v9, v15, v9, s[50:51]
	v_lshlrev_b32_e32 v9, 2, v9
	ds_bpermute_b32 v7, v9, v7
	ds_bpermute_b32 v8, v9, v8
	v_mov_b32_e32 v9, 0
	v_cmp_eq_u16_sdwa s[50:51], v3, v9 src0_sel:BYTE_0 src1_sel:DWORD
	; wave barrier
	s_waitcnt lgkmcnt(1)
	v_max_i32_e32 v7, v2, v7
	v_cndmask_b32_e64 v2, v2, v7, s[50:51]
	s_waitcnt lgkmcnt(0)
	v_and_b32_e32 v3, 1, v8
	v_cmp_eq_u32_e64 s[50:51], 1, v6
	v_cndmask_b32_e32 v6, v2, v79, vcc
	s_nop 0
	v_cndmask_b32_e64 v3, v3, 1, s[50:51]
	v_cndmask_b32_e32 v5, v3, v5, vcc
	ds_write_b32 v4, v6
	ds_write_b8 v4, v5 offset:4
	; wave barrier
	ds_read2_b32 v[2:3], v4 offset0:2 offset1:4
	ds_read_u8 v7, v4 offset:12
	ds_read_u8 v8, v4 offset:20
	ds_read_b32 v9, v4 offset:24
	ds_read_u8 v13, v4 offset:28
	s_waitcnt lgkmcnt(4)
	v_max_i32_e32 v6, v2, v6
	s_waitcnt lgkmcnt(3)
	v_cmp_eq_u16_e64 s[50:51], 0, v7
	s_nop 1
	v_cndmask_b32_e64 v2, v2, v6, s[50:51]
	v_and_b32_e32 v6, 1, v7
	v_cmp_eq_u32_e64 s[50:51], 1, v6
	v_max_i32_e32 v6, v3, v2
	s_nop 0
	v_cndmask_b32_e64 v5, v5, 1, s[50:51]
	s_waitcnt lgkmcnt(2)
	v_cmp_eq_u16_e64 s[50:51], 0, v8
	ds_write_b8 v4, v5 offset:12
	s_nop 0
	v_cndmask_b32_e64 v3, v3, v6, s[50:51]
	v_and_b32_e32 v6, 1, v8
	v_cmp_eq_u32_e64 s[50:51], 1, v6
	s_nop 1
	v_cndmask_b32_e64 v5, v5, 1, s[50:51]
	ds_write2_b32 v4, v2, v3 offset0:2 offset1:4
	ds_write_b8 v4, v5 offset:20
	s_waitcnt lgkmcnt(4)
	v_max_i32_e32 v2, v9, v3
	s_waitcnt lgkmcnt(3)
	v_cmp_eq_u16_e64 s[50:51], 0, v13
	v_and_b32_e32 v3, 1, v13
	s_nop 0
	v_cndmask_b32_e64 v2, v9, v2, s[50:51]
	v_cmp_eq_u32_e64 s[50:51], 1, v3
	s_nop 1
	v_cndmask_b32_e64 v3, v5, 1, s[50:51]
	ds_write_b32 v4, v2 offset:24
	ds_write_b8 v4, v3 offset:28
.LBB55_222:
	s_or_b64 exec, exec, s[52:53]
	v_mov_b32_e32 v2, v79
	s_waitcnt lgkmcnt(0)
	s_barrier
	s_and_saveexec_b64 s[50:51], s[2:3]
	s_cbranch_execz .LBB55_273
; %bb.223:
	v_add_u32_e32 v2, -1, v0
	v_lshrrev_b32_e32 v3, 5, v2
	v_add_lshl_u32 v2, v3, v2, 3
	ds_read_b32 v2, v2
	s_or_b64 exec, exec, s[50:51]
	s_and_saveexec_b64 s[50:51], s[2:3]
	s_cbranch_execnz .LBB55_274
.LBB55_224:
	s_or_b64 exec, exec, s[50:51]
	s_and_saveexec_b64 s[2:3], vcc
	s_cbranch_execz .LBB55_226
.LBB55_225:
	v_mov_b32_e32 v5, 0
	s_waitcnt lgkmcnt(0)
	ds_read_b32 v2, v5 offset:2096
	ds_read_u8 v3, v5 offset:2100
	s_add_u32 s4, s64, 0x400
	s_addc_u32 s5, s65, 0
	v_mov_b32_e32 v4, 2
	v_mov_b64_e32 v[6:7], s[4:5]
	s_waitcnt lgkmcnt(0)
	;;#ASMSTART
	global_store_dwordx4 v[6:7], v[2:5] off sc1	
s_waitcnt vmcnt(0)
	;;#ASMEND
.LBB55_226:
	s_or_b64 exec, exec, s[2:3]
	v_mov_b32_e32 v80, v10
.LBB55_227:
	s_lshl_b64 s[2:3], s[68:69], 2
	s_add_u32 s4, s54, s2
	s_addc_u32 s5, s55, s3
	s_lshl_b64 s[2:3], s[60:61], 2
	s_add_u32 s2, s4, s2
	s_addc_u32 s3, s5, s3
	s_and_b64 vcc, exec, s[0:1]
	s_cbranch_vccz .LBB55_275
; %bb.228:
	s_movk_i32 s0, 0x5c
	v_mul_i32_i24_e32 v27, 0xffffffa8, v0
	v_mul_u32_u24_e32 v26, 0x5c, v0
	s_waitcnt lgkmcnt(0)
	v_mad_u32_u24 v2, v0, s0, v27
	s_barrier
	ds_write2_b32 v26, v80, v56 offset1:1
	ds_write2_b32 v26, v57, v58 offset0:2 offset1:3
	ds_write2_b32 v26, v59, v62 offset0:4 offset1:5
	;; [unrolled: 1-line block ×10, first 2 shown]
	ds_write_b32 v26, v79 offset:88
	s_waitcnt lgkmcnt(0)
	s_barrier
	ds_read2st64_b32 v[22:23], v2 offset0:4 offset1:8
	ds_read2st64_b32 v[20:21], v2 offset0:12 offset1:16
	;; [unrolled: 1-line block ×11, first 2 shown]
	v_mov_b32_e32 v24, s3
	v_sub_co_u32_e32 v25, vcc, s2, v1
	s_add_i32 s33, s33, s66
	s_nop 0
	v_subbrev_co_u32_e32 v24, vcc, 0, v24, vcc
	v_cmp_gt_u32_e32 vcc, s33, v0
	s_and_saveexec_b64 s[0:1], vcc
	s_cbranch_execz .LBB55_230
; %bb.229:
	v_add_u32_e32 v26, v26, v27
	ds_read_b32 v28, v26
	v_add_co_u32_e32 v26, vcc, -4, v25
	s_nop 1
	v_addc_co_u32_e32 v27, vcc, -1, v24, vcc
	s_waitcnt lgkmcnt(0)
	flat_store_dword v[26:27], v28
.LBB55_230:
	s_or_b64 exec, exec, s[0:1]
	v_or_b32_e32 v26, 0x100, v0
	v_cmp_gt_u32_e32 vcc, s33, v26
	s_and_saveexec_b64 s[0:1], vcc
	s_cbranch_execz .LBB55_232
; %bb.231:
	v_add_co_u32_e32 v26, vcc, 0xfffffbfc, v25
	s_nop 1
	v_addc_co_u32_e32 v27, vcc, -1, v24, vcc
	s_waitcnt lgkmcnt(0)
	flat_store_dword v[26:27], v22
.LBB55_232:
	s_or_b64 exec, exec, s[0:1]
	s_waitcnt lgkmcnt(0)
	v_or_b32_e32 v22, 0x200, v0
	v_cmp_gt_u32_e32 vcc, s33, v22
	s_and_saveexec_b64 s[0:1], vcc
	s_cbranch_execz .LBB55_234
; %bb.233:
	v_add_co_u32_e32 v26, vcc, 0xfffff7fc, v25
	s_nop 1
	v_addc_co_u32_e32 v27, vcc, -1, v24, vcc
	flat_store_dword v[26:27], v23
.LBB55_234:
	s_or_b64 exec, exec, s[0:1]
	v_or_b32_e32 v22, 0x300, v0
	v_cmp_gt_u32_e32 vcc, s33, v22
	s_and_saveexec_b64 s[0:1], vcc
	s_cbranch_execz .LBB55_236
; %bb.235:
	v_add_co_u32_e32 v22, vcc, 0xfffff3fc, v25
	s_nop 1
	v_addc_co_u32_e32 v23, vcc, -1, v24, vcc
	flat_store_dword v[22:23], v20
.LBB55_236:
	s_or_b64 exec, exec, s[0:1]
	;; [unrolled: 11-line block ×19, first 2 shown]
	v_sub_co_u32_e32 v4, vcc, 0, v0
	v_or_b32_e32 v6, 0x1500, v0
	s_nop 0
	v_subb_co_u32_e64 v5, s[0:1], 0, 0, vcc
	v_cmp_gt_u32_e32 vcc, s33, v6
	s_and_saveexec_b64 s[0:1], vcc
	s_cbranch_execz .LBB55_272
; %bb.271:
	v_add_co_u32_e32 v6, vcc, 0xffffabfc, v25
	s_nop 1
	v_addc_co_u32_e32 v7, vcc, -1, v24, vcc
	flat_store_dword v[6:7], v2
.LBB55_272:
	s_or_b64 exec, exec, s[0:1]
	v_or_b32_e32 v2, 0x1600, v0
	v_cmp_gt_u32_e64 s[0:1], s33, v2
	s_branch .LBB55_277
.LBB55_273:
	s_or_b64 exec, exec, s[50:51]
	s_and_saveexec_b64 s[50:51], s[2:3]
	s_cbranch_execz .LBB55_224
.LBB55_274:
	v_and_b32_e32 v5, 0xff, v11
	v_mov_b32_e32 v4, 0
	s_waitcnt lgkmcnt(0)
	v_max_i32_e32 v2, v10, v2
	v_cmp_eq_u64_e64 s[2:3], 0, v[4:5]
	;;#ASMSTART
	;;#ASMEND
	s_nop 1
	v_cndmask_b32_e64 v10, v10, v2, s[2:3]
	v_max_i32_e32 v2, v12, v10
	v_cndmask_b32_e64 v56, v12, v2, s[4:5]
	v_max_i32_e32 v2, v14, v56
	;; [unrolled: 2-line block ×22, first 2 shown]
	v_cndmask_b32_e64 v79, v54, v2, s[48:49]
	s_or_b64 exec, exec, s[50:51]
	s_and_saveexec_b64 s[2:3], vcc
	s_cbranch_execnz .LBB55_225
	s_branch .LBB55_226
.LBB55_275:
	s_mov_b64 s[0:1], 0
                                        ; implicit-def: $vgpr3
                                        ; implicit-def: $vgpr4_vgpr5
	s_cbranch_execz .LBB55_277
; %bb.276:
	s_waitcnt lgkmcnt(0)
	v_mul_u32_u24_e32 v2, 0x5c, v0
	s_barrier
	s_movk_i32 s4, 0x5c
	ds_write2_b32 v2, v80, v56 offset1:1
	ds_write2_b32 v2, v57, v58 offset0:2 offset1:3
	ds_write2_b32 v2, v59, v62 offset0:4 offset1:5
	;; [unrolled: 1-line block ×10, first 2 shown]
	ds_write_b32 v2, v79 offset:88
	v_mul_i32_i24_e32 v2, 0xffffffa8, v0
	v_mad_u32_u24 v2, v0, s4, v2
	v_sub_co_u32_e32 v4, vcc, 0, v0
	s_waitcnt lgkmcnt(0)
	s_barrier
	ds_read2st64_b32 v[6:7], v2 offset1:4
	ds_read2st64_b32 v[8:9], v2 offset0:8 offset1:12
	ds_read2st64_b32 v[10:11], v2 offset0:16 offset1:20
	;; [unrolled: 1-line block ×10, first 2 shown]
	ds_read_b32 v3, v2 offset:22528
	v_subb_co_u32_e64 v5, s[4:5], 0, 0, vcc
	v_mov_b32_e32 v0, s3
	v_sub_co_u32_e32 v2, vcc, s2, v1
	s_movk_i32 s4, 0xf3fc
	s_nop 0
	v_subbrev_co_u32_e32 v28, vcc, 0, v0, vcc
	v_add_co_u32_e32 v0, vcc, s4, v2
	s_movk_i32 s4, 0xe3fc
	s_nop 0
	v_addc_co_u32_e32 v1, vcc, -1, v28, vcc
	s_waitcnt lgkmcnt(0)
	flat_store_dword v[0:1], v6 offset:3072
	flat_store_dword v[0:1], v7 offset:2048
	flat_store_dword v[0:1], v8 offset:1024
	flat_store_dword v[0:1], v9
	v_add_co_u32_e32 v0, vcc, s4, v2
	s_movk_i32 s4, 0xd3fc
	s_nop 0
	v_addc_co_u32_e32 v1, vcc, -1, v28, vcc
	flat_store_dword v[0:1], v10 offset:3072
	flat_store_dword v[0:1], v11 offset:2048
	flat_store_dword v[0:1], v12 offset:1024
	flat_store_dword v[0:1], v13
	v_add_co_u32_e32 v0, vcc, s4, v2
	s_movk_i32 s4, 0xc3fc
	s_nop 0
	v_addc_co_u32_e32 v1, vcc, -1, v28, vcc
	;; [unrolled: 8-line block ×3, first 2 shown]
	flat_store_dword v[0:1], v18 offset:3072
	flat_store_dword v[0:1], v19 offset:2048
	;; [unrolled: 1-line block ×3, first 2 shown]
	flat_store_dword v[0:1], v21
	v_add_co_u32_e32 v0, vcc, s4, v2
	s_or_b64 s[0:1], s[0:1], exec
	s_nop 0
	v_addc_co_u32_e32 v1, vcc, -1, v28, vcc
	flat_store_dword v[0:1], v22 offset:2048
	flat_store_dword v[0:1], v23 offset:1024
	flat_store_dword v[0:1], v24
	v_add_co_u32_e32 v0, vcc, 0xffffb3fc, v2
	s_nop 1
	v_addc_co_u32_e32 v1, vcc, -1, v28, vcc
	flat_store_dword v[0:1], v25
	v_add_co_u32_e32 v0, vcc, 0xffffaffc, v2
	s_nop 1
	v_addc_co_u32_e32 v1, vcc, -1, v28, vcc
	;; [unrolled: 4-line block ×3, first 2 shown]
	flat_store_dword v[0:1], v27
.LBB55_277:
	s_and_saveexec_b64 s[4:5], s[0:1]
	s_cbranch_execz .LBB55_279
; %bb.278:
	v_lshl_add_u64 v[0:1], v[4:5], 2, s[2:3]
	v_add_co_u32_e32 v0, vcc, 0xffffa7fc, v0
	s_nop 1
	v_addc_co_u32_e32 v1, vcc, -1, v1, vcc
	flat_store_dword v[0:1], v3
	s_endpgm
.LBB55_279:
	s_endpgm
	.section	.rodata,"a",@progbits
	.p2align	6, 0x0
	.amdhsa_kernel _ZN7rocprim17ROCPRIM_400000_NS6detail17trampoline_kernelINS0_14default_configENS1_27scan_by_key_config_selectorIiiEEZZNS1_16scan_by_key_implILNS1_25lookback_scan_determinismE0ELb0ES3_N6thrust23THRUST_200600_302600_NS16reverse_iteratorIPKiEESD_NSA_IPiEEiN6hipcub16HIPCUB_304000_NS3MaxENSH_8EqualityEiEE10hipError_tPvRmT2_T3_T4_T5_mT6_T7_P12ihipStream_tbENKUlT_T0_E_clISt17integral_constantIbLb0EES10_EEDaSV_SW_EUlSV_E_NS1_11comp_targetILNS1_3genE5ELNS1_11target_archE942ELNS1_3gpuE9ELNS1_3repE0EEENS1_30default_config_static_selectorELNS0_4arch9wavefront6targetE1EEEvT1_
		.amdhsa_group_segment_fixed_size 25600
		.amdhsa_private_segment_fixed_size 0
		.amdhsa_kernarg_size 112
		.amdhsa_user_sgpr_count 2
		.amdhsa_user_sgpr_dispatch_ptr 0
		.amdhsa_user_sgpr_queue_ptr 0
		.amdhsa_user_sgpr_kernarg_segment_ptr 1
		.amdhsa_user_sgpr_dispatch_id 0
		.amdhsa_user_sgpr_kernarg_preload_length 0
		.amdhsa_user_sgpr_kernarg_preload_offset 0
		.amdhsa_user_sgpr_private_segment_size 0
		.amdhsa_uses_dynamic_stack 0
		.amdhsa_enable_private_segment 0
		.amdhsa_system_sgpr_workgroup_id_x 1
		.amdhsa_system_sgpr_workgroup_id_y 0
		.amdhsa_system_sgpr_workgroup_id_z 0
		.amdhsa_system_sgpr_workgroup_info 0
		.amdhsa_system_vgpr_workitem_id 0
		.amdhsa_next_free_vgpr 81
		.amdhsa_next_free_sgpr 81
		.amdhsa_accum_offset 84
		.amdhsa_reserve_vcc 1
		.amdhsa_float_round_mode_32 0
		.amdhsa_float_round_mode_16_64 0
		.amdhsa_float_denorm_mode_32 3
		.amdhsa_float_denorm_mode_16_64 3
		.amdhsa_dx10_clamp 1
		.amdhsa_ieee_mode 1
		.amdhsa_fp16_overflow 0
		.amdhsa_tg_split 0
		.amdhsa_exception_fp_ieee_invalid_op 0
		.amdhsa_exception_fp_denorm_src 0
		.amdhsa_exception_fp_ieee_div_zero 0
		.amdhsa_exception_fp_ieee_overflow 0
		.amdhsa_exception_fp_ieee_underflow 0
		.amdhsa_exception_fp_ieee_inexact 0
		.amdhsa_exception_int_div_zero 0
	.end_amdhsa_kernel
	.section	.text._ZN7rocprim17ROCPRIM_400000_NS6detail17trampoline_kernelINS0_14default_configENS1_27scan_by_key_config_selectorIiiEEZZNS1_16scan_by_key_implILNS1_25lookback_scan_determinismE0ELb0ES3_N6thrust23THRUST_200600_302600_NS16reverse_iteratorIPKiEESD_NSA_IPiEEiN6hipcub16HIPCUB_304000_NS3MaxENSH_8EqualityEiEE10hipError_tPvRmT2_T3_T4_T5_mT6_T7_P12ihipStream_tbENKUlT_T0_E_clISt17integral_constantIbLb0EES10_EEDaSV_SW_EUlSV_E_NS1_11comp_targetILNS1_3genE5ELNS1_11target_archE942ELNS1_3gpuE9ELNS1_3repE0EEENS1_30default_config_static_selectorELNS0_4arch9wavefront6targetE1EEEvT1_,"axG",@progbits,_ZN7rocprim17ROCPRIM_400000_NS6detail17trampoline_kernelINS0_14default_configENS1_27scan_by_key_config_selectorIiiEEZZNS1_16scan_by_key_implILNS1_25lookback_scan_determinismE0ELb0ES3_N6thrust23THRUST_200600_302600_NS16reverse_iteratorIPKiEESD_NSA_IPiEEiN6hipcub16HIPCUB_304000_NS3MaxENSH_8EqualityEiEE10hipError_tPvRmT2_T3_T4_T5_mT6_T7_P12ihipStream_tbENKUlT_T0_E_clISt17integral_constantIbLb0EES10_EEDaSV_SW_EUlSV_E_NS1_11comp_targetILNS1_3genE5ELNS1_11target_archE942ELNS1_3gpuE9ELNS1_3repE0EEENS1_30default_config_static_selectorELNS0_4arch9wavefront6targetE1EEEvT1_,comdat
.Lfunc_end55:
	.size	_ZN7rocprim17ROCPRIM_400000_NS6detail17trampoline_kernelINS0_14default_configENS1_27scan_by_key_config_selectorIiiEEZZNS1_16scan_by_key_implILNS1_25lookback_scan_determinismE0ELb0ES3_N6thrust23THRUST_200600_302600_NS16reverse_iteratorIPKiEESD_NSA_IPiEEiN6hipcub16HIPCUB_304000_NS3MaxENSH_8EqualityEiEE10hipError_tPvRmT2_T3_T4_T5_mT6_T7_P12ihipStream_tbENKUlT_T0_E_clISt17integral_constantIbLb0EES10_EEDaSV_SW_EUlSV_E_NS1_11comp_targetILNS1_3genE5ELNS1_11target_archE942ELNS1_3gpuE9ELNS1_3repE0EEENS1_30default_config_static_selectorELNS0_4arch9wavefront6targetE1EEEvT1_, .Lfunc_end55-_ZN7rocprim17ROCPRIM_400000_NS6detail17trampoline_kernelINS0_14default_configENS1_27scan_by_key_config_selectorIiiEEZZNS1_16scan_by_key_implILNS1_25lookback_scan_determinismE0ELb0ES3_N6thrust23THRUST_200600_302600_NS16reverse_iteratorIPKiEESD_NSA_IPiEEiN6hipcub16HIPCUB_304000_NS3MaxENSH_8EqualityEiEE10hipError_tPvRmT2_T3_T4_T5_mT6_T7_P12ihipStream_tbENKUlT_T0_E_clISt17integral_constantIbLb0EES10_EEDaSV_SW_EUlSV_E_NS1_11comp_targetILNS1_3genE5ELNS1_11target_archE942ELNS1_3gpuE9ELNS1_3repE0EEENS1_30default_config_static_selectorELNS0_4arch9wavefront6targetE1EEEvT1_
                                        ; -- End function
	.section	.AMDGPU.csdata,"",@progbits
; Kernel info:
; codeLenInByte = 16192
; NumSgprs: 87
; NumVgprs: 81
; NumAgprs: 0
; TotalNumVgprs: 81
; ScratchSize: 0
; MemoryBound: 0
; FloatMode: 240
; IeeeMode: 1
; LDSByteSize: 25600 bytes/workgroup (compile time only)
; SGPRBlocks: 10
; VGPRBlocks: 10
; NumSGPRsForWavesPerEU: 87
; NumVGPRsForWavesPerEU: 81
; AccumOffset: 84
; Occupancy: 2
; WaveLimiterHint : 1
; COMPUTE_PGM_RSRC2:SCRATCH_EN: 0
; COMPUTE_PGM_RSRC2:USER_SGPR: 2
; COMPUTE_PGM_RSRC2:TRAP_HANDLER: 0
; COMPUTE_PGM_RSRC2:TGID_X_EN: 1
; COMPUTE_PGM_RSRC2:TGID_Y_EN: 0
; COMPUTE_PGM_RSRC2:TGID_Z_EN: 0
; COMPUTE_PGM_RSRC2:TIDIG_COMP_CNT: 0
; COMPUTE_PGM_RSRC3_GFX90A:ACCUM_OFFSET: 20
; COMPUTE_PGM_RSRC3_GFX90A:TG_SPLIT: 0
	.section	.text._ZN7rocprim17ROCPRIM_400000_NS6detail17trampoline_kernelINS0_14default_configENS1_27scan_by_key_config_selectorIiiEEZZNS1_16scan_by_key_implILNS1_25lookback_scan_determinismE0ELb0ES3_N6thrust23THRUST_200600_302600_NS16reverse_iteratorIPKiEESD_NSA_IPiEEiN6hipcub16HIPCUB_304000_NS3MaxENSH_8EqualityEiEE10hipError_tPvRmT2_T3_T4_T5_mT6_T7_P12ihipStream_tbENKUlT_T0_E_clISt17integral_constantIbLb0EES10_EEDaSV_SW_EUlSV_E_NS1_11comp_targetILNS1_3genE4ELNS1_11target_archE910ELNS1_3gpuE8ELNS1_3repE0EEENS1_30default_config_static_selectorELNS0_4arch9wavefront6targetE1EEEvT1_,"axG",@progbits,_ZN7rocprim17ROCPRIM_400000_NS6detail17trampoline_kernelINS0_14default_configENS1_27scan_by_key_config_selectorIiiEEZZNS1_16scan_by_key_implILNS1_25lookback_scan_determinismE0ELb0ES3_N6thrust23THRUST_200600_302600_NS16reverse_iteratorIPKiEESD_NSA_IPiEEiN6hipcub16HIPCUB_304000_NS3MaxENSH_8EqualityEiEE10hipError_tPvRmT2_T3_T4_T5_mT6_T7_P12ihipStream_tbENKUlT_T0_E_clISt17integral_constantIbLb0EES10_EEDaSV_SW_EUlSV_E_NS1_11comp_targetILNS1_3genE4ELNS1_11target_archE910ELNS1_3gpuE8ELNS1_3repE0EEENS1_30default_config_static_selectorELNS0_4arch9wavefront6targetE1EEEvT1_,comdat
	.protected	_ZN7rocprim17ROCPRIM_400000_NS6detail17trampoline_kernelINS0_14default_configENS1_27scan_by_key_config_selectorIiiEEZZNS1_16scan_by_key_implILNS1_25lookback_scan_determinismE0ELb0ES3_N6thrust23THRUST_200600_302600_NS16reverse_iteratorIPKiEESD_NSA_IPiEEiN6hipcub16HIPCUB_304000_NS3MaxENSH_8EqualityEiEE10hipError_tPvRmT2_T3_T4_T5_mT6_T7_P12ihipStream_tbENKUlT_T0_E_clISt17integral_constantIbLb0EES10_EEDaSV_SW_EUlSV_E_NS1_11comp_targetILNS1_3genE4ELNS1_11target_archE910ELNS1_3gpuE8ELNS1_3repE0EEENS1_30default_config_static_selectorELNS0_4arch9wavefront6targetE1EEEvT1_ ; -- Begin function _ZN7rocprim17ROCPRIM_400000_NS6detail17trampoline_kernelINS0_14default_configENS1_27scan_by_key_config_selectorIiiEEZZNS1_16scan_by_key_implILNS1_25lookback_scan_determinismE0ELb0ES3_N6thrust23THRUST_200600_302600_NS16reverse_iteratorIPKiEESD_NSA_IPiEEiN6hipcub16HIPCUB_304000_NS3MaxENSH_8EqualityEiEE10hipError_tPvRmT2_T3_T4_T5_mT6_T7_P12ihipStream_tbENKUlT_T0_E_clISt17integral_constantIbLb0EES10_EEDaSV_SW_EUlSV_E_NS1_11comp_targetILNS1_3genE4ELNS1_11target_archE910ELNS1_3gpuE8ELNS1_3repE0EEENS1_30default_config_static_selectorELNS0_4arch9wavefront6targetE1EEEvT1_
	.globl	_ZN7rocprim17ROCPRIM_400000_NS6detail17trampoline_kernelINS0_14default_configENS1_27scan_by_key_config_selectorIiiEEZZNS1_16scan_by_key_implILNS1_25lookback_scan_determinismE0ELb0ES3_N6thrust23THRUST_200600_302600_NS16reverse_iteratorIPKiEESD_NSA_IPiEEiN6hipcub16HIPCUB_304000_NS3MaxENSH_8EqualityEiEE10hipError_tPvRmT2_T3_T4_T5_mT6_T7_P12ihipStream_tbENKUlT_T0_E_clISt17integral_constantIbLb0EES10_EEDaSV_SW_EUlSV_E_NS1_11comp_targetILNS1_3genE4ELNS1_11target_archE910ELNS1_3gpuE8ELNS1_3repE0EEENS1_30default_config_static_selectorELNS0_4arch9wavefront6targetE1EEEvT1_
	.p2align	8
	.type	_ZN7rocprim17ROCPRIM_400000_NS6detail17trampoline_kernelINS0_14default_configENS1_27scan_by_key_config_selectorIiiEEZZNS1_16scan_by_key_implILNS1_25lookback_scan_determinismE0ELb0ES3_N6thrust23THRUST_200600_302600_NS16reverse_iteratorIPKiEESD_NSA_IPiEEiN6hipcub16HIPCUB_304000_NS3MaxENSH_8EqualityEiEE10hipError_tPvRmT2_T3_T4_T5_mT6_T7_P12ihipStream_tbENKUlT_T0_E_clISt17integral_constantIbLb0EES10_EEDaSV_SW_EUlSV_E_NS1_11comp_targetILNS1_3genE4ELNS1_11target_archE910ELNS1_3gpuE8ELNS1_3repE0EEENS1_30default_config_static_selectorELNS0_4arch9wavefront6targetE1EEEvT1_,@function
_ZN7rocprim17ROCPRIM_400000_NS6detail17trampoline_kernelINS0_14default_configENS1_27scan_by_key_config_selectorIiiEEZZNS1_16scan_by_key_implILNS1_25lookback_scan_determinismE0ELb0ES3_N6thrust23THRUST_200600_302600_NS16reverse_iteratorIPKiEESD_NSA_IPiEEiN6hipcub16HIPCUB_304000_NS3MaxENSH_8EqualityEiEE10hipError_tPvRmT2_T3_T4_T5_mT6_T7_P12ihipStream_tbENKUlT_T0_E_clISt17integral_constantIbLb0EES10_EEDaSV_SW_EUlSV_E_NS1_11comp_targetILNS1_3genE4ELNS1_11target_archE910ELNS1_3gpuE8ELNS1_3repE0EEENS1_30default_config_static_selectorELNS0_4arch9wavefront6targetE1EEEvT1_: ; @_ZN7rocprim17ROCPRIM_400000_NS6detail17trampoline_kernelINS0_14default_configENS1_27scan_by_key_config_selectorIiiEEZZNS1_16scan_by_key_implILNS1_25lookback_scan_determinismE0ELb0ES3_N6thrust23THRUST_200600_302600_NS16reverse_iteratorIPKiEESD_NSA_IPiEEiN6hipcub16HIPCUB_304000_NS3MaxENSH_8EqualityEiEE10hipError_tPvRmT2_T3_T4_T5_mT6_T7_P12ihipStream_tbENKUlT_T0_E_clISt17integral_constantIbLb0EES10_EEDaSV_SW_EUlSV_E_NS1_11comp_targetILNS1_3genE4ELNS1_11target_archE910ELNS1_3gpuE8ELNS1_3repE0EEENS1_30default_config_static_selectorELNS0_4arch9wavefront6targetE1EEEvT1_
; %bb.0:
	.section	.rodata,"a",@progbits
	.p2align	6, 0x0
	.amdhsa_kernel _ZN7rocprim17ROCPRIM_400000_NS6detail17trampoline_kernelINS0_14default_configENS1_27scan_by_key_config_selectorIiiEEZZNS1_16scan_by_key_implILNS1_25lookback_scan_determinismE0ELb0ES3_N6thrust23THRUST_200600_302600_NS16reverse_iteratorIPKiEESD_NSA_IPiEEiN6hipcub16HIPCUB_304000_NS3MaxENSH_8EqualityEiEE10hipError_tPvRmT2_T3_T4_T5_mT6_T7_P12ihipStream_tbENKUlT_T0_E_clISt17integral_constantIbLb0EES10_EEDaSV_SW_EUlSV_E_NS1_11comp_targetILNS1_3genE4ELNS1_11target_archE910ELNS1_3gpuE8ELNS1_3repE0EEENS1_30default_config_static_selectorELNS0_4arch9wavefront6targetE1EEEvT1_
		.amdhsa_group_segment_fixed_size 0
		.amdhsa_private_segment_fixed_size 0
		.amdhsa_kernarg_size 112
		.amdhsa_user_sgpr_count 2
		.amdhsa_user_sgpr_dispatch_ptr 0
		.amdhsa_user_sgpr_queue_ptr 0
		.amdhsa_user_sgpr_kernarg_segment_ptr 1
		.amdhsa_user_sgpr_dispatch_id 0
		.amdhsa_user_sgpr_kernarg_preload_length 0
		.amdhsa_user_sgpr_kernarg_preload_offset 0
		.amdhsa_user_sgpr_private_segment_size 0
		.amdhsa_uses_dynamic_stack 0
		.amdhsa_enable_private_segment 0
		.amdhsa_system_sgpr_workgroup_id_x 1
		.amdhsa_system_sgpr_workgroup_id_y 0
		.amdhsa_system_sgpr_workgroup_id_z 0
		.amdhsa_system_sgpr_workgroup_info 0
		.amdhsa_system_vgpr_workitem_id 0
		.amdhsa_next_free_vgpr 1
		.amdhsa_next_free_sgpr 0
		.amdhsa_accum_offset 4
		.amdhsa_reserve_vcc 0
		.amdhsa_float_round_mode_32 0
		.amdhsa_float_round_mode_16_64 0
		.amdhsa_float_denorm_mode_32 3
		.amdhsa_float_denorm_mode_16_64 3
		.amdhsa_dx10_clamp 1
		.amdhsa_ieee_mode 1
		.amdhsa_fp16_overflow 0
		.amdhsa_tg_split 0
		.amdhsa_exception_fp_ieee_invalid_op 0
		.amdhsa_exception_fp_denorm_src 0
		.amdhsa_exception_fp_ieee_div_zero 0
		.amdhsa_exception_fp_ieee_overflow 0
		.amdhsa_exception_fp_ieee_underflow 0
		.amdhsa_exception_fp_ieee_inexact 0
		.amdhsa_exception_int_div_zero 0
	.end_amdhsa_kernel
	.section	.text._ZN7rocprim17ROCPRIM_400000_NS6detail17trampoline_kernelINS0_14default_configENS1_27scan_by_key_config_selectorIiiEEZZNS1_16scan_by_key_implILNS1_25lookback_scan_determinismE0ELb0ES3_N6thrust23THRUST_200600_302600_NS16reverse_iteratorIPKiEESD_NSA_IPiEEiN6hipcub16HIPCUB_304000_NS3MaxENSH_8EqualityEiEE10hipError_tPvRmT2_T3_T4_T5_mT6_T7_P12ihipStream_tbENKUlT_T0_E_clISt17integral_constantIbLb0EES10_EEDaSV_SW_EUlSV_E_NS1_11comp_targetILNS1_3genE4ELNS1_11target_archE910ELNS1_3gpuE8ELNS1_3repE0EEENS1_30default_config_static_selectorELNS0_4arch9wavefront6targetE1EEEvT1_,"axG",@progbits,_ZN7rocprim17ROCPRIM_400000_NS6detail17trampoline_kernelINS0_14default_configENS1_27scan_by_key_config_selectorIiiEEZZNS1_16scan_by_key_implILNS1_25lookback_scan_determinismE0ELb0ES3_N6thrust23THRUST_200600_302600_NS16reverse_iteratorIPKiEESD_NSA_IPiEEiN6hipcub16HIPCUB_304000_NS3MaxENSH_8EqualityEiEE10hipError_tPvRmT2_T3_T4_T5_mT6_T7_P12ihipStream_tbENKUlT_T0_E_clISt17integral_constantIbLb0EES10_EEDaSV_SW_EUlSV_E_NS1_11comp_targetILNS1_3genE4ELNS1_11target_archE910ELNS1_3gpuE8ELNS1_3repE0EEENS1_30default_config_static_selectorELNS0_4arch9wavefront6targetE1EEEvT1_,comdat
.Lfunc_end56:
	.size	_ZN7rocprim17ROCPRIM_400000_NS6detail17trampoline_kernelINS0_14default_configENS1_27scan_by_key_config_selectorIiiEEZZNS1_16scan_by_key_implILNS1_25lookback_scan_determinismE0ELb0ES3_N6thrust23THRUST_200600_302600_NS16reverse_iteratorIPKiEESD_NSA_IPiEEiN6hipcub16HIPCUB_304000_NS3MaxENSH_8EqualityEiEE10hipError_tPvRmT2_T3_T4_T5_mT6_T7_P12ihipStream_tbENKUlT_T0_E_clISt17integral_constantIbLb0EES10_EEDaSV_SW_EUlSV_E_NS1_11comp_targetILNS1_3genE4ELNS1_11target_archE910ELNS1_3gpuE8ELNS1_3repE0EEENS1_30default_config_static_selectorELNS0_4arch9wavefront6targetE1EEEvT1_, .Lfunc_end56-_ZN7rocprim17ROCPRIM_400000_NS6detail17trampoline_kernelINS0_14default_configENS1_27scan_by_key_config_selectorIiiEEZZNS1_16scan_by_key_implILNS1_25lookback_scan_determinismE0ELb0ES3_N6thrust23THRUST_200600_302600_NS16reverse_iteratorIPKiEESD_NSA_IPiEEiN6hipcub16HIPCUB_304000_NS3MaxENSH_8EqualityEiEE10hipError_tPvRmT2_T3_T4_T5_mT6_T7_P12ihipStream_tbENKUlT_T0_E_clISt17integral_constantIbLb0EES10_EEDaSV_SW_EUlSV_E_NS1_11comp_targetILNS1_3genE4ELNS1_11target_archE910ELNS1_3gpuE8ELNS1_3repE0EEENS1_30default_config_static_selectorELNS0_4arch9wavefront6targetE1EEEvT1_
                                        ; -- End function
	.section	.AMDGPU.csdata,"",@progbits
; Kernel info:
; codeLenInByte = 0
; NumSgprs: 6
; NumVgprs: 0
; NumAgprs: 0
; TotalNumVgprs: 0
; ScratchSize: 0
; MemoryBound: 0
; FloatMode: 240
; IeeeMode: 1
; LDSByteSize: 0 bytes/workgroup (compile time only)
; SGPRBlocks: 0
; VGPRBlocks: 0
; NumSGPRsForWavesPerEU: 6
; NumVGPRsForWavesPerEU: 1
; AccumOffset: 4
; Occupancy: 8
; WaveLimiterHint : 0
; COMPUTE_PGM_RSRC2:SCRATCH_EN: 0
; COMPUTE_PGM_RSRC2:USER_SGPR: 2
; COMPUTE_PGM_RSRC2:TRAP_HANDLER: 0
; COMPUTE_PGM_RSRC2:TGID_X_EN: 1
; COMPUTE_PGM_RSRC2:TGID_Y_EN: 0
; COMPUTE_PGM_RSRC2:TGID_Z_EN: 0
; COMPUTE_PGM_RSRC2:TIDIG_COMP_CNT: 0
; COMPUTE_PGM_RSRC3_GFX90A:ACCUM_OFFSET: 0
; COMPUTE_PGM_RSRC3_GFX90A:TG_SPLIT: 0
	.section	.text._ZN7rocprim17ROCPRIM_400000_NS6detail17trampoline_kernelINS0_14default_configENS1_27scan_by_key_config_selectorIiiEEZZNS1_16scan_by_key_implILNS1_25lookback_scan_determinismE0ELb0ES3_N6thrust23THRUST_200600_302600_NS16reverse_iteratorIPKiEESD_NSA_IPiEEiN6hipcub16HIPCUB_304000_NS3MaxENSH_8EqualityEiEE10hipError_tPvRmT2_T3_T4_T5_mT6_T7_P12ihipStream_tbENKUlT_T0_E_clISt17integral_constantIbLb0EES10_EEDaSV_SW_EUlSV_E_NS1_11comp_targetILNS1_3genE3ELNS1_11target_archE908ELNS1_3gpuE7ELNS1_3repE0EEENS1_30default_config_static_selectorELNS0_4arch9wavefront6targetE1EEEvT1_,"axG",@progbits,_ZN7rocprim17ROCPRIM_400000_NS6detail17trampoline_kernelINS0_14default_configENS1_27scan_by_key_config_selectorIiiEEZZNS1_16scan_by_key_implILNS1_25lookback_scan_determinismE0ELb0ES3_N6thrust23THRUST_200600_302600_NS16reverse_iteratorIPKiEESD_NSA_IPiEEiN6hipcub16HIPCUB_304000_NS3MaxENSH_8EqualityEiEE10hipError_tPvRmT2_T3_T4_T5_mT6_T7_P12ihipStream_tbENKUlT_T0_E_clISt17integral_constantIbLb0EES10_EEDaSV_SW_EUlSV_E_NS1_11comp_targetILNS1_3genE3ELNS1_11target_archE908ELNS1_3gpuE7ELNS1_3repE0EEENS1_30default_config_static_selectorELNS0_4arch9wavefront6targetE1EEEvT1_,comdat
	.protected	_ZN7rocprim17ROCPRIM_400000_NS6detail17trampoline_kernelINS0_14default_configENS1_27scan_by_key_config_selectorIiiEEZZNS1_16scan_by_key_implILNS1_25lookback_scan_determinismE0ELb0ES3_N6thrust23THRUST_200600_302600_NS16reverse_iteratorIPKiEESD_NSA_IPiEEiN6hipcub16HIPCUB_304000_NS3MaxENSH_8EqualityEiEE10hipError_tPvRmT2_T3_T4_T5_mT6_T7_P12ihipStream_tbENKUlT_T0_E_clISt17integral_constantIbLb0EES10_EEDaSV_SW_EUlSV_E_NS1_11comp_targetILNS1_3genE3ELNS1_11target_archE908ELNS1_3gpuE7ELNS1_3repE0EEENS1_30default_config_static_selectorELNS0_4arch9wavefront6targetE1EEEvT1_ ; -- Begin function _ZN7rocprim17ROCPRIM_400000_NS6detail17trampoline_kernelINS0_14default_configENS1_27scan_by_key_config_selectorIiiEEZZNS1_16scan_by_key_implILNS1_25lookback_scan_determinismE0ELb0ES3_N6thrust23THRUST_200600_302600_NS16reverse_iteratorIPKiEESD_NSA_IPiEEiN6hipcub16HIPCUB_304000_NS3MaxENSH_8EqualityEiEE10hipError_tPvRmT2_T3_T4_T5_mT6_T7_P12ihipStream_tbENKUlT_T0_E_clISt17integral_constantIbLb0EES10_EEDaSV_SW_EUlSV_E_NS1_11comp_targetILNS1_3genE3ELNS1_11target_archE908ELNS1_3gpuE7ELNS1_3repE0EEENS1_30default_config_static_selectorELNS0_4arch9wavefront6targetE1EEEvT1_
	.globl	_ZN7rocprim17ROCPRIM_400000_NS6detail17trampoline_kernelINS0_14default_configENS1_27scan_by_key_config_selectorIiiEEZZNS1_16scan_by_key_implILNS1_25lookback_scan_determinismE0ELb0ES3_N6thrust23THRUST_200600_302600_NS16reverse_iteratorIPKiEESD_NSA_IPiEEiN6hipcub16HIPCUB_304000_NS3MaxENSH_8EqualityEiEE10hipError_tPvRmT2_T3_T4_T5_mT6_T7_P12ihipStream_tbENKUlT_T0_E_clISt17integral_constantIbLb0EES10_EEDaSV_SW_EUlSV_E_NS1_11comp_targetILNS1_3genE3ELNS1_11target_archE908ELNS1_3gpuE7ELNS1_3repE0EEENS1_30default_config_static_selectorELNS0_4arch9wavefront6targetE1EEEvT1_
	.p2align	8
	.type	_ZN7rocprim17ROCPRIM_400000_NS6detail17trampoline_kernelINS0_14default_configENS1_27scan_by_key_config_selectorIiiEEZZNS1_16scan_by_key_implILNS1_25lookback_scan_determinismE0ELb0ES3_N6thrust23THRUST_200600_302600_NS16reverse_iteratorIPKiEESD_NSA_IPiEEiN6hipcub16HIPCUB_304000_NS3MaxENSH_8EqualityEiEE10hipError_tPvRmT2_T3_T4_T5_mT6_T7_P12ihipStream_tbENKUlT_T0_E_clISt17integral_constantIbLb0EES10_EEDaSV_SW_EUlSV_E_NS1_11comp_targetILNS1_3genE3ELNS1_11target_archE908ELNS1_3gpuE7ELNS1_3repE0EEENS1_30default_config_static_selectorELNS0_4arch9wavefront6targetE1EEEvT1_,@function
_ZN7rocprim17ROCPRIM_400000_NS6detail17trampoline_kernelINS0_14default_configENS1_27scan_by_key_config_selectorIiiEEZZNS1_16scan_by_key_implILNS1_25lookback_scan_determinismE0ELb0ES3_N6thrust23THRUST_200600_302600_NS16reverse_iteratorIPKiEESD_NSA_IPiEEiN6hipcub16HIPCUB_304000_NS3MaxENSH_8EqualityEiEE10hipError_tPvRmT2_T3_T4_T5_mT6_T7_P12ihipStream_tbENKUlT_T0_E_clISt17integral_constantIbLb0EES10_EEDaSV_SW_EUlSV_E_NS1_11comp_targetILNS1_3genE3ELNS1_11target_archE908ELNS1_3gpuE7ELNS1_3repE0EEENS1_30default_config_static_selectorELNS0_4arch9wavefront6targetE1EEEvT1_: ; @_ZN7rocprim17ROCPRIM_400000_NS6detail17trampoline_kernelINS0_14default_configENS1_27scan_by_key_config_selectorIiiEEZZNS1_16scan_by_key_implILNS1_25lookback_scan_determinismE0ELb0ES3_N6thrust23THRUST_200600_302600_NS16reverse_iteratorIPKiEESD_NSA_IPiEEiN6hipcub16HIPCUB_304000_NS3MaxENSH_8EqualityEiEE10hipError_tPvRmT2_T3_T4_T5_mT6_T7_P12ihipStream_tbENKUlT_T0_E_clISt17integral_constantIbLb0EES10_EEDaSV_SW_EUlSV_E_NS1_11comp_targetILNS1_3genE3ELNS1_11target_archE908ELNS1_3gpuE7ELNS1_3repE0EEENS1_30default_config_static_selectorELNS0_4arch9wavefront6targetE1EEEvT1_
; %bb.0:
	.section	.rodata,"a",@progbits
	.p2align	6, 0x0
	.amdhsa_kernel _ZN7rocprim17ROCPRIM_400000_NS6detail17trampoline_kernelINS0_14default_configENS1_27scan_by_key_config_selectorIiiEEZZNS1_16scan_by_key_implILNS1_25lookback_scan_determinismE0ELb0ES3_N6thrust23THRUST_200600_302600_NS16reverse_iteratorIPKiEESD_NSA_IPiEEiN6hipcub16HIPCUB_304000_NS3MaxENSH_8EqualityEiEE10hipError_tPvRmT2_T3_T4_T5_mT6_T7_P12ihipStream_tbENKUlT_T0_E_clISt17integral_constantIbLb0EES10_EEDaSV_SW_EUlSV_E_NS1_11comp_targetILNS1_3genE3ELNS1_11target_archE908ELNS1_3gpuE7ELNS1_3repE0EEENS1_30default_config_static_selectorELNS0_4arch9wavefront6targetE1EEEvT1_
		.amdhsa_group_segment_fixed_size 0
		.amdhsa_private_segment_fixed_size 0
		.amdhsa_kernarg_size 112
		.amdhsa_user_sgpr_count 2
		.amdhsa_user_sgpr_dispatch_ptr 0
		.amdhsa_user_sgpr_queue_ptr 0
		.amdhsa_user_sgpr_kernarg_segment_ptr 1
		.amdhsa_user_sgpr_dispatch_id 0
		.amdhsa_user_sgpr_kernarg_preload_length 0
		.amdhsa_user_sgpr_kernarg_preload_offset 0
		.amdhsa_user_sgpr_private_segment_size 0
		.amdhsa_uses_dynamic_stack 0
		.amdhsa_enable_private_segment 0
		.amdhsa_system_sgpr_workgroup_id_x 1
		.amdhsa_system_sgpr_workgroup_id_y 0
		.amdhsa_system_sgpr_workgroup_id_z 0
		.amdhsa_system_sgpr_workgroup_info 0
		.amdhsa_system_vgpr_workitem_id 0
		.amdhsa_next_free_vgpr 1
		.amdhsa_next_free_sgpr 0
		.amdhsa_accum_offset 4
		.amdhsa_reserve_vcc 0
		.amdhsa_float_round_mode_32 0
		.amdhsa_float_round_mode_16_64 0
		.amdhsa_float_denorm_mode_32 3
		.amdhsa_float_denorm_mode_16_64 3
		.amdhsa_dx10_clamp 1
		.amdhsa_ieee_mode 1
		.amdhsa_fp16_overflow 0
		.amdhsa_tg_split 0
		.amdhsa_exception_fp_ieee_invalid_op 0
		.amdhsa_exception_fp_denorm_src 0
		.amdhsa_exception_fp_ieee_div_zero 0
		.amdhsa_exception_fp_ieee_overflow 0
		.amdhsa_exception_fp_ieee_underflow 0
		.amdhsa_exception_fp_ieee_inexact 0
		.amdhsa_exception_int_div_zero 0
	.end_amdhsa_kernel
	.section	.text._ZN7rocprim17ROCPRIM_400000_NS6detail17trampoline_kernelINS0_14default_configENS1_27scan_by_key_config_selectorIiiEEZZNS1_16scan_by_key_implILNS1_25lookback_scan_determinismE0ELb0ES3_N6thrust23THRUST_200600_302600_NS16reverse_iteratorIPKiEESD_NSA_IPiEEiN6hipcub16HIPCUB_304000_NS3MaxENSH_8EqualityEiEE10hipError_tPvRmT2_T3_T4_T5_mT6_T7_P12ihipStream_tbENKUlT_T0_E_clISt17integral_constantIbLb0EES10_EEDaSV_SW_EUlSV_E_NS1_11comp_targetILNS1_3genE3ELNS1_11target_archE908ELNS1_3gpuE7ELNS1_3repE0EEENS1_30default_config_static_selectorELNS0_4arch9wavefront6targetE1EEEvT1_,"axG",@progbits,_ZN7rocprim17ROCPRIM_400000_NS6detail17trampoline_kernelINS0_14default_configENS1_27scan_by_key_config_selectorIiiEEZZNS1_16scan_by_key_implILNS1_25lookback_scan_determinismE0ELb0ES3_N6thrust23THRUST_200600_302600_NS16reverse_iteratorIPKiEESD_NSA_IPiEEiN6hipcub16HIPCUB_304000_NS3MaxENSH_8EqualityEiEE10hipError_tPvRmT2_T3_T4_T5_mT6_T7_P12ihipStream_tbENKUlT_T0_E_clISt17integral_constantIbLb0EES10_EEDaSV_SW_EUlSV_E_NS1_11comp_targetILNS1_3genE3ELNS1_11target_archE908ELNS1_3gpuE7ELNS1_3repE0EEENS1_30default_config_static_selectorELNS0_4arch9wavefront6targetE1EEEvT1_,comdat
.Lfunc_end57:
	.size	_ZN7rocprim17ROCPRIM_400000_NS6detail17trampoline_kernelINS0_14default_configENS1_27scan_by_key_config_selectorIiiEEZZNS1_16scan_by_key_implILNS1_25lookback_scan_determinismE0ELb0ES3_N6thrust23THRUST_200600_302600_NS16reverse_iteratorIPKiEESD_NSA_IPiEEiN6hipcub16HIPCUB_304000_NS3MaxENSH_8EqualityEiEE10hipError_tPvRmT2_T3_T4_T5_mT6_T7_P12ihipStream_tbENKUlT_T0_E_clISt17integral_constantIbLb0EES10_EEDaSV_SW_EUlSV_E_NS1_11comp_targetILNS1_3genE3ELNS1_11target_archE908ELNS1_3gpuE7ELNS1_3repE0EEENS1_30default_config_static_selectorELNS0_4arch9wavefront6targetE1EEEvT1_, .Lfunc_end57-_ZN7rocprim17ROCPRIM_400000_NS6detail17trampoline_kernelINS0_14default_configENS1_27scan_by_key_config_selectorIiiEEZZNS1_16scan_by_key_implILNS1_25lookback_scan_determinismE0ELb0ES3_N6thrust23THRUST_200600_302600_NS16reverse_iteratorIPKiEESD_NSA_IPiEEiN6hipcub16HIPCUB_304000_NS3MaxENSH_8EqualityEiEE10hipError_tPvRmT2_T3_T4_T5_mT6_T7_P12ihipStream_tbENKUlT_T0_E_clISt17integral_constantIbLb0EES10_EEDaSV_SW_EUlSV_E_NS1_11comp_targetILNS1_3genE3ELNS1_11target_archE908ELNS1_3gpuE7ELNS1_3repE0EEENS1_30default_config_static_selectorELNS0_4arch9wavefront6targetE1EEEvT1_
                                        ; -- End function
	.section	.AMDGPU.csdata,"",@progbits
; Kernel info:
; codeLenInByte = 0
; NumSgprs: 6
; NumVgprs: 0
; NumAgprs: 0
; TotalNumVgprs: 0
; ScratchSize: 0
; MemoryBound: 0
; FloatMode: 240
; IeeeMode: 1
; LDSByteSize: 0 bytes/workgroup (compile time only)
; SGPRBlocks: 0
; VGPRBlocks: 0
; NumSGPRsForWavesPerEU: 6
; NumVGPRsForWavesPerEU: 1
; AccumOffset: 4
; Occupancy: 8
; WaveLimiterHint : 0
; COMPUTE_PGM_RSRC2:SCRATCH_EN: 0
; COMPUTE_PGM_RSRC2:USER_SGPR: 2
; COMPUTE_PGM_RSRC2:TRAP_HANDLER: 0
; COMPUTE_PGM_RSRC2:TGID_X_EN: 1
; COMPUTE_PGM_RSRC2:TGID_Y_EN: 0
; COMPUTE_PGM_RSRC2:TGID_Z_EN: 0
; COMPUTE_PGM_RSRC2:TIDIG_COMP_CNT: 0
; COMPUTE_PGM_RSRC3_GFX90A:ACCUM_OFFSET: 0
; COMPUTE_PGM_RSRC3_GFX90A:TG_SPLIT: 0
	.section	.text._ZN7rocprim17ROCPRIM_400000_NS6detail17trampoline_kernelINS0_14default_configENS1_27scan_by_key_config_selectorIiiEEZZNS1_16scan_by_key_implILNS1_25lookback_scan_determinismE0ELb0ES3_N6thrust23THRUST_200600_302600_NS16reverse_iteratorIPKiEESD_NSA_IPiEEiN6hipcub16HIPCUB_304000_NS3MaxENSH_8EqualityEiEE10hipError_tPvRmT2_T3_T4_T5_mT6_T7_P12ihipStream_tbENKUlT_T0_E_clISt17integral_constantIbLb0EES10_EEDaSV_SW_EUlSV_E_NS1_11comp_targetILNS1_3genE2ELNS1_11target_archE906ELNS1_3gpuE6ELNS1_3repE0EEENS1_30default_config_static_selectorELNS0_4arch9wavefront6targetE1EEEvT1_,"axG",@progbits,_ZN7rocprim17ROCPRIM_400000_NS6detail17trampoline_kernelINS0_14default_configENS1_27scan_by_key_config_selectorIiiEEZZNS1_16scan_by_key_implILNS1_25lookback_scan_determinismE0ELb0ES3_N6thrust23THRUST_200600_302600_NS16reverse_iteratorIPKiEESD_NSA_IPiEEiN6hipcub16HIPCUB_304000_NS3MaxENSH_8EqualityEiEE10hipError_tPvRmT2_T3_T4_T5_mT6_T7_P12ihipStream_tbENKUlT_T0_E_clISt17integral_constantIbLb0EES10_EEDaSV_SW_EUlSV_E_NS1_11comp_targetILNS1_3genE2ELNS1_11target_archE906ELNS1_3gpuE6ELNS1_3repE0EEENS1_30default_config_static_selectorELNS0_4arch9wavefront6targetE1EEEvT1_,comdat
	.protected	_ZN7rocprim17ROCPRIM_400000_NS6detail17trampoline_kernelINS0_14default_configENS1_27scan_by_key_config_selectorIiiEEZZNS1_16scan_by_key_implILNS1_25lookback_scan_determinismE0ELb0ES3_N6thrust23THRUST_200600_302600_NS16reverse_iteratorIPKiEESD_NSA_IPiEEiN6hipcub16HIPCUB_304000_NS3MaxENSH_8EqualityEiEE10hipError_tPvRmT2_T3_T4_T5_mT6_T7_P12ihipStream_tbENKUlT_T0_E_clISt17integral_constantIbLb0EES10_EEDaSV_SW_EUlSV_E_NS1_11comp_targetILNS1_3genE2ELNS1_11target_archE906ELNS1_3gpuE6ELNS1_3repE0EEENS1_30default_config_static_selectorELNS0_4arch9wavefront6targetE1EEEvT1_ ; -- Begin function _ZN7rocprim17ROCPRIM_400000_NS6detail17trampoline_kernelINS0_14default_configENS1_27scan_by_key_config_selectorIiiEEZZNS1_16scan_by_key_implILNS1_25lookback_scan_determinismE0ELb0ES3_N6thrust23THRUST_200600_302600_NS16reverse_iteratorIPKiEESD_NSA_IPiEEiN6hipcub16HIPCUB_304000_NS3MaxENSH_8EqualityEiEE10hipError_tPvRmT2_T3_T4_T5_mT6_T7_P12ihipStream_tbENKUlT_T0_E_clISt17integral_constantIbLb0EES10_EEDaSV_SW_EUlSV_E_NS1_11comp_targetILNS1_3genE2ELNS1_11target_archE906ELNS1_3gpuE6ELNS1_3repE0EEENS1_30default_config_static_selectorELNS0_4arch9wavefront6targetE1EEEvT1_
	.globl	_ZN7rocprim17ROCPRIM_400000_NS6detail17trampoline_kernelINS0_14default_configENS1_27scan_by_key_config_selectorIiiEEZZNS1_16scan_by_key_implILNS1_25lookback_scan_determinismE0ELb0ES3_N6thrust23THRUST_200600_302600_NS16reverse_iteratorIPKiEESD_NSA_IPiEEiN6hipcub16HIPCUB_304000_NS3MaxENSH_8EqualityEiEE10hipError_tPvRmT2_T3_T4_T5_mT6_T7_P12ihipStream_tbENKUlT_T0_E_clISt17integral_constantIbLb0EES10_EEDaSV_SW_EUlSV_E_NS1_11comp_targetILNS1_3genE2ELNS1_11target_archE906ELNS1_3gpuE6ELNS1_3repE0EEENS1_30default_config_static_selectorELNS0_4arch9wavefront6targetE1EEEvT1_
	.p2align	8
	.type	_ZN7rocprim17ROCPRIM_400000_NS6detail17trampoline_kernelINS0_14default_configENS1_27scan_by_key_config_selectorIiiEEZZNS1_16scan_by_key_implILNS1_25lookback_scan_determinismE0ELb0ES3_N6thrust23THRUST_200600_302600_NS16reverse_iteratorIPKiEESD_NSA_IPiEEiN6hipcub16HIPCUB_304000_NS3MaxENSH_8EqualityEiEE10hipError_tPvRmT2_T3_T4_T5_mT6_T7_P12ihipStream_tbENKUlT_T0_E_clISt17integral_constantIbLb0EES10_EEDaSV_SW_EUlSV_E_NS1_11comp_targetILNS1_3genE2ELNS1_11target_archE906ELNS1_3gpuE6ELNS1_3repE0EEENS1_30default_config_static_selectorELNS0_4arch9wavefront6targetE1EEEvT1_,@function
_ZN7rocprim17ROCPRIM_400000_NS6detail17trampoline_kernelINS0_14default_configENS1_27scan_by_key_config_selectorIiiEEZZNS1_16scan_by_key_implILNS1_25lookback_scan_determinismE0ELb0ES3_N6thrust23THRUST_200600_302600_NS16reverse_iteratorIPKiEESD_NSA_IPiEEiN6hipcub16HIPCUB_304000_NS3MaxENSH_8EqualityEiEE10hipError_tPvRmT2_T3_T4_T5_mT6_T7_P12ihipStream_tbENKUlT_T0_E_clISt17integral_constantIbLb0EES10_EEDaSV_SW_EUlSV_E_NS1_11comp_targetILNS1_3genE2ELNS1_11target_archE906ELNS1_3gpuE6ELNS1_3repE0EEENS1_30default_config_static_selectorELNS0_4arch9wavefront6targetE1EEEvT1_: ; @_ZN7rocprim17ROCPRIM_400000_NS6detail17trampoline_kernelINS0_14default_configENS1_27scan_by_key_config_selectorIiiEEZZNS1_16scan_by_key_implILNS1_25lookback_scan_determinismE0ELb0ES3_N6thrust23THRUST_200600_302600_NS16reverse_iteratorIPKiEESD_NSA_IPiEEiN6hipcub16HIPCUB_304000_NS3MaxENSH_8EqualityEiEE10hipError_tPvRmT2_T3_T4_T5_mT6_T7_P12ihipStream_tbENKUlT_T0_E_clISt17integral_constantIbLb0EES10_EEDaSV_SW_EUlSV_E_NS1_11comp_targetILNS1_3genE2ELNS1_11target_archE906ELNS1_3gpuE6ELNS1_3repE0EEENS1_30default_config_static_selectorELNS0_4arch9wavefront6targetE1EEEvT1_
; %bb.0:
	.section	.rodata,"a",@progbits
	.p2align	6, 0x0
	.amdhsa_kernel _ZN7rocprim17ROCPRIM_400000_NS6detail17trampoline_kernelINS0_14default_configENS1_27scan_by_key_config_selectorIiiEEZZNS1_16scan_by_key_implILNS1_25lookback_scan_determinismE0ELb0ES3_N6thrust23THRUST_200600_302600_NS16reverse_iteratorIPKiEESD_NSA_IPiEEiN6hipcub16HIPCUB_304000_NS3MaxENSH_8EqualityEiEE10hipError_tPvRmT2_T3_T4_T5_mT6_T7_P12ihipStream_tbENKUlT_T0_E_clISt17integral_constantIbLb0EES10_EEDaSV_SW_EUlSV_E_NS1_11comp_targetILNS1_3genE2ELNS1_11target_archE906ELNS1_3gpuE6ELNS1_3repE0EEENS1_30default_config_static_selectorELNS0_4arch9wavefront6targetE1EEEvT1_
		.amdhsa_group_segment_fixed_size 0
		.amdhsa_private_segment_fixed_size 0
		.amdhsa_kernarg_size 112
		.amdhsa_user_sgpr_count 2
		.amdhsa_user_sgpr_dispatch_ptr 0
		.amdhsa_user_sgpr_queue_ptr 0
		.amdhsa_user_sgpr_kernarg_segment_ptr 1
		.amdhsa_user_sgpr_dispatch_id 0
		.amdhsa_user_sgpr_kernarg_preload_length 0
		.amdhsa_user_sgpr_kernarg_preload_offset 0
		.amdhsa_user_sgpr_private_segment_size 0
		.amdhsa_uses_dynamic_stack 0
		.amdhsa_enable_private_segment 0
		.amdhsa_system_sgpr_workgroup_id_x 1
		.amdhsa_system_sgpr_workgroup_id_y 0
		.amdhsa_system_sgpr_workgroup_id_z 0
		.amdhsa_system_sgpr_workgroup_info 0
		.amdhsa_system_vgpr_workitem_id 0
		.amdhsa_next_free_vgpr 1
		.amdhsa_next_free_sgpr 0
		.amdhsa_accum_offset 4
		.amdhsa_reserve_vcc 0
		.amdhsa_float_round_mode_32 0
		.amdhsa_float_round_mode_16_64 0
		.amdhsa_float_denorm_mode_32 3
		.amdhsa_float_denorm_mode_16_64 3
		.amdhsa_dx10_clamp 1
		.amdhsa_ieee_mode 1
		.amdhsa_fp16_overflow 0
		.amdhsa_tg_split 0
		.amdhsa_exception_fp_ieee_invalid_op 0
		.amdhsa_exception_fp_denorm_src 0
		.amdhsa_exception_fp_ieee_div_zero 0
		.amdhsa_exception_fp_ieee_overflow 0
		.amdhsa_exception_fp_ieee_underflow 0
		.amdhsa_exception_fp_ieee_inexact 0
		.amdhsa_exception_int_div_zero 0
	.end_amdhsa_kernel
	.section	.text._ZN7rocprim17ROCPRIM_400000_NS6detail17trampoline_kernelINS0_14default_configENS1_27scan_by_key_config_selectorIiiEEZZNS1_16scan_by_key_implILNS1_25lookback_scan_determinismE0ELb0ES3_N6thrust23THRUST_200600_302600_NS16reverse_iteratorIPKiEESD_NSA_IPiEEiN6hipcub16HIPCUB_304000_NS3MaxENSH_8EqualityEiEE10hipError_tPvRmT2_T3_T4_T5_mT6_T7_P12ihipStream_tbENKUlT_T0_E_clISt17integral_constantIbLb0EES10_EEDaSV_SW_EUlSV_E_NS1_11comp_targetILNS1_3genE2ELNS1_11target_archE906ELNS1_3gpuE6ELNS1_3repE0EEENS1_30default_config_static_selectorELNS0_4arch9wavefront6targetE1EEEvT1_,"axG",@progbits,_ZN7rocprim17ROCPRIM_400000_NS6detail17trampoline_kernelINS0_14default_configENS1_27scan_by_key_config_selectorIiiEEZZNS1_16scan_by_key_implILNS1_25lookback_scan_determinismE0ELb0ES3_N6thrust23THRUST_200600_302600_NS16reverse_iteratorIPKiEESD_NSA_IPiEEiN6hipcub16HIPCUB_304000_NS3MaxENSH_8EqualityEiEE10hipError_tPvRmT2_T3_T4_T5_mT6_T7_P12ihipStream_tbENKUlT_T0_E_clISt17integral_constantIbLb0EES10_EEDaSV_SW_EUlSV_E_NS1_11comp_targetILNS1_3genE2ELNS1_11target_archE906ELNS1_3gpuE6ELNS1_3repE0EEENS1_30default_config_static_selectorELNS0_4arch9wavefront6targetE1EEEvT1_,comdat
.Lfunc_end58:
	.size	_ZN7rocprim17ROCPRIM_400000_NS6detail17trampoline_kernelINS0_14default_configENS1_27scan_by_key_config_selectorIiiEEZZNS1_16scan_by_key_implILNS1_25lookback_scan_determinismE0ELb0ES3_N6thrust23THRUST_200600_302600_NS16reverse_iteratorIPKiEESD_NSA_IPiEEiN6hipcub16HIPCUB_304000_NS3MaxENSH_8EqualityEiEE10hipError_tPvRmT2_T3_T4_T5_mT6_T7_P12ihipStream_tbENKUlT_T0_E_clISt17integral_constantIbLb0EES10_EEDaSV_SW_EUlSV_E_NS1_11comp_targetILNS1_3genE2ELNS1_11target_archE906ELNS1_3gpuE6ELNS1_3repE0EEENS1_30default_config_static_selectorELNS0_4arch9wavefront6targetE1EEEvT1_, .Lfunc_end58-_ZN7rocprim17ROCPRIM_400000_NS6detail17trampoline_kernelINS0_14default_configENS1_27scan_by_key_config_selectorIiiEEZZNS1_16scan_by_key_implILNS1_25lookback_scan_determinismE0ELb0ES3_N6thrust23THRUST_200600_302600_NS16reverse_iteratorIPKiEESD_NSA_IPiEEiN6hipcub16HIPCUB_304000_NS3MaxENSH_8EqualityEiEE10hipError_tPvRmT2_T3_T4_T5_mT6_T7_P12ihipStream_tbENKUlT_T0_E_clISt17integral_constantIbLb0EES10_EEDaSV_SW_EUlSV_E_NS1_11comp_targetILNS1_3genE2ELNS1_11target_archE906ELNS1_3gpuE6ELNS1_3repE0EEENS1_30default_config_static_selectorELNS0_4arch9wavefront6targetE1EEEvT1_
                                        ; -- End function
	.section	.AMDGPU.csdata,"",@progbits
; Kernel info:
; codeLenInByte = 0
; NumSgprs: 6
; NumVgprs: 0
; NumAgprs: 0
; TotalNumVgprs: 0
; ScratchSize: 0
; MemoryBound: 0
; FloatMode: 240
; IeeeMode: 1
; LDSByteSize: 0 bytes/workgroup (compile time only)
; SGPRBlocks: 0
; VGPRBlocks: 0
; NumSGPRsForWavesPerEU: 6
; NumVGPRsForWavesPerEU: 1
; AccumOffset: 4
; Occupancy: 8
; WaveLimiterHint : 0
; COMPUTE_PGM_RSRC2:SCRATCH_EN: 0
; COMPUTE_PGM_RSRC2:USER_SGPR: 2
; COMPUTE_PGM_RSRC2:TRAP_HANDLER: 0
; COMPUTE_PGM_RSRC2:TGID_X_EN: 1
; COMPUTE_PGM_RSRC2:TGID_Y_EN: 0
; COMPUTE_PGM_RSRC2:TGID_Z_EN: 0
; COMPUTE_PGM_RSRC2:TIDIG_COMP_CNT: 0
; COMPUTE_PGM_RSRC3_GFX90A:ACCUM_OFFSET: 0
; COMPUTE_PGM_RSRC3_GFX90A:TG_SPLIT: 0
	.section	.text._ZN7rocprim17ROCPRIM_400000_NS6detail17trampoline_kernelINS0_14default_configENS1_27scan_by_key_config_selectorIiiEEZZNS1_16scan_by_key_implILNS1_25lookback_scan_determinismE0ELb0ES3_N6thrust23THRUST_200600_302600_NS16reverse_iteratorIPKiEESD_NSA_IPiEEiN6hipcub16HIPCUB_304000_NS3MaxENSH_8EqualityEiEE10hipError_tPvRmT2_T3_T4_T5_mT6_T7_P12ihipStream_tbENKUlT_T0_E_clISt17integral_constantIbLb0EES10_EEDaSV_SW_EUlSV_E_NS1_11comp_targetILNS1_3genE10ELNS1_11target_archE1200ELNS1_3gpuE4ELNS1_3repE0EEENS1_30default_config_static_selectorELNS0_4arch9wavefront6targetE1EEEvT1_,"axG",@progbits,_ZN7rocprim17ROCPRIM_400000_NS6detail17trampoline_kernelINS0_14default_configENS1_27scan_by_key_config_selectorIiiEEZZNS1_16scan_by_key_implILNS1_25lookback_scan_determinismE0ELb0ES3_N6thrust23THRUST_200600_302600_NS16reverse_iteratorIPKiEESD_NSA_IPiEEiN6hipcub16HIPCUB_304000_NS3MaxENSH_8EqualityEiEE10hipError_tPvRmT2_T3_T4_T5_mT6_T7_P12ihipStream_tbENKUlT_T0_E_clISt17integral_constantIbLb0EES10_EEDaSV_SW_EUlSV_E_NS1_11comp_targetILNS1_3genE10ELNS1_11target_archE1200ELNS1_3gpuE4ELNS1_3repE0EEENS1_30default_config_static_selectorELNS0_4arch9wavefront6targetE1EEEvT1_,comdat
	.protected	_ZN7rocprim17ROCPRIM_400000_NS6detail17trampoline_kernelINS0_14default_configENS1_27scan_by_key_config_selectorIiiEEZZNS1_16scan_by_key_implILNS1_25lookback_scan_determinismE0ELb0ES3_N6thrust23THRUST_200600_302600_NS16reverse_iteratorIPKiEESD_NSA_IPiEEiN6hipcub16HIPCUB_304000_NS3MaxENSH_8EqualityEiEE10hipError_tPvRmT2_T3_T4_T5_mT6_T7_P12ihipStream_tbENKUlT_T0_E_clISt17integral_constantIbLb0EES10_EEDaSV_SW_EUlSV_E_NS1_11comp_targetILNS1_3genE10ELNS1_11target_archE1200ELNS1_3gpuE4ELNS1_3repE0EEENS1_30default_config_static_selectorELNS0_4arch9wavefront6targetE1EEEvT1_ ; -- Begin function _ZN7rocprim17ROCPRIM_400000_NS6detail17trampoline_kernelINS0_14default_configENS1_27scan_by_key_config_selectorIiiEEZZNS1_16scan_by_key_implILNS1_25lookback_scan_determinismE0ELb0ES3_N6thrust23THRUST_200600_302600_NS16reverse_iteratorIPKiEESD_NSA_IPiEEiN6hipcub16HIPCUB_304000_NS3MaxENSH_8EqualityEiEE10hipError_tPvRmT2_T3_T4_T5_mT6_T7_P12ihipStream_tbENKUlT_T0_E_clISt17integral_constantIbLb0EES10_EEDaSV_SW_EUlSV_E_NS1_11comp_targetILNS1_3genE10ELNS1_11target_archE1200ELNS1_3gpuE4ELNS1_3repE0EEENS1_30default_config_static_selectorELNS0_4arch9wavefront6targetE1EEEvT1_
	.globl	_ZN7rocprim17ROCPRIM_400000_NS6detail17trampoline_kernelINS0_14default_configENS1_27scan_by_key_config_selectorIiiEEZZNS1_16scan_by_key_implILNS1_25lookback_scan_determinismE0ELb0ES3_N6thrust23THRUST_200600_302600_NS16reverse_iteratorIPKiEESD_NSA_IPiEEiN6hipcub16HIPCUB_304000_NS3MaxENSH_8EqualityEiEE10hipError_tPvRmT2_T3_T4_T5_mT6_T7_P12ihipStream_tbENKUlT_T0_E_clISt17integral_constantIbLb0EES10_EEDaSV_SW_EUlSV_E_NS1_11comp_targetILNS1_3genE10ELNS1_11target_archE1200ELNS1_3gpuE4ELNS1_3repE0EEENS1_30default_config_static_selectorELNS0_4arch9wavefront6targetE1EEEvT1_
	.p2align	8
	.type	_ZN7rocprim17ROCPRIM_400000_NS6detail17trampoline_kernelINS0_14default_configENS1_27scan_by_key_config_selectorIiiEEZZNS1_16scan_by_key_implILNS1_25lookback_scan_determinismE0ELb0ES3_N6thrust23THRUST_200600_302600_NS16reverse_iteratorIPKiEESD_NSA_IPiEEiN6hipcub16HIPCUB_304000_NS3MaxENSH_8EqualityEiEE10hipError_tPvRmT2_T3_T4_T5_mT6_T7_P12ihipStream_tbENKUlT_T0_E_clISt17integral_constantIbLb0EES10_EEDaSV_SW_EUlSV_E_NS1_11comp_targetILNS1_3genE10ELNS1_11target_archE1200ELNS1_3gpuE4ELNS1_3repE0EEENS1_30default_config_static_selectorELNS0_4arch9wavefront6targetE1EEEvT1_,@function
_ZN7rocprim17ROCPRIM_400000_NS6detail17trampoline_kernelINS0_14default_configENS1_27scan_by_key_config_selectorIiiEEZZNS1_16scan_by_key_implILNS1_25lookback_scan_determinismE0ELb0ES3_N6thrust23THRUST_200600_302600_NS16reverse_iteratorIPKiEESD_NSA_IPiEEiN6hipcub16HIPCUB_304000_NS3MaxENSH_8EqualityEiEE10hipError_tPvRmT2_T3_T4_T5_mT6_T7_P12ihipStream_tbENKUlT_T0_E_clISt17integral_constantIbLb0EES10_EEDaSV_SW_EUlSV_E_NS1_11comp_targetILNS1_3genE10ELNS1_11target_archE1200ELNS1_3gpuE4ELNS1_3repE0EEENS1_30default_config_static_selectorELNS0_4arch9wavefront6targetE1EEEvT1_: ; @_ZN7rocprim17ROCPRIM_400000_NS6detail17trampoline_kernelINS0_14default_configENS1_27scan_by_key_config_selectorIiiEEZZNS1_16scan_by_key_implILNS1_25lookback_scan_determinismE0ELb0ES3_N6thrust23THRUST_200600_302600_NS16reverse_iteratorIPKiEESD_NSA_IPiEEiN6hipcub16HIPCUB_304000_NS3MaxENSH_8EqualityEiEE10hipError_tPvRmT2_T3_T4_T5_mT6_T7_P12ihipStream_tbENKUlT_T0_E_clISt17integral_constantIbLb0EES10_EEDaSV_SW_EUlSV_E_NS1_11comp_targetILNS1_3genE10ELNS1_11target_archE1200ELNS1_3gpuE4ELNS1_3repE0EEENS1_30default_config_static_selectorELNS0_4arch9wavefront6targetE1EEEvT1_
; %bb.0:
	.section	.rodata,"a",@progbits
	.p2align	6, 0x0
	.amdhsa_kernel _ZN7rocprim17ROCPRIM_400000_NS6detail17trampoline_kernelINS0_14default_configENS1_27scan_by_key_config_selectorIiiEEZZNS1_16scan_by_key_implILNS1_25lookback_scan_determinismE0ELb0ES3_N6thrust23THRUST_200600_302600_NS16reverse_iteratorIPKiEESD_NSA_IPiEEiN6hipcub16HIPCUB_304000_NS3MaxENSH_8EqualityEiEE10hipError_tPvRmT2_T3_T4_T5_mT6_T7_P12ihipStream_tbENKUlT_T0_E_clISt17integral_constantIbLb0EES10_EEDaSV_SW_EUlSV_E_NS1_11comp_targetILNS1_3genE10ELNS1_11target_archE1200ELNS1_3gpuE4ELNS1_3repE0EEENS1_30default_config_static_selectorELNS0_4arch9wavefront6targetE1EEEvT1_
		.amdhsa_group_segment_fixed_size 0
		.amdhsa_private_segment_fixed_size 0
		.amdhsa_kernarg_size 112
		.amdhsa_user_sgpr_count 2
		.amdhsa_user_sgpr_dispatch_ptr 0
		.amdhsa_user_sgpr_queue_ptr 0
		.amdhsa_user_sgpr_kernarg_segment_ptr 1
		.amdhsa_user_sgpr_dispatch_id 0
		.amdhsa_user_sgpr_kernarg_preload_length 0
		.amdhsa_user_sgpr_kernarg_preload_offset 0
		.amdhsa_user_sgpr_private_segment_size 0
		.amdhsa_uses_dynamic_stack 0
		.amdhsa_enable_private_segment 0
		.amdhsa_system_sgpr_workgroup_id_x 1
		.amdhsa_system_sgpr_workgroup_id_y 0
		.amdhsa_system_sgpr_workgroup_id_z 0
		.amdhsa_system_sgpr_workgroup_info 0
		.amdhsa_system_vgpr_workitem_id 0
		.amdhsa_next_free_vgpr 1
		.amdhsa_next_free_sgpr 0
		.amdhsa_accum_offset 4
		.amdhsa_reserve_vcc 0
		.amdhsa_float_round_mode_32 0
		.amdhsa_float_round_mode_16_64 0
		.amdhsa_float_denorm_mode_32 3
		.amdhsa_float_denorm_mode_16_64 3
		.amdhsa_dx10_clamp 1
		.amdhsa_ieee_mode 1
		.amdhsa_fp16_overflow 0
		.amdhsa_tg_split 0
		.amdhsa_exception_fp_ieee_invalid_op 0
		.amdhsa_exception_fp_denorm_src 0
		.amdhsa_exception_fp_ieee_div_zero 0
		.amdhsa_exception_fp_ieee_overflow 0
		.amdhsa_exception_fp_ieee_underflow 0
		.amdhsa_exception_fp_ieee_inexact 0
		.amdhsa_exception_int_div_zero 0
	.end_amdhsa_kernel
	.section	.text._ZN7rocprim17ROCPRIM_400000_NS6detail17trampoline_kernelINS0_14default_configENS1_27scan_by_key_config_selectorIiiEEZZNS1_16scan_by_key_implILNS1_25lookback_scan_determinismE0ELb0ES3_N6thrust23THRUST_200600_302600_NS16reverse_iteratorIPKiEESD_NSA_IPiEEiN6hipcub16HIPCUB_304000_NS3MaxENSH_8EqualityEiEE10hipError_tPvRmT2_T3_T4_T5_mT6_T7_P12ihipStream_tbENKUlT_T0_E_clISt17integral_constantIbLb0EES10_EEDaSV_SW_EUlSV_E_NS1_11comp_targetILNS1_3genE10ELNS1_11target_archE1200ELNS1_3gpuE4ELNS1_3repE0EEENS1_30default_config_static_selectorELNS0_4arch9wavefront6targetE1EEEvT1_,"axG",@progbits,_ZN7rocprim17ROCPRIM_400000_NS6detail17trampoline_kernelINS0_14default_configENS1_27scan_by_key_config_selectorIiiEEZZNS1_16scan_by_key_implILNS1_25lookback_scan_determinismE0ELb0ES3_N6thrust23THRUST_200600_302600_NS16reverse_iteratorIPKiEESD_NSA_IPiEEiN6hipcub16HIPCUB_304000_NS3MaxENSH_8EqualityEiEE10hipError_tPvRmT2_T3_T4_T5_mT6_T7_P12ihipStream_tbENKUlT_T0_E_clISt17integral_constantIbLb0EES10_EEDaSV_SW_EUlSV_E_NS1_11comp_targetILNS1_3genE10ELNS1_11target_archE1200ELNS1_3gpuE4ELNS1_3repE0EEENS1_30default_config_static_selectorELNS0_4arch9wavefront6targetE1EEEvT1_,comdat
.Lfunc_end59:
	.size	_ZN7rocprim17ROCPRIM_400000_NS6detail17trampoline_kernelINS0_14default_configENS1_27scan_by_key_config_selectorIiiEEZZNS1_16scan_by_key_implILNS1_25lookback_scan_determinismE0ELb0ES3_N6thrust23THRUST_200600_302600_NS16reverse_iteratorIPKiEESD_NSA_IPiEEiN6hipcub16HIPCUB_304000_NS3MaxENSH_8EqualityEiEE10hipError_tPvRmT2_T3_T4_T5_mT6_T7_P12ihipStream_tbENKUlT_T0_E_clISt17integral_constantIbLb0EES10_EEDaSV_SW_EUlSV_E_NS1_11comp_targetILNS1_3genE10ELNS1_11target_archE1200ELNS1_3gpuE4ELNS1_3repE0EEENS1_30default_config_static_selectorELNS0_4arch9wavefront6targetE1EEEvT1_, .Lfunc_end59-_ZN7rocprim17ROCPRIM_400000_NS6detail17trampoline_kernelINS0_14default_configENS1_27scan_by_key_config_selectorIiiEEZZNS1_16scan_by_key_implILNS1_25lookback_scan_determinismE0ELb0ES3_N6thrust23THRUST_200600_302600_NS16reverse_iteratorIPKiEESD_NSA_IPiEEiN6hipcub16HIPCUB_304000_NS3MaxENSH_8EqualityEiEE10hipError_tPvRmT2_T3_T4_T5_mT6_T7_P12ihipStream_tbENKUlT_T0_E_clISt17integral_constantIbLb0EES10_EEDaSV_SW_EUlSV_E_NS1_11comp_targetILNS1_3genE10ELNS1_11target_archE1200ELNS1_3gpuE4ELNS1_3repE0EEENS1_30default_config_static_selectorELNS0_4arch9wavefront6targetE1EEEvT1_
                                        ; -- End function
	.section	.AMDGPU.csdata,"",@progbits
; Kernel info:
; codeLenInByte = 0
; NumSgprs: 6
; NumVgprs: 0
; NumAgprs: 0
; TotalNumVgprs: 0
; ScratchSize: 0
; MemoryBound: 0
; FloatMode: 240
; IeeeMode: 1
; LDSByteSize: 0 bytes/workgroup (compile time only)
; SGPRBlocks: 0
; VGPRBlocks: 0
; NumSGPRsForWavesPerEU: 6
; NumVGPRsForWavesPerEU: 1
; AccumOffset: 4
; Occupancy: 8
; WaveLimiterHint : 0
; COMPUTE_PGM_RSRC2:SCRATCH_EN: 0
; COMPUTE_PGM_RSRC2:USER_SGPR: 2
; COMPUTE_PGM_RSRC2:TRAP_HANDLER: 0
; COMPUTE_PGM_RSRC2:TGID_X_EN: 1
; COMPUTE_PGM_RSRC2:TGID_Y_EN: 0
; COMPUTE_PGM_RSRC2:TGID_Z_EN: 0
; COMPUTE_PGM_RSRC2:TIDIG_COMP_CNT: 0
; COMPUTE_PGM_RSRC3_GFX90A:ACCUM_OFFSET: 0
; COMPUTE_PGM_RSRC3_GFX90A:TG_SPLIT: 0
	.section	.text._ZN7rocprim17ROCPRIM_400000_NS6detail17trampoline_kernelINS0_14default_configENS1_27scan_by_key_config_selectorIiiEEZZNS1_16scan_by_key_implILNS1_25lookback_scan_determinismE0ELb0ES3_N6thrust23THRUST_200600_302600_NS16reverse_iteratorIPKiEESD_NSA_IPiEEiN6hipcub16HIPCUB_304000_NS3MaxENSH_8EqualityEiEE10hipError_tPvRmT2_T3_T4_T5_mT6_T7_P12ihipStream_tbENKUlT_T0_E_clISt17integral_constantIbLb0EES10_EEDaSV_SW_EUlSV_E_NS1_11comp_targetILNS1_3genE9ELNS1_11target_archE1100ELNS1_3gpuE3ELNS1_3repE0EEENS1_30default_config_static_selectorELNS0_4arch9wavefront6targetE1EEEvT1_,"axG",@progbits,_ZN7rocprim17ROCPRIM_400000_NS6detail17trampoline_kernelINS0_14default_configENS1_27scan_by_key_config_selectorIiiEEZZNS1_16scan_by_key_implILNS1_25lookback_scan_determinismE0ELb0ES3_N6thrust23THRUST_200600_302600_NS16reverse_iteratorIPKiEESD_NSA_IPiEEiN6hipcub16HIPCUB_304000_NS3MaxENSH_8EqualityEiEE10hipError_tPvRmT2_T3_T4_T5_mT6_T7_P12ihipStream_tbENKUlT_T0_E_clISt17integral_constantIbLb0EES10_EEDaSV_SW_EUlSV_E_NS1_11comp_targetILNS1_3genE9ELNS1_11target_archE1100ELNS1_3gpuE3ELNS1_3repE0EEENS1_30default_config_static_selectorELNS0_4arch9wavefront6targetE1EEEvT1_,comdat
	.protected	_ZN7rocprim17ROCPRIM_400000_NS6detail17trampoline_kernelINS0_14default_configENS1_27scan_by_key_config_selectorIiiEEZZNS1_16scan_by_key_implILNS1_25lookback_scan_determinismE0ELb0ES3_N6thrust23THRUST_200600_302600_NS16reverse_iteratorIPKiEESD_NSA_IPiEEiN6hipcub16HIPCUB_304000_NS3MaxENSH_8EqualityEiEE10hipError_tPvRmT2_T3_T4_T5_mT6_T7_P12ihipStream_tbENKUlT_T0_E_clISt17integral_constantIbLb0EES10_EEDaSV_SW_EUlSV_E_NS1_11comp_targetILNS1_3genE9ELNS1_11target_archE1100ELNS1_3gpuE3ELNS1_3repE0EEENS1_30default_config_static_selectorELNS0_4arch9wavefront6targetE1EEEvT1_ ; -- Begin function _ZN7rocprim17ROCPRIM_400000_NS6detail17trampoline_kernelINS0_14default_configENS1_27scan_by_key_config_selectorIiiEEZZNS1_16scan_by_key_implILNS1_25lookback_scan_determinismE0ELb0ES3_N6thrust23THRUST_200600_302600_NS16reverse_iteratorIPKiEESD_NSA_IPiEEiN6hipcub16HIPCUB_304000_NS3MaxENSH_8EqualityEiEE10hipError_tPvRmT2_T3_T4_T5_mT6_T7_P12ihipStream_tbENKUlT_T0_E_clISt17integral_constantIbLb0EES10_EEDaSV_SW_EUlSV_E_NS1_11comp_targetILNS1_3genE9ELNS1_11target_archE1100ELNS1_3gpuE3ELNS1_3repE0EEENS1_30default_config_static_selectorELNS0_4arch9wavefront6targetE1EEEvT1_
	.globl	_ZN7rocprim17ROCPRIM_400000_NS6detail17trampoline_kernelINS0_14default_configENS1_27scan_by_key_config_selectorIiiEEZZNS1_16scan_by_key_implILNS1_25lookback_scan_determinismE0ELb0ES3_N6thrust23THRUST_200600_302600_NS16reverse_iteratorIPKiEESD_NSA_IPiEEiN6hipcub16HIPCUB_304000_NS3MaxENSH_8EqualityEiEE10hipError_tPvRmT2_T3_T4_T5_mT6_T7_P12ihipStream_tbENKUlT_T0_E_clISt17integral_constantIbLb0EES10_EEDaSV_SW_EUlSV_E_NS1_11comp_targetILNS1_3genE9ELNS1_11target_archE1100ELNS1_3gpuE3ELNS1_3repE0EEENS1_30default_config_static_selectorELNS0_4arch9wavefront6targetE1EEEvT1_
	.p2align	8
	.type	_ZN7rocprim17ROCPRIM_400000_NS6detail17trampoline_kernelINS0_14default_configENS1_27scan_by_key_config_selectorIiiEEZZNS1_16scan_by_key_implILNS1_25lookback_scan_determinismE0ELb0ES3_N6thrust23THRUST_200600_302600_NS16reverse_iteratorIPKiEESD_NSA_IPiEEiN6hipcub16HIPCUB_304000_NS3MaxENSH_8EqualityEiEE10hipError_tPvRmT2_T3_T4_T5_mT6_T7_P12ihipStream_tbENKUlT_T0_E_clISt17integral_constantIbLb0EES10_EEDaSV_SW_EUlSV_E_NS1_11comp_targetILNS1_3genE9ELNS1_11target_archE1100ELNS1_3gpuE3ELNS1_3repE0EEENS1_30default_config_static_selectorELNS0_4arch9wavefront6targetE1EEEvT1_,@function
_ZN7rocprim17ROCPRIM_400000_NS6detail17trampoline_kernelINS0_14default_configENS1_27scan_by_key_config_selectorIiiEEZZNS1_16scan_by_key_implILNS1_25lookback_scan_determinismE0ELb0ES3_N6thrust23THRUST_200600_302600_NS16reverse_iteratorIPKiEESD_NSA_IPiEEiN6hipcub16HIPCUB_304000_NS3MaxENSH_8EqualityEiEE10hipError_tPvRmT2_T3_T4_T5_mT6_T7_P12ihipStream_tbENKUlT_T0_E_clISt17integral_constantIbLb0EES10_EEDaSV_SW_EUlSV_E_NS1_11comp_targetILNS1_3genE9ELNS1_11target_archE1100ELNS1_3gpuE3ELNS1_3repE0EEENS1_30default_config_static_selectorELNS0_4arch9wavefront6targetE1EEEvT1_: ; @_ZN7rocprim17ROCPRIM_400000_NS6detail17trampoline_kernelINS0_14default_configENS1_27scan_by_key_config_selectorIiiEEZZNS1_16scan_by_key_implILNS1_25lookback_scan_determinismE0ELb0ES3_N6thrust23THRUST_200600_302600_NS16reverse_iteratorIPKiEESD_NSA_IPiEEiN6hipcub16HIPCUB_304000_NS3MaxENSH_8EqualityEiEE10hipError_tPvRmT2_T3_T4_T5_mT6_T7_P12ihipStream_tbENKUlT_T0_E_clISt17integral_constantIbLb0EES10_EEDaSV_SW_EUlSV_E_NS1_11comp_targetILNS1_3genE9ELNS1_11target_archE1100ELNS1_3gpuE3ELNS1_3repE0EEENS1_30default_config_static_selectorELNS0_4arch9wavefront6targetE1EEEvT1_
; %bb.0:
	.section	.rodata,"a",@progbits
	.p2align	6, 0x0
	.amdhsa_kernel _ZN7rocprim17ROCPRIM_400000_NS6detail17trampoline_kernelINS0_14default_configENS1_27scan_by_key_config_selectorIiiEEZZNS1_16scan_by_key_implILNS1_25lookback_scan_determinismE0ELb0ES3_N6thrust23THRUST_200600_302600_NS16reverse_iteratorIPKiEESD_NSA_IPiEEiN6hipcub16HIPCUB_304000_NS3MaxENSH_8EqualityEiEE10hipError_tPvRmT2_T3_T4_T5_mT6_T7_P12ihipStream_tbENKUlT_T0_E_clISt17integral_constantIbLb0EES10_EEDaSV_SW_EUlSV_E_NS1_11comp_targetILNS1_3genE9ELNS1_11target_archE1100ELNS1_3gpuE3ELNS1_3repE0EEENS1_30default_config_static_selectorELNS0_4arch9wavefront6targetE1EEEvT1_
		.amdhsa_group_segment_fixed_size 0
		.amdhsa_private_segment_fixed_size 0
		.amdhsa_kernarg_size 112
		.amdhsa_user_sgpr_count 2
		.amdhsa_user_sgpr_dispatch_ptr 0
		.amdhsa_user_sgpr_queue_ptr 0
		.amdhsa_user_sgpr_kernarg_segment_ptr 1
		.amdhsa_user_sgpr_dispatch_id 0
		.amdhsa_user_sgpr_kernarg_preload_length 0
		.amdhsa_user_sgpr_kernarg_preload_offset 0
		.amdhsa_user_sgpr_private_segment_size 0
		.amdhsa_uses_dynamic_stack 0
		.amdhsa_enable_private_segment 0
		.amdhsa_system_sgpr_workgroup_id_x 1
		.amdhsa_system_sgpr_workgroup_id_y 0
		.amdhsa_system_sgpr_workgroup_id_z 0
		.amdhsa_system_sgpr_workgroup_info 0
		.amdhsa_system_vgpr_workitem_id 0
		.amdhsa_next_free_vgpr 1
		.amdhsa_next_free_sgpr 0
		.amdhsa_accum_offset 4
		.amdhsa_reserve_vcc 0
		.amdhsa_float_round_mode_32 0
		.amdhsa_float_round_mode_16_64 0
		.amdhsa_float_denorm_mode_32 3
		.amdhsa_float_denorm_mode_16_64 3
		.amdhsa_dx10_clamp 1
		.amdhsa_ieee_mode 1
		.amdhsa_fp16_overflow 0
		.amdhsa_tg_split 0
		.amdhsa_exception_fp_ieee_invalid_op 0
		.amdhsa_exception_fp_denorm_src 0
		.amdhsa_exception_fp_ieee_div_zero 0
		.amdhsa_exception_fp_ieee_overflow 0
		.amdhsa_exception_fp_ieee_underflow 0
		.amdhsa_exception_fp_ieee_inexact 0
		.amdhsa_exception_int_div_zero 0
	.end_amdhsa_kernel
	.section	.text._ZN7rocprim17ROCPRIM_400000_NS6detail17trampoline_kernelINS0_14default_configENS1_27scan_by_key_config_selectorIiiEEZZNS1_16scan_by_key_implILNS1_25lookback_scan_determinismE0ELb0ES3_N6thrust23THRUST_200600_302600_NS16reverse_iteratorIPKiEESD_NSA_IPiEEiN6hipcub16HIPCUB_304000_NS3MaxENSH_8EqualityEiEE10hipError_tPvRmT2_T3_T4_T5_mT6_T7_P12ihipStream_tbENKUlT_T0_E_clISt17integral_constantIbLb0EES10_EEDaSV_SW_EUlSV_E_NS1_11comp_targetILNS1_3genE9ELNS1_11target_archE1100ELNS1_3gpuE3ELNS1_3repE0EEENS1_30default_config_static_selectorELNS0_4arch9wavefront6targetE1EEEvT1_,"axG",@progbits,_ZN7rocprim17ROCPRIM_400000_NS6detail17trampoline_kernelINS0_14default_configENS1_27scan_by_key_config_selectorIiiEEZZNS1_16scan_by_key_implILNS1_25lookback_scan_determinismE0ELb0ES3_N6thrust23THRUST_200600_302600_NS16reverse_iteratorIPKiEESD_NSA_IPiEEiN6hipcub16HIPCUB_304000_NS3MaxENSH_8EqualityEiEE10hipError_tPvRmT2_T3_T4_T5_mT6_T7_P12ihipStream_tbENKUlT_T0_E_clISt17integral_constantIbLb0EES10_EEDaSV_SW_EUlSV_E_NS1_11comp_targetILNS1_3genE9ELNS1_11target_archE1100ELNS1_3gpuE3ELNS1_3repE0EEENS1_30default_config_static_selectorELNS0_4arch9wavefront6targetE1EEEvT1_,comdat
.Lfunc_end60:
	.size	_ZN7rocprim17ROCPRIM_400000_NS6detail17trampoline_kernelINS0_14default_configENS1_27scan_by_key_config_selectorIiiEEZZNS1_16scan_by_key_implILNS1_25lookback_scan_determinismE0ELb0ES3_N6thrust23THRUST_200600_302600_NS16reverse_iteratorIPKiEESD_NSA_IPiEEiN6hipcub16HIPCUB_304000_NS3MaxENSH_8EqualityEiEE10hipError_tPvRmT2_T3_T4_T5_mT6_T7_P12ihipStream_tbENKUlT_T0_E_clISt17integral_constantIbLb0EES10_EEDaSV_SW_EUlSV_E_NS1_11comp_targetILNS1_3genE9ELNS1_11target_archE1100ELNS1_3gpuE3ELNS1_3repE0EEENS1_30default_config_static_selectorELNS0_4arch9wavefront6targetE1EEEvT1_, .Lfunc_end60-_ZN7rocprim17ROCPRIM_400000_NS6detail17trampoline_kernelINS0_14default_configENS1_27scan_by_key_config_selectorIiiEEZZNS1_16scan_by_key_implILNS1_25lookback_scan_determinismE0ELb0ES3_N6thrust23THRUST_200600_302600_NS16reverse_iteratorIPKiEESD_NSA_IPiEEiN6hipcub16HIPCUB_304000_NS3MaxENSH_8EqualityEiEE10hipError_tPvRmT2_T3_T4_T5_mT6_T7_P12ihipStream_tbENKUlT_T0_E_clISt17integral_constantIbLb0EES10_EEDaSV_SW_EUlSV_E_NS1_11comp_targetILNS1_3genE9ELNS1_11target_archE1100ELNS1_3gpuE3ELNS1_3repE0EEENS1_30default_config_static_selectorELNS0_4arch9wavefront6targetE1EEEvT1_
                                        ; -- End function
	.section	.AMDGPU.csdata,"",@progbits
; Kernel info:
; codeLenInByte = 0
; NumSgprs: 6
; NumVgprs: 0
; NumAgprs: 0
; TotalNumVgprs: 0
; ScratchSize: 0
; MemoryBound: 0
; FloatMode: 240
; IeeeMode: 1
; LDSByteSize: 0 bytes/workgroup (compile time only)
; SGPRBlocks: 0
; VGPRBlocks: 0
; NumSGPRsForWavesPerEU: 6
; NumVGPRsForWavesPerEU: 1
; AccumOffset: 4
; Occupancy: 8
; WaveLimiterHint : 0
; COMPUTE_PGM_RSRC2:SCRATCH_EN: 0
; COMPUTE_PGM_RSRC2:USER_SGPR: 2
; COMPUTE_PGM_RSRC2:TRAP_HANDLER: 0
; COMPUTE_PGM_RSRC2:TGID_X_EN: 1
; COMPUTE_PGM_RSRC2:TGID_Y_EN: 0
; COMPUTE_PGM_RSRC2:TGID_Z_EN: 0
; COMPUTE_PGM_RSRC2:TIDIG_COMP_CNT: 0
; COMPUTE_PGM_RSRC3_GFX90A:ACCUM_OFFSET: 0
; COMPUTE_PGM_RSRC3_GFX90A:TG_SPLIT: 0
	.section	.text._ZN7rocprim17ROCPRIM_400000_NS6detail17trampoline_kernelINS0_14default_configENS1_27scan_by_key_config_selectorIiiEEZZNS1_16scan_by_key_implILNS1_25lookback_scan_determinismE0ELb0ES3_N6thrust23THRUST_200600_302600_NS16reverse_iteratorIPKiEESD_NSA_IPiEEiN6hipcub16HIPCUB_304000_NS3MaxENSH_8EqualityEiEE10hipError_tPvRmT2_T3_T4_T5_mT6_T7_P12ihipStream_tbENKUlT_T0_E_clISt17integral_constantIbLb0EES10_EEDaSV_SW_EUlSV_E_NS1_11comp_targetILNS1_3genE8ELNS1_11target_archE1030ELNS1_3gpuE2ELNS1_3repE0EEENS1_30default_config_static_selectorELNS0_4arch9wavefront6targetE1EEEvT1_,"axG",@progbits,_ZN7rocprim17ROCPRIM_400000_NS6detail17trampoline_kernelINS0_14default_configENS1_27scan_by_key_config_selectorIiiEEZZNS1_16scan_by_key_implILNS1_25lookback_scan_determinismE0ELb0ES3_N6thrust23THRUST_200600_302600_NS16reverse_iteratorIPKiEESD_NSA_IPiEEiN6hipcub16HIPCUB_304000_NS3MaxENSH_8EqualityEiEE10hipError_tPvRmT2_T3_T4_T5_mT6_T7_P12ihipStream_tbENKUlT_T0_E_clISt17integral_constantIbLb0EES10_EEDaSV_SW_EUlSV_E_NS1_11comp_targetILNS1_3genE8ELNS1_11target_archE1030ELNS1_3gpuE2ELNS1_3repE0EEENS1_30default_config_static_selectorELNS0_4arch9wavefront6targetE1EEEvT1_,comdat
	.protected	_ZN7rocprim17ROCPRIM_400000_NS6detail17trampoline_kernelINS0_14default_configENS1_27scan_by_key_config_selectorIiiEEZZNS1_16scan_by_key_implILNS1_25lookback_scan_determinismE0ELb0ES3_N6thrust23THRUST_200600_302600_NS16reverse_iteratorIPKiEESD_NSA_IPiEEiN6hipcub16HIPCUB_304000_NS3MaxENSH_8EqualityEiEE10hipError_tPvRmT2_T3_T4_T5_mT6_T7_P12ihipStream_tbENKUlT_T0_E_clISt17integral_constantIbLb0EES10_EEDaSV_SW_EUlSV_E_NS1_11comp_targetILNS1_3genE8ELNS1_11target_archE1030ELNS1_3gpuE2ELNS1_3repE0EEENS1_30default_config_static_selectorELNS0_4arch9wavefront6targetE1EEEvT1_ ; -- Begin function _ZN7rocprim17ROCPRIM_400000_NS6detail17trampoline_kernelINS0_14default_configENS1_27scan_by_key_config_selectorIiiEEZZNS1_16scan_by_key_implILNS1_25lookback_scan_determinismE0ELb0ES3_N6thrust23THRUST_200600_302600_NS16reverse_iteratorIPKiEESD_NSA_IPiEEiN6hipcub16HIPCUB_304000_NS3MaxENSH_8EqualityEiEE10hipError_tPvRmT2_T3_T4_T5_mT6_T7_P12ihipStream_tbENKUlT_T0_E_clISt17integral_constantIbLb0EES10_EEDaSV_SW_EUlSV_E_NS1_11comp_targetILNS1_3genE8ELNS1_11target_archE1030ELNS1_3gpuE2ELNS1_3repE0EEENS1_30default_config_static_selectorELNS0_4arch9wavefront6targetE1EEEvT1_
	.globl	_ZN7rocprim17ROCPRIM_400000_NS6detail17trampoline_kernelINS0_14default_configENS1_27scan_by_key_config_selectorIiiEEZZNS1_16scan_by_key_implILNS1_25lookback_scan_determinismE0ELb0ES3_N6thrust23THRUST_200600_302600_NS16reverse_iteratorIPKiEESD_NSA_IPiEEiN6hipcub16HIPCUB_304000_NS3MaxENSH_8EqualityEiEE10hipError_tPvRmT2_T3_T4_T5_mT6_T7_P12ihipStream_tbENKUlT_T0_E_clISt17integral_constantIbLb0EES10_EEDaSV_SW_EUlSV_E_NS1_11comp_targetILNS1_3genE8ELNS1_11target_archE1030ELNS1_3gpuE2ELNS1_3repE0EEENS1_30default_config_static_selectorELNS0_4arch9wavefront6targetE1EEEvT1_
	.p2align	8
	.type	_ZN7rocprim17ROCPRIM_400000_NS6detail17trampoline_kernelINS0_14default_configENS1_27scan_by_key_config_selectorIiiEEZZNS1_16scan_by_key_implILNS1_25lookback_scan_determinismE0ELb0ES3_N6thrust23THRUST_200600_302600_NS16reverse_iteratorIPKiEESD_NSA_IPiEEiN6hipcub16HIPCUB_304000_NS3MaxENSH_8EqualityEiEE10hipError_tPvRmT2_T3_T4_T5_mT6_T7_P12ihipStream_tbENKUlT_T0_E_clISt17integral_constantIbLb0EES10_EEDaSV_SW_EUlSV_E_NS1_11comp_targetILNS1_3genE8ELNS1_11target_archE1030ELNS1_3gpuE2ELNS1_3repE0EEENS1_30default_config_static_selectorELNS0_4arch9wavefront6targetE1EEEvT1_,@function
_ZN7rocprim17ROCPRIM_400000_NS6detail17trampoline_kernelINS0_14default_configENS1_27scan_by_key_config_selectorIiiEEZZNS1_16scan_by_key_implILNS1_25lookback_scan_determinismE0ELb0ES3_N6thrust23THRUST_200600_302600_NS16reverse_iteratorIPKiEESD_NSA_IPiEEiN6hipcub16HIPCUB_304000_NS3MaxENSH_8EqualityEiEE10hipError_tPvRmT2_T3_T4_T5_mT6_T7_P12ihipStream_tbENKUlT_T0_E_clISt17integral_constantIbLb0EES10_EEDaSV_SW_EUlSV_E_NS1_11comp_targetILNS1_3genE8ELNS1_11target_archE1030ELNS1_3gpuE2ELNS1_3repE0EEENS1_30default_config_static_selectorELNS0_4arch9wavefront6targetE1EEEvT1_: ; @_ZN7rocprim17ROCPRIM_400000_NS6detail17trampoline_kernelINS0_14default_configENS1_27scan_by_key_config_selectorIiiEEZZNS1_16scan_by_key_implILNS1_25lookback_scan_determinismE0ELb0ES3_N6thrust23THRUST_200600_302600_NS16reverse_iteratorIPKiEESD_NSA_IPiEEiN6hipcub16HIPCUB_304000_NS3MaxENSH_8EqualityEiEE10hipError_tPvRmT2_T3_T4_T5_mT6_T7_P12ihipStream_tbENKUlT_T0_E_clISt17integral_constantIbLb0EES10_EEDaSV_SW_EUlSV_E_NS1_11comp_targetILNS1_3genE8ELNS1_11target_archE1030ELNS1_3gpuE2ELNS1_3repE0EEENS1_30default_config_static_selectorELNS0_4arch9wavefront6targetE1EEEvT1_
; %bb.0:
	.section	.rodata,"a",@progbits
	.p2align	6, 0x0
	.amdhsa_kernel _ZN7rocprim17ROCPRIM_400000_NS6detail17trampoline_kernelINS0_14default_configENS1_27scan_by_key_config_selectorIiiEEZZNS1_16scan_by_key_implILNS1_25lookback_scan_determinismE0ELb0ES3_N6thrust23THRUST_200600_302600_NS16reverse_iteratorIPKiEESD_NSA_IPiEEiN6hipcub16HIPCUB_304000_NS3MaxENSH_8EqualityEiEE10hipError_tPvRmT2_T3_T4_T5_mT6_T7_P12ihipStream_tbENKUlT_T0_E_clISt17integral_constantIbLb0EES10_EEDaSV_SW_EUlSV_E_NS1_11comp_targetILNS1_3genE8ELNS1_11target_archE1030ELNS1_3gpuE2ELNS1_3repE0EEENS1_30default_config_static_selectorELNS0_4arch9wavefront6targetE1EEEvT1_
		.amdhsa_group_segment_fixed_size 0
		.amdhsa_private_segment_fixed_size 0
		.amdhsa_kernarg_size 112
		.amdhsa_user_sgpr_count 2
		.amdhsa_user_sgpr_dispatch_ptr 0
		.amdhsa_user_sgpr_queue_ptr 0
		.amdhsa_user_sgpr_kernarg_segment_ptr 1
		.amdhsa_user_sgpr_dispatch_id 0
		.amdhsa_user_sgpr_kernarg_preload_length 0
		.amdhsa_user_sgpr_kernarg_preload_offset 0
		.amdhsa_user_sgpr_private_segment_size 0
		.amdhsa_uses_dynamic_stack 0
		.amdhsa_enable_private_segment 0
		.amdhsa_system_sgpr_workgroup_id_x 1
		.amdhsa_system_sgpr_workgroup_id_y 0
		.amdhsa_system_sgpr_workgroup_id_z 0
		.amdhsa_system_sgpr_workgroup_info 0
		.amdhsa_system_vgpr_workitem_id 0
		.amdhsa_next_free_vgpr 1
		.amdhsa_next_free_sgpr 0
		.amdhsa_accum_offset 4
		.amdhsa_reserve_vcc 0
		.amdhsa_float_round_mode_32 0
		.amdhsa_float_round_mode_16_64 0
		.amdhsa_float_denorm_mode_32 3
		.amdhsa_float_denorm_mode_16_64 3
		.amdhsa_dx10_clamp 1
		.amdhsa_ieee_mode 1
		.amdhsa_fp16_overflow 0
		.amdhsa_tg_split 0
		.amdhsa_exception_fp_ieee_invalid_op 0
		.amdhsa_exception_fp_denorm_src 0
		.amdhsa_exception_fp_ieee_div_zero 0
		.amdhsa_exception_fp_ieee_overflow 0
		.amdhsa_exception_fp_ieee_underflow 0
		.amdhsa_exception_fp_ieee_inexact 0
		.amdhsa_exception_int_div_zero 0
	.end_amdhsa_kernel
	.section	.text._ZN7rocprim17ROCPRIM_400000_NS6detail17trampoline_kernelINS0_14default_configENS1_27scan_by_key_config_selectorIiiEEZZNS1_16scan_by_key_implILNS1_25lookback_scan_determinismE0ELb0ES3_N6thrust23THRUST_200600_302600_NS16reverse_iteratorIPKiEESD_NSA_IPiEEiN6hipcub16HIPCUB_304000_NS3MaxENSH_8EqualityEiEE10hipError_tPvRmT2_T3_T4_T5_mT6_T7_P12ihipStream_tbENKUlT_T0_E_clISt17integral_constantIbLb0EES10_EEDaSV_SW_EUlSV_E_NS1_11comp_targetILNS1_3genE8ELNS1_11target_archE1030ELNS1_3gpuE2ELNS1_3repE0EEENS1_30default_config_static_selectorELNS0_4arch9wavefront6targetE1EEEvT1_,"axG",@progbits,_ZN7rocprim17ROCPRIM_400000_NS6detail17trampoline_kernelINS0_14default_configENS1_27scan_by_key_config_selectorIiiEEZZNS1_16scan_by_key_implILNS1_25lookback_scan_determinismE0ELb0ES3_N6thrust23THRUST_200600_302600_NS16reverse_iteratorIPKiEESD_NSA_IPiEEiN6hipcub16HIPCUB_304000_NS3MaxENSH_8EqualityEiEE10hipError_tPvRmT2_T3_T4_T5_mT6_T7_P12ihipStream_tbENKUlT_T0_E_clISt17integral_constantIbLb0EES10_EEDaSV_SW_EUlSV_E_NS1_11comp_targetILNS1_3genE8ELNS1_11target_archE1030ELNS1_3gpuE2ELNS1_3repE0EEENS1_30default_config_static_selectorELNS0_4arch9wavefront6targetE1EEEvT1_,comdat
.Lfunc_end61:
	.size	_ZN7rocprim17ROCPRIM_400000_NS6detail17trampoline_kernelINS0_14default_configENS1_27scan_by_key_config_selectorIiiEEZZNS1_16scan_by_key_implILNS1_25lookback_scan_determinismE0ELb0ES3_N6thrust23THRUST_200600_302600_NS16reverse_iteratorIPKiEESD_NSA_IPiEEiN6hipcub16HIPCUB_304000_NS3MaxENSH_8EqualityEiEE10hipError_tPvRmT2_T3_T4_T5_mT6_T7_P12ihipStream_tbENKUlT_T0_E_clISt17integral_constantIbLb0EES10_EEDaSV_SW_EUlSV_E_NS1_11comp_targetILNS1_3genE8ELNS1_11target_archE1030ELNS1_3gpuE2ELNS1_3repE0EEENS1_30default_config_static_selectorELNS0_4arch9wavefront6targetE1EEEvT1_, .Lfunc_end61-_ZN7rocprim17ROCPRIM_400000_NS6detail17trampoline_kernelINS0_14default_configENS1_27scan_by_key_config_selectorIiiEEZZNS1_16scan_by_key_implILNS1_25lookback_scan_determinismE0ELb0ES3_N6thrust23THRUST_200600_302600_NS16reverse_iteratorIPKiEESD_NSA_IPiEEiN6hipcub16HIPCUB_304000_NS3MaxENSH_8EqualityEiEE10hipError_tPvRmT2_T3_T4_T5_mT6_T7_P12ihipStream_tbENKUlT_T0_E_clISt17integral_constantIbLb0EES10_EEDaSV_SW_EUlSV_E_NS1_11comp_targetILNS1_3genE8ELNS1_11target_archE1030ELNS1_3gpuE2ELNS1_3repE0EEENS1_30default_config_static_selectorELNS0_4arch9wavefront6targetE1EEEvT1_
                                        ; -- End function
	.section	.AMDGPU.csdata,"",@progbits
; Kernel info:
; codeLenInByte = 0
; NumSgprs: 6
; NumVgprs: 0
; NumAgprs: 0
; TotalNumVgprs: 0
; ScratchSize: 0
; MemoryBound: 0
; FloatMode: 240
; IeeeMode: 1
; LDSByteSize: 0 bytes/workgroup (compile time only)
; SGPRBlocks: 0
; VGPRBlocks: 0
; NumSGPRsForWavesPerEU: 6
; NumVGPRsForWavesPerEU: 1
; AccumOffset: 4
; Occupancy: 8
; WaveLimiterHint : 0
; COMPUTE_PGM_RSRC2:SCRATCH_EN: 0
; COMPUTE_PGM_RSRC2:USER_SGPR: 2
; COMPUTE_PGM_RSRC2:TRAP_HANDLER: 0
; COMPUTE_PGM_RSRC2:TGID_X_EN: 1
; COMPUTE_PGM_RSRC2:TGID_Y_EN: 0
; COMPUTE_PGM_RSRC2:TGID_Z_EN: 0
; COMPUTE_PGM_RSRC2:TIDIG_COMP_CNT: 0
; COMPUTE_PGM_RSRC3_GFX90A:ACCUM_OFFSET: 0
; COMPUTE_PGM_RSRC3_GFX90A:TG_SPLIT: 0
	.section	.text._ZN7rocprim17ROCPRIM_400000_NS6detail30init_device_scan_by_key_kernelINS1_19lookback_scan_stateINS0_5tupleIJibEEELb1ELb1EEEN6thrust23THRUST_200600_302600_NS16reverse_iteratorIPKiEEjNS1_16block_id_wrapperIjLb1EEEEEvT_jjPNSF_10value_typeET0_PNSt15iterator_traitsISI_E10value_typeEmT1_T2_,"axG",@progbits,_ZN7rocprim17ROCPRIM_400000_NS6detail30init_device_scan_by_key_kernelINS1_19lookback_scan_stateINS0_5tupleIJibEEELb1ELb1EEEN6thrust23THRUST_200600_302600_NS16reverse_iteratorIPKiEEjNS1_16block_id_wrapperIjLb1EEEEEvT_jjPNSF_10value_typeET0_PNSt15iterator_traitsISI_E10value_typeEmT1_T2_,comdat
	.protected	_ZN7rocprim17ROCPRIM_400000_NS6detail30init_device_scan_by_key_kernelINS1_19lookback_scan_stateINS0_5tupleIJibEEELb1ELb1EEEN6thrust23THRUST_200600_302600_NS16reverse_iteratorIPKiEEjNS1_16block_id_wrapperIjLb1EEEEEvT_jjPNSF_10value_typeET0_PNSt15iterator_traitsISI_E10value_typeEmT1_T2_ ; -- Begin function _ZN7rocprim17ROCPRIM_400000_NS6detail30init_device_scan_by_key_kernelINS1_19lookback_scan_stateINS0_5tupleIJibEEELb1ELb1EEEN6thrust23THRUST_200600_302600_NS16reverse_iteratorIPKiEEjNS1_16block_id_wrapperIjLb1EEEEEvT_jjPNSF_10value_typeET0_PNSt15iterator_traitsISI_E10value_typeEmT1_T2_
	.globl	_ZN7rocprim17ROCPRIM_400000_NS6detail30init_device_scan_by_key_kernelINS1_19lookback_scan_stateINS0_5tupleIJibEEELb1ELb1EEEN6thrust23THRUST_200600_302600_NS16reverse_iteratorIPKiEEjNS1_16block_id_wrapperIjLb1EEEEEvT_jjPNSF_10value_typeET0_PNSt15iterator_traitsISI_E10value_typeEmT1_T2_
	.p2align	8
	.type	_ZN7rocprim17ROCPRIM_400000_NS6detail30init_device_scan_by_key_kernelINS1_19lookback_scan_stateINS0_5tupleIJibEEELb1ELb1EEEN6thrust23THRUST_200600_302600_NS16reverse_iteratorIPKiEEjNS1_16block_id_wrapperIjLb1EEEEEvT_jjPNSF_10value_typeET0_PNSt15iterator_traitsISI_E10value_typeEmT1_T2_,@function
_ZN7rocprim17ROCPRIM_400000_NS6detail30init_device_scan_by_key_kernelINS1_19lookback_scan_stateINS0_5tupleIJibEEELb1ELb1EEEN6thrust23THRUST_200600_302600_NS16reverse_iteratorIPKiEEjNS1_16block_id_wrapperIjLb1EEEEEvT_jjPNSF_10value_typeET0_PNSt15iterator_traitsISI_E10value_typeEmT1_T2_: ; @_ZN7rocprim17ROCPRIM_400000_NS6detail30init_device_scan_by_key_kernelINS1_19lookback_scan_stateINS0_5tupleIJibEEELb1ELb1EEEN6thrust23THRUST_200600_302600_NS16reverse_iteratorIPKiEEjNS1_16block_id_wrapperIjLb1EEEEEvT_jjPNSF_10value_typeET0_PNSt15iterator_traitsISI_E10value_typeEmT1_T2_
; %bb.0:
	s_load_dword s3, s[0:1], 0x4c
	s_load_dwordx8 s[4:11], s[0:1], 0x0
	s_load_dword s18, s[0:1], 0x40
	s_waitcnt lgkmcnt(0)
	s_and_b32 s19, s3, 0xffff
	s_mul_i32 s2, s2, s19
	s_cmp_eq_u64 s[8:9], 0
	v_add_u32_e32 v4, s2, v0
	s_cbranch_scc1 .LBB62_10
; %bb.1:
	s_cmp_lt_u32 s7, s6
	s_cselect_b32 s2, s7, 0
	s_mov_b32 s13, 0
	v_cmp_eq_u32_e32 vcc, s2, v4
	s_and_saveexec_b64 s[2:3], vcc
	s_cbranch_execz .LBB62_9
; %bb.2:
	s_add_i32 s12, s7, 64
	s_lshl_b64 s[12:13], s[12:13], 4
	s_add_u32 s16, s4, s12
	s_addc_u32 s17, s5, s13
	v_mov_b64_e32 v[0:1], s[16:17]
	;;#ASMSTART
	global_load_dwordx4 v[0:3], v[0:1] off sc1	
s_waitcnt vmcnt(0)
	;;#ASMEND
	v_mov_b32_e32 v7, 0
	v_and_b32_e32 v6, 0xff, v2
	s_mov_b64 s[14:15], 0
	v_cmp_eq_u64_e32 vcc, 0, v[6:7]
	s_and_saveexec_b64 s[12:13], vcc
	s_cbranch_execz .LBB62_8
; %bb.3:
	s_mov_b32 s7, 1
	v_mov_b64_e32 v[8:9], s[16:17]
.LBB62_4:                               ; =>This Loop Header: Depth=1
                                        ;     Child Loop BB62_5 Depth 2
	s_max_u32 s16, s7, 1
.LBB62_5:                               ;   Parent Loop BB62_4 Depth=1
                                        ; =>  This Inner Loop Header: Depth=2
	s_add_i32 s16, s16, -1
	s_cmp_eq_u32 s16, 0
	s_sleep 1
	s_cbranch_scc0 .LBB62_5
; %bb.6:                                ;   in Loop: Header=BB62_4 Depth=1
	s_cmp_lt_u32 s7, 32
	s_cselect_b64 s[16:17], -1, 0
	s_cmp_lg_u64 s[16:17], 0
	;;#ASMSTART
	global_load_dwordx4 v[0:3], v[8:9] off sc1	
s_waitcnt vmcnt(0)
	;;#ASMEND
	s_addc_u32 s7, s7, 0
	v_and_b32_e32 v6, 0xff, v2
	v_cmp_ne_u64_e32 vcc, 0, v[6:7]
	s_or_b64 s[14:15], vcc, s[14:15]
	s_andn2_b64 exec, exec, s[14:15]
	s_cbranch_execnz .LBB62_4
; %bb.7:
	s_or_b64 exec, exec, s[14:15]
.LBB62_8:
	s_or_b64 exec, exec, s[12:13]
	v_mov_b32_e32 v2, 0
	global_store_dword v2, v0, s[8:9]
	global_store_byte v2, v1, s[8:9] offset:4
.LBB62_9:
	s_or_b64 exec, exec, s[2:3]
.LBB62_10:
	v_cmp_eq_u32_e32 vcc, 0, v4
	s_and_saveexec_b64 s[2:3], vcc
	s_cbranch_execz .LBB62_12
; %bb.11:
	s_load_dwordx2 s[8:9], s[0:1], 0x38
	v_mov_b32_e32 v0, 0
	s_waitcnt lgkmcnt(0)
	global_store_dword v0, v0, s[8:9]
.LBB62_12:
	s_or_b64 exec, exec, s[2:3]
	v_cmp_gt_u32_e32 vcc, s6, v4
	s_and_saveexec_b64 s[2:3], vcc
	s_cbranch_execz .LBB62_14
; %bb.13:
	v_add_u32_e32 v0, 64, v4
	v_mov_b32_e32 v1, 0
	v_lshl_add_u64 v[6:7], v[0:1], 4, s[4:5]
	v_mov_b32_e32 v0, v1
	v_mov_b32_e32 v2, v1
	;; [unrolled: 1-line block ×3, first 2 shown]
	global_store_dwordx4 v[6:7], v[0:3], off
.LBB62_14:
	s_or_b64 exec, exec, s[2:3]
	v_cmp_gt_u32_e32 vcc, 64, v4
	v_mov_b32_e32 v5, 0
	s_and_saveexec_b64 s[2:3], vcc
	s_cbranch_execz .LBB62_16
; %bb.15:
	v_lshl_add_u64 v[6:7], v[4:5], 4, s[4:5]
	v_mov_b32_e32 v2, 0xff
	v_mov_b32_e32 v0, v5
	v_mov_b32_e32 v1, v5
	v_mov_b32_e32 v3, v5
	global_store_dwordx4 v[6:7], v[0:3], off
.LBB62_16:
	s_or_b64 exec, exec, s[2:3]
	s_load_dwordx2 s[2:3], s[0:1], 0x28
	s_waitcnt lgkmcnt(0)
	v_cmp_gt_u64_e32 vcc, s[2:3], v[4:5]
	s_and_saveexec_b64 s[4:5], vcc
	s_cbranch_execz .LBB62_19
; %bb.17:
	s_load_dword s6, s[0:1], 0x30
	s_load_dwordx2 s[8:9], s[0:1], 0x20
	v_mov_b32_e32 v1, 0
	s_mul_i32 s0, s18, s19
	v_mov_b32_e32 v2, s11
	s_waitcnt lgkmcnt(0)
	s_add_i32 s4, s6, -1
	v_mov_b32_e32 v0, s4
	v_mad_u64_u32 v[0:1], s[4:5], s6, v4, v[0:1]
	v_lshlrev_b64 v[0:1], 2, v[0:1]
	s_mul_hi_u32 s5, s6, s0
	s_mul_i32 s4, s6, s0
	v_sub_co_u32_e32 v0, vcc, s10, v0
	s_lshl_b64 s[6:7], s[4:5], 2
	s_mov_b32 s1, 0
	v_subb_co_u32_e32 v1, vcc, v2, v1, vcc
	s_sub_u32 s6, 0, s6
	v_lshl_add_u64 v[0:1], v[0:1], 0, -4
	s_mov_b64 s[4:5], 0
	s_subb_u32 s7, 0, s7
	v_lshl_add_u64 v[2:3], v[4:5], 2, s[8:9]
	s_lshl_b64 s[8:9], s[0:1], 2
.LBB62_18:                              ; =>This Inner Loop Header: Depth=1
	global_load_dword v6, v[0:1], off
	v_lshl_add_u64 v[4:5], v[4:5], 0, s[0:1]
	v_cmp_le_u64_e32 vcc, s[2:3], v[4:5]
	v_lshl_add_u64 v[0:1], v[0:1], 0, s[6:7]
	s_or_b64 s[4:5], vcc, s[4:5]
	s_waitcnt vmcnt(0)
	global_store_dword v[2:3], v6, off
	v_lshl_add_u64 v[2:3], v[2:3], 0, s[8:9]
	s_andn2_b64 exec, exec, s[4:5]
	s_cbranch_execnz .LBB62_18
.LBB62_19:
	s_endpgm
	.section	.rodata,"a",@progbits
	.p2align	6, 0x0
	.amdhsa_kernel _ZN7rocprim17ROCPRIM_400000_NS6detail30init_device_scan_by_key_kernelINS1_19lookback_scan_stateINS0_5tupleIJibEEELb1ELb1EEEN6thrust23THRUST_200600_302600_NS16reverse_iteratorIPKiEEjNS1_16block_id_wrapperIjLb1EEEEEvT_jjPNSF_10value_typeET0_PNSt15iterator_traitsISI_E10value_typeEmT1_T2_
		.amdhsa_group_segment_fixed_size 0
		.amdhsa_private_segment_fixed_size 0
		.amdhsa_kernarg_size 320
		.amdhsa_user_sgpr_count 2
		.amdhsa_user_sgpr_dispatch_ptr 0
		.amdhsa_user_sgpr_queue_ptr 0
		.amdhsa_user_sgpr_kernarg_segment_ptr 1
		.amdhsa_user_sgpr_dispatch_id 0
		.amdhsa_user_sgpr_kernarg_preload_length 0
		.amdhsa_user_sgpr_kernarg_preload_offset 0
		.amdhsa_user_sgpr_private_segment_size 0
		.amdhsa_uses_dynamic_stack 0
		.amdhsa_enable_private_segment 0
		.amdhsa_system_sgpr_workgroup_id_x 1
		.amdhsa_system_sgpr_workgroup_id_y 0
		.amdhsa_system_sgpr_workgroup_id_z 0
		.amdhsa_system_sgpr_workgroup_info 0
		.amdhsa_system_vgpr_workitem_id 0
		.amdhsa_next_free_vgpr 10
		.amdhsa_next_free_sgpr 20
		.amdhsa_accum_offset 12
		.amdhsa_reserve_vcc 1
		.amdhsa_float_round_mode_32 0
		.amdhsa_float_round_mode_16_64 0
		.amdhsa_float_denorm_mode_32 3
		.amdhsa_float_denorm_mode_16_64 3
		.amdhsa_dx10_clamp 1
		.amdhsa_ieee_mode 1
		.amdhsa_fp16_overflow 0
		.amdhsa_tg_split 0
		.amdhsa_exception_fp_ieee_invalid_op 0
		.amdhsa_exception_fp_denorm_src 0
		.amdhsa_exception_fp_ieee_div_zero 0
		.amdhsa_exception_fp_ieee_overflow 0
		.amdhsa_exception_fp_ieee_underflow 0
		.amdhsa_exception_fp_ieee_inexact 0
		.amdhsa_exception_int_div_zero 0
	.end_amdhsa_kernel
	.section	.text._ZN7rocprim17ROCPRIM_400000_NS6detail30init_device_scan_by_key_kernelINS1_19lookback_scan_stateINS0_5tupleIJibEEELb1ELb1EEEN6thrust23THRUST_200600_302600_NS16reverse_iteratorIPKiEEjNS1_16block_id_wrapperIjLb1EEEEEvT_jjPNSF_10value_typeET0_PNSt15iterator_traitsISI_E10value_typeEmT1_T2_,"axG",@progbits,_ZN7rocprim17ROCPRIM_400000_NS6detail30init_device_scan_by_key_kernelINS1_19lookback_scan_stateINS0_5tupleIJibEEELb1ELb1EEEN6thrust23THRUST_200600_302600_NS16reverse_iteratorIPKiEEjNS1_16block_id_wrapperIjLb1EEEEEvT_jjPNSF_10value_typeET0_PNSt15iterator_traitsISI_E10value_typeEmT1_T2_,comdat
.Lfunc_end62:
	.size	_ZN7rocprim17ROCPRIM_400000_NS6detail30init_device_scan_by_key_kernelINS1_19lookback_scan_stateINS0_5tupleIJibEEELb1ELb1EEEN6thrust23THRUST_200600_302600_NS16reverse_iteratorIPKiEEjNS1_16block_id_wrapperIjLb1EEEEEvT_jjPNSF_10value_typeET0_PNSt15iterator_traitsISI_E10value_typeEmT1_T2_, .Lfunc_end62-_ZN7rocprim17ROCPRIM_400000_NS6detail30init_device_scan_by_key_kernelINS1_19lookback_scan_stateINS0_5tupleIJibEEELb1ELb1EEEN6thrust23THRUST_200600_302600_NS16reverse_iteratorIPKiEEjNS1_16block_id_wrapperIjLb1EEEEEvT_jjPNSF_10value_typeET0_PNSt15iterator_traitsISI_E10value_typeEmT1_T2_
                                        ; -- End function
	.section	.AMDGPU.csdata,"",@progbits
; Kernel info:
; codeLenInByte = 604
; NumSgprs: 26
; NumVgprs: 10
; NumAgprs: 0
; TotalNumVgprs: 10
; ScratchSize: 0
; MemoryBound: 0
; FloatMode: 240
; IeeeMode: 1
; LDSByteSize: 0 bytes/workgroup (compile time only)
; SGPRBlocks: 3
; VGPRBlocks: 1
; NumSGPRsForWavesPerEU: 26
; NumVGPRsForWavesPerEU: 10
; AccumOffset: 12
; Occupancy: 8
; WaveLimiterHint : 0
; COMPUTE_PGM_RSRC2:SCRATCH_EN: 0
; COMPUTE_PGM_RSRC2:USER_SGPR: 2
; COMPUTE_PGM_RSRC2:TRAP_HANDLER: 0
; COMPUTE_PGM_RSRC2:TGID_X_EN: 1
; COMPUTE_PGM_RSRC2:TGID_Y_EN: 0
; COMPUTE_PGM_RSRC2:TGID_Z_EN: 0
; COMPUTE_PGM_RSRC2:TIDIG_COMP_CNT: 0
; COMPUTE_PGM_RSRC3_GFX90A:ACCUM_OFFSET: 2
; COMPUTE_PGM_RSRC3_GFX90A:TG_SPLIT: 0
	.section	.text._ZN7rocprim17ROCPRIM_400000_NS6detail17trampoline_kernelINS0_14default_configENS1_27scan_by_key_config_selectorIiiEEZZNS1_16scan_by_key_implILNS1_25lookback_scan_determinismE0ELb0ES3_N6thrust23THRUST_200600_302600_NS16reverse_iteratorIPKiEESD_NSA_IPiEEiN6hipcub16HIPCUB_304000_NS3MaxENSH_8EqualityEiEE10hipError_tPvRmT2_T3_T4_T5_mT6_T7_P12ihipStream_tbENKUlT_T0_E_clISt17integral_constantIbLb1EES10_EEDaSV_SW_EUlSV_E_NS1_11comp_targetILNS1_3genE0ELNS1_11target_archE4294967295ELNS1_3gpuE0ELNS1_3repE0EEENS1_30default_config_static_selectorELNS0_4arch9wavefront6targetE1EEEvT1_,"axG",@progbits,_ZN7rocprim17ROCPRIM_400000_NS6detail17trampoline_kernelINS0_14default_configENS1_27scan_by_key_config_selectorIiiEEZZNS1_16scan_by_key_implILNS1_25lookback_scan_determinismE0ELb0ES3_N6thrust23THRUST_200600_302600_NS16reverse_iteratorIPKiEESD_NSA_IPiEEiN6hipcub16HIPCUB_304000_NS3MaxENSH_8EqualityEiEE10hipError_tPvRmT2_T3_T4_T5_mT6_T7_P12ihipStream_tbENKUlT_T0_E_clISt17integral_constantIbLb1EES10_EEDaSV_SW_EUlSV_E_NS1_11comp_targetILNS1_3genE0ELNS1_11target_archE4294967295ELNS1_3gpuE0ELNS1_3repE0EEENS1_30default_config_static_selectorELNS0_4arch9wavefront6targetE1EEEvT1_,comdat
	.protected	_ZN7rocprim17ROCPRIM_400000_NS6detail17trampoline_kernelINS0_14default_configENS1_27scan_by_key_config_selectorIiiEEZZNS1_16scan_by_key_implILNS1_25lookback_scan_determinismE0ELb0ES3_N6thrust23THRUST_200600_302600_NS16reverse_iteratorIPKiEESD_NSA_IPiEEiN6hipcub16HIPCUB_304000_NS3MaxENSH_8EqualityEiEE10hipError_tPvRmT2_T3_T4_T5_mT6_T7_P12ihipStream_tbENKUlT_T0_E_clISt17integral_constantIbLb1EES10_EEDaSV_SW_EUlSV_E_NS1_11comp_targetILNS1_3genE0ELNS1_11target_archE4294967295ELNS1_3gpuE0ELNS1_3repE0EEENS1_30default_config_static_selectorELNS0_4arch9wavefront6targetE1EEEvT1_ ; -- Begin function _ZN7rocprim17ROCPRIM_400000_NS6detail17trampoline_kernelINS0_14default_configENS1_27scan_by_key_config_selectorIiiEEZZNS1_16scan_by_key_implILNS1_25lookback_scan_determinismE0ELb0ES3_N6thrust23THRUST_200600_302600_NS16reverse_iteratorIPKiEESD_NSA_IPiEEiN6hipcub16HIPCUB_304000_NS3MaxENSH_8EqualityEiEE10hipError_tPvRmT2_T3_T4_T5_mT6_T7_P12ihipStream_tbENKUlT_T0_E_clISt17integral_constantIbLb1EES10_EEDaSV_SW_EUlSV_E_NS1_11comp_targetILNS1_3genE0ELNS1_11target_archE4294967295ELNS1_3gpuE0ELNS1_3repE0EEENS1_30default_config_static_selectorELNS0_4arch9wavefront6targetE1EEEvT1_
	.globl	_ZN7rocprim17ROCPRIM_400000_NS6detail17trampoline_kernelINS0_14default_configENS1_27scan_by_key_config_selectorIiiEEZZNS1_16scan_by_key_implILNS1_25lookback_scan_determinismE0ELb0ES3_N6thrust23THRUST_200600_302600_NS16reverse_iteratorIPKiEESD_NSA_IPiEEiN6hipcub16HIPCUB_304000_NS3MaxENSH_8EqualityEiEE10hipError_tPvRmT2_T3_T4_T5_mT6_T7_P12ihipStream_tbENKUlT_T0_E_clISt17integral_constantIbLb1EES10_EEDaSV_SW_EUlSV_E_NS1_11comp_targetILNS1_3genE0ELNS1_11target_archE4294967295ELNS1_3gpuE0ELNS1_3repE0EEENS1_30default_config_static_selectorELNS0_4arch9wavefront6targetE1EEEvT1_
	.p2align	8
	.type	_ZN7rocprim17ROCPRIM_400000_NS6detail17trampoline_kernelINS0_14default_configENS1_27scan_by_key_config_selectorIiiEEZZNS1_16scan_by_key_implILNS1_25lookback_scan_determinismE0ELb0ES3_N6thrust23THRUST_200600_302600_NS16reverse_iteratorIPKiEESD_NSA_IPiEEiN6hipcub16HIPCUB_304000_NS3MaxENSH_8EqualityEiEE10hipError_tPvRmT2_T3_T4_T5_mT6_T7_P12ihipStream_tbENKUlT_T0_E_clISt17integral_constantIbLb1EES10_EEDaSV_SW_EUlSV_E_NS1_11comp_targetILNS1_3genE0ELNS1_11target_archE4294967295ELNS1_3gpuE0ELNS1_3repE0EEENS1_30default_config_static_selectorELNS0_4arch9wavefront6targetE1EEEvT1_,@function
_ZN7rocprim17ROCPRIM_400000_NS6detail17trampoline_kernelINS0_14default_configENS1_27scan_by_key_config_selectorIiiEEZZNS1_16scan_by_key_implILNS1_25lookback_scan_determinismE0ELb0ES3_N6thrust23THRUST_200600_302600_NS16reverse_iteratorIPKiEESD_NSA_IPiEEiN6hipcub16HIPCUB_304000_NS3MaxENSH_8EqualityEiEE10hipError_tPvRmT2_T3_T4_T5_mT6_T7_P12ihipStream_tbENKUlT_T0_E_clISt17integral_constantIbLb1EES10_EEDaSV_SW_EUlSV_E_NS1_11comp_targetILNS1_3genE0ELNS1_11target_archE4294967295ELNS1_3gpuE0ELNS1_3repE0EEENS1_30default_config_static_selectorELNS0_4arch9wavefront6targetE1EEEvT1_: ; @_ZN7rocprim17ROCPRIM_400000_NS6detail17trampoline_kernelINS0_14default_configENS1_27scan_by_key_config_selectorIiiEEZZNS1_16scan_by_key_implILNS1_25lookback_scan_determinismE0ELb0ES3_N6thrust23THRUST_200600_302600_NS16reverse_iteratorIPKiEESD_NSA_IPiEEiN6hipcub16HIPCUB_304000_NS3MaxENSH_8EqualityEiEE10hipError_tPvRmT2_T3_T4_T5_mT6_T7_P12ihipStream_tbENKUlT_T0_E_clISt17integral_constantIbLb1EES10_EEDaSV_SW_EUlSV_E_NS1_11comp_targetILNS1_3genE0ELNS1_11target_archE4294967295ELNS1_3gpuE0ELNS1_3repE0EEENS1_30default_config_static_selectorELNS0_4arch9wavefront6targetE1EEEvT1_
; %bb.0:
	.section	.rodata,"a",@progbits
	.p2align	6, 0x0
	.amdhsa_kernel _ZN7rocprim17ROCPRIM_400000_NS6detail17trampoline_kernelINS0_14default_configENS1_27scan_by_key_config_selectorIiiEEZZNS1_16scan_by_key_implILNS1_25lookback_scan_determinismE0ELb0ES3_N6thrust23THRUST_200600_302600_NS16reverse_iteratorIPKiEESD_NSA_IPiEEiN6hipcub16HIPCUB_304000_NS3MaxENSH_8EqualityEiEE10hipError_tPvRmT2_T3_T4_T5_mT6_T7_P12ihipStream_tbENKUlT_T0_E_clISt17integral_constantIbLb1EES10_EEDaSV_SW_EUlSV_E_NS1_11comp_targetILNS1_3genE0ELNS1_11target_archE4294967295ELNS1_3gpuE0ELNS1_3repE0EEENS1_30default_config_static_selectorELNS0_4arch9wavefront6targetE1EEEvT1_
		.amdhsa_group_segment_fixed_size 0
		.amdhsa_private_segment_fixed_size 0
		.amdhsa_kernarg_size 112
		.amdhsa_user_sgpr_count 2
		.amdhsa_user_sgpr_dispatch_ptr 0
		.amdhsa_user_sgpr_queue_ptr 0
		.amdhsa_user_sgpr_kernarg_segment_ptr 1
		.amdhsa_user_sgpr_dispatch_id 0
		.amdhsa_user_sgpr_kernarg_preload_length 0
		.amdhsa_user_sgpr_kernarg_preload_offset 0
		.amdhsa_user_sgpr_private_segment_size 0
		.amdhsa_uses_dynamic_stack 0
		.amdhsa_enable_private_segment 0
		.amdhsa_system_sgpr_workgroup_id_x 1
		.amdhsa_system_sgpr_workgroup_id_y 0
		.amdhsa_system_sgpr_workgroup_id_z 0
		.amdhsa_system_sgpr_workgroup_info 0
		.amdhsa_system_vgpr_workitem_id 0
		.amdhsa_next_free_vgpr 1
		.amdhsa_next_free_sgpr 0
		.amdhsa_accum_offset 4
		.amdhsa_reserve_vcc 0
		.amdhsa_float_round_mode_32 0
		.amdhsa_float_round_mode_16_64 0
		.amdhsa_float_denorm_mode_32 3
		.amdhsa_float_denorm_mode_16_64 3
		.amdhsa_dx10_clamp 1
		.amdhsa_ieee_mode 1
		.amdhsa_fp16_overflow 0
		.amdhsa_tg_split 0
		.amdhsa_exception_fp_ieee_invalid_op 0
		.amdhsa_exception_fp_denorm_src 0
		.amdhsa_exception_fp_ieee_div_zero 0
		.amdhsa_exception_fp_ieee_overflow 0
		.amdhsa_exception_fp_ieee_underflow 0
		.amdhsa_exception_fp_ieee_inexact 0
		.amdhsa_exception_int_div_zero 0
	.end_amdhsa_kernel
	.section	.text._ZN7rocprim17ROCPRIM_400000_NS6detail17trampoline_kernelINS0_14default_configENS1_27scan_by_key_config_selectorIiiEEZZNS1_16scan_by_key_implILNS1_25lookback_scan_determinismE0ELb0ES3_N6thrust23THRUST_200600_302600_NS16reverse_iteratorIPKiEESD_NSA_IPiEEiN6hipcub16HIPCUB_304000_NS3MaxENSH_8EqualityEiEE10hipError_tPvRmT2_T3_T4_T5_mT6_T7_P12ihipStream_tbENKUlT_T0_E_clISt17integral_constantIbLb1EES10_EEDaSV_SW_EUlSV_E_NS1_11comp_targetILNS1_3genE0ELNS1_11target_archE4294967295ELNS1_3gpuE0ELNS1_3repE0EEENS1_30default_config_static_selectorELNS0_4arch9wavefront6targetE1EEEvT1_,"axG",@progbits,_ZN7rocprim17ROCPRIM_400000_NS6detail17trampoline_kernelINS0_14default_configENS1_27scan_by_key_config_selectorIiiEEZZNS1_16scan_by_key_implILNS1_25lookback_scan_determinismE0ELb0ES3_N6thrust23THRUST_200600_302600_NS16reverse_iteratorIPKiEESD_NSA_IPiEEiN6hipcub16HIPCUB_304000_NS3MaxENSH_8EqualityEiEE10hipError_tPvRmT2_T3_T4_T5_mT6_T7_P12ihipStream_tbENKUlT_T0_E_clISt17integral_constantIbLb1EES10_EEDaSV_SW_EUlSV_E_NS1_11comp_targetILNS1_3genE0ELNS1_11target_archE4294967295ELNS1_3gpuE0ELNS1_3repE0EEENS1_30default_config_static_selectorELNS0_4arch9wavefront6targetE1EEEvT1_,comdat
.Lfunc_end63:
	.size	_ZN7rocprim17ROCPRIM_400000_NS6detail17trampoline_kernelINS0_14default_configENS1_27scan_by_key_config_selectorIiiEEZZNS1_16scan_by_key_implILNS1_25lookback_scan_determinismE0ELb0ES3_N6thrust23THRUST_200600_302600_NS16reverse_iteratorIPKiEESD_NSA_IPiEEiN6hipcub16HIPCUB_304000_NS3MaxENSH_8EqualityEiEE10hipError_tPvRmT2_T3_T4_T5_mT6_T7_P12ihipStream_tbENKUlT_T0_E_clISt17integral_constantIbLb1EES10_EEDaSV_SW_EUlSV_E_NS1_11comp_targetILNS1_3genE0ELNS1_11target_archE4294967295ELNS1_3gpuE0ELNS1_3repE0EEENS1_30default_config_static_selectorELNS0_4arch9wavefront6targetE1EEEvT1_, .Lfunc_end63-_ZN7rocprim17ROCPRIM_400000_NS6detail17trampoline_kernelINS0_14default_configENS1_27scan_by_key_config_selectorIiiEEZZNS1_16scan_by_key_implILNS1_25lookback_scan_determinismE0ELb0ES3_N6thrust23THRUST_200600_302600_NS16reverse_iteratorIPKiEESD_NSA_IPiEEiN6hipcub16HIPCUB_304000_NS3MaxENSH_8EqualityEiEE10hipError_tPvRmT2_T3_T4_T5_mT6_T7_P12ihipStream_tbENKUlT_T0_E_clISt17integral_constantIbLb1EES10_EEDaSV_SW_EUlSV_E_NS1_11comp_targetILNS1_3genE0ELNS1_11target_archE4294967295ELNS1_3gpuE0ELNS1_3repE0EEENS1_30default_config_static_selectorELNS0_4arch9wavefront6targetE1EEEvT1_
                                        ; -- End function
	.section	.AMDGPU.csdata,"",@progbits
; Kernel info:
; codeLenInByte = 0
; NumSgprs: 6
; NumVgprs: 0
; NumAgprs: 0
; TotalNumVgprs: 0
; ScratchSize: 0
; MemoryBound: 0
; FloatMode: 240
; IeeeMode: 1
; LDSByteSize: 0 bytes/workgroup (compile time only)
; SGPRBlocks: 0
; VGPRBlocks: 0
; NumSGPRsForWavesPerEU: 6
; NumVGPRsForWavesPerEU: 1
; AccumOffset: 4
; Occupancy: 8
; WaveLimiterHint : 0
; COMPUTE_PGM_RSRC2:SCRATCH_EN: 0
; COMPUTE_PGM_RSRC2:USER_SGPR: 2
; COMPUTE_PGM_RSRC2:TRAP_HANDLER: 0
; COMPUTE_PGM_RSRC2:TGID_X_EN: 1
; COMPUTE_PGM_RSRC2:TGID_Y_EN: 0
; COMPUTE_PGM_RSRC2:TGID_Z_EN: 0
; COMPUTE_PGM_RSRC2:TIDIG_COMP_CNT: 0
; COMPUTE_PGM_RSRC3_GFX90A:ACCUM_OFFSET: 0
; COMPUTE_PGM_RSRC3_GFX90A:TG_SPLIT: 0
	.section	.text._ZN7rocprim17ROCPRIM_400000_NS6detail17trampoline_kernelINS0_14default_configENS1_27scan_by_key_config_selectorIiiEEZZNS1_16scan_by_key_implILNS1_25lookback_scan_determinismE0ELb0ES3_N6thrust23THRUST_200600_302600_NS16reverse_iteratorIPKiEESD_NSA_IPiEEiN6hipcub16HIPCUB_304000_NS3MaxENSH_8EqualityEiEE10hipError_tPvRmT2_T3_T4_T5_mT6_T7_P12ihipStream_tbENKUlT_T0_E_clISt17integral_constantIbLb1EES10_EEDaSV_SW_EUlSV_E_NS1_11comp_targetILNS1_3genE10ELNS1_11target_archE1201ELNS1_3gpuE5ELNS1_3repE0EEENS1_30default_config_static_selectorELNS0_4arch9wavefront6targetE1EEEvT1_,"axG",@progbits,_ZN7rocprim17ROCPRIM_400000_NS6detail17trampoline_kernelINS0_14default_configENS1_27scan_by_key_config_selectorIiiEEZZNS1_16scan_by_key_implILNS1_25lookback_scan_determinismE0ELb0ES3_N6thrust23THRUST_200600_302600_NS16reverse_iteratorIPKiEESD_NSA_IPiEEiN6hipcub16HIPCUB_304000_NS3MaxENSH_8EqualityEiEE10hipError_tPvRmT2_T3_T4_T5_mT6_T7_P12ihipStream_tbENKUlT_T0_E_clISt17integral_constantIbLb1EES10_EEDaSV_SW_EUlSV_E_NS1_11comp_targetILNS1_3genE10ELNS1_11target_archE1201ELNS1_3gpuE5ELNS1_3repE0EEENS1_30default_config_static_selectorELNS0_4arch9wavefront6targetE1EEEvT1_,comdat
	.protected	_ZN7rocprim17ROCPRIM_400000_NS6detail17trampoline_kernelINS0_14default_configENS1_27scan_by_key_config_selectorIiiEEZZNS1_16scan_by_key_implILNS1_25lookback_scan_determinismE0ELb0ES3_N6thrust23THRUST_200600_302600_NS16reverse_iteratorIPKiEESD_NSA_IPiEEiN6hipcub16HIPCUB_304000_NS3MaxENSH_8EqualityEiEE10hipError_tPvRmT2_T3_T4_T5_mT6_T7_P12ihipStream_tbENKUlT_T0_E_clISt17integral_constantIbLb1EES10_EEDaSV_SW_EUlSV_E_NS1_11comp_targetILNS1_3genE10ELNS1_11target_archE1201ELNS1_3gpuE5ELNS1_3repE0EEENS1_30default_config_static_selectorELNS0_4arch9wavefront6targetE1EEEvT1_ ; -- Begin function _ZN7rocprim17ROCPRIM_400000_NS6detail17trampoline_kernelINS0_14default_configENS1_27scan_by_key_config_selectorIiiEEZZNS1_16scan_by_key_implILNS1_25lookback_scan_determinismE0ELb0ES3_N6thrust23THRUST_200600_302600_NS16reverse_iteratorIPKiEESD_NSA_IPiEEiN6hipcub16HIPCUB_304000_NS3MaxENSH_8EqualityEiEE10hipError_tPvRmT2_T3_T4_T5_mT6_T7_P12ihipStream_tbENKUlT_T0_E_clISt17integral_constantIbLb1EES10_EEDaSV_SW_EUlSV_E_NS1_11comp_targetILNS1_3genE10ELNS1_11target_archE1201ELNS1_3gpuE5ELNS1_3repE0EEENS1_30default_config_static_selectorELNS0_4arch9wavefront6targetE1EEEvT1_
	.globl	_ZN7rocprim17ROCPRIM_400000_NS6detail17trampoline_kernelINS0_14default_configENS1_27scan_by_key_config_selectorIiiEEZZNS1_16scan_by_key_implILNS1_25lookback_scan_determinismE0ELb0ES3_N6thrust23THRUST_200600_302600_NS16reverse_iteratorIPKiEESD_NSA_IPiEEiN6hipcub16HIPCUB_304000_NS3MaxENSH_8EqualityEiEE10hipError_tPvRmT2_T3_T4_T5_mT6_T7_P12ihipStream_tbENKUlT_T0_E_clISt17integral_constantIbLb1EES10_EEDaSV_SW_EUlSV_E_NS1_11comp_targetILNS1_3genE10ELNS1_11target_archE1201ELNS1_3gpuE5ELNS1_3repE0EEENS1_30default_config_static_selectorELNS0_4arch9wavefront6targetE1EEEvT1_
	.p2align	8
	.type	_ZN7rocprim17ROCPRIM_400000_NS6detail17trampoline_kernelINS0_14default_configENS1_27scan_by_key_config_selectorIiiEEZZNS1_16scan_by_key_implILNS1_25lookback_scan_determinismE0ELb0ES3_N6thrust23THRUST_200600_302600_NS16reverse_iteratorIPKiEESD_NSA_IPiEEiN6hipcub16HIPCUB_304000_NS3MaxENSH_8EqualityEiEE10hipError_tPvRmT2_T3_T4_T5_mT6_T7_P12ihipStream_tbENKUlT_T0_E_clISt17integral_constantIbLb1EES10_EEDaSV_SW_EUlSV_E_NS1_11comp_targetILNS1_3genE10ELNS1_11target_archE1201ELNS1_3gpuE5ELNS1_3repE0EEENS1_30default_config_static_selectorELNS0_4arch9wavefront6targetE1EEEvT1_,@function
_ZN7rocprim17ROCPRIM_400000_NS6detail17trampoline_kernelINS0_14default_configENS1_27scan_by_key_config_selectorIiiEEZZNS1_16scan_by_key_implILNS1_25lookback_scan_determinismE0ELb0ES3_N6thrust23THRUST_200600_302600_NS16reverse_iteratorIPKiEESD_NSA_IPiEEiN6hipcub16HIPCUB_304000_NS3MaxENSH_8EqualityEiEE10hipError_tPvRmT2_T3_T4_T5_mT6_T7_P12ihipStream_tbENKUlT_T0_E_clISt17integral_constantIbLb1EES10_EEDaSV_SW_EUlSV_E_NS1_11comp_targetILNS1_3genE10ELNS1_11target_archE1201ELNS1_3gpuE5ELNS1_3repE0EEENS1_30default_config_static_selectorELNS0_4arch9wavefront6targetE1EEEvT1_: ; @_ZN7rocprim17ROCPRIM_400000_NS6detail17trampoline_kernelINS0_14default_configENS1_27scan_by_key_config_selectorIiiEEZZNS1_16scan_by_key_implILNS1_25lookback_scan_determinismE0ELb0ES3_N6thrust23THRUST_200600_302600_NS16reverse_iteratorIPKiEESD_NSA_IPiEEiN6hipcub16HIPCUB_304000_NS3MaxENSH_8EqualityEiEE10hipError_tPvRmT2_T3_T4_T5_mT6_T7_P12ihipStream_tbENKUlT_T0_E_clISt17integral_constantIbLb1EES10_EEDaSV_SW_EUlSV_E_NS1_11comp_targetILNS1_3genE10ELNS1_11target_archE1201ELNS1_3gpuE5ELNS1_3repE0EEENS1_30default_config_static_selectorELNS0_4arch9wavefront6targetE1EEEvT1_
; %bb.0:
	.section	.rodata,"a",@progbits
	.p2align	6, 0x0
	.amdhsa_kernel _ZN7rocprim17ROCPRIM_400000_NS6detail17trampoline_kernelINS0_14default_configENS1_27scan_by_key_config_selectorIiiEEZZNS1_16scan_by_key_implILNS1_25lookback_scan_determinismE0ELb0ES3_N6thrust23THRUST_200600_302600_NS16reverse_iteratorIPKiEESD_NSA_IPiEEiN6hipcub16HIPCUB_304000_NS3MaxENSH_8EqualityEiEE10hipError_tPvRmT2_T3_T4_T5_mT6_T7_P12ihipStream_tbENKUlT_T0_E_clISt17integral_constantIbLb1EES10_EEDaSV_SW_EUlSV_E_NS1_11comp_targetILNS1_3genE10ELNS1_11target_archE1201ELNS1_3gpuE5ELNS1_3repE0EEENS1_30default_config_static_selectorELNS0_4arch9wavefront6targetE1EEEvT1_
		.amdhsa_group_segment_fixed_size 0
		.amdhsa_private_segment_fixed_size 0
		.amdhsa_kernarg_size 112
		.amdhsa_user_sgpr_count 2
		.amdhsa_user_sgpr_dispatch_ptr 0
		.amdhsa_user_sgpr_queue_ptr 0
		.amdhsa_user_sgpr_kernarg_segment_ptr 1
		.amdhsa_user_sgpr_dispatch_id 0
		.amdhsa_user_sgpr_kernarg_preload_length 0
		.amdhsa_user_sgpr_kernarg_preload_offset 0
		.amdhsa_user_sgpr_private_segment_size 0
		.amdhsa_uses_dynamic_stack 0
		.amdhsa_enable_private_segment 0
		.amdhsa_system_sgpr_workgroup_id_x 1
		.amdhsa_system_sgpr_workgroup_id_y 0
		.amdhsa_system_sgpr_workgroup_id_z 0
		.amdhsa_system_sgpr_workgroup_info 0
		.amdhsa_system_vgpr_workitem_id 0
		.amdhsa_next_free_vgpr 1
		.amdhsa_next_free_sgpr 0
		.amdhsa_accum_offset 4
		.amdhsa_reserve_vcc 0
		.amdhsa_float_round_mode_32 0
		.amdhsa_float_round_mode_16_64 0
		.amdhsa_float_denorm_mode_32 3
		.amdhsa_float_denorm_mode_16_64 3
		.amdhsa_dx10_clamp 1
		.amdhsa_ieee_mode 1
		.amdhsa_fp16_overflow 0
		.amdhsa_tg_split 0
		.amdhsa_exception_fp_ieee_invalid_op 0
		.amdhsa_exception_fp_denorm_src 0
		.amdhsa_exception_fp_ieee_div_zero 0
		.amdhsa_exception_fp_ieee_overflow 0
		.amdhsa_exception_fp_ieee_underflow 0
		.amdhsa_exception_fp_ieee_inexact 0
		.amdhsa_exception_int_div_zero 0
	.end_amdhsa_kernel
	.section	.text._ZN7rocprim17ROCPRIM_400000_NS6detail17trampoline_kernelINS0_14default_configENS1_27scan_by_key_config_selectorIiiEEZZNS1_16scan_by_key_implILNS1_25lookback_scan_determinismE0ELb0ES3_N6thrust23THRUST_200600_302600_NS16reverse_iteratorIPKiEESD_NSA_IPiEEiN6hipcub16HIPCUB_304000_NS3MaxENSH_8EqualityEiEE10hipError_tPvRmT2_T3_T4_T5_mT6_T7_P12ihipStream_tbENKUlT_T0_E_clISt17integral_constantIbLb1EES10_EEDaSV_SW_EUlSV_E_NS1_11comp_targetILNS1_3genE10ELNS1_11target_archE1201ELNS1_3gpuE5ELNS1_3repE0EEENS1_30default_config_static_selectorELNS0_4arch9wavefront6targetE1EEEvT1_,"axG",@progbits,_ZN7rocprim17ROCPRIM_400000_NS6detail17trampoline_kernelINS0_14default_configENS1_27scan_by_key_config_selectorIiiEEZZNS1_16scan_by_key_implILNS1_25lookback_scan_determinismE0ELb0ES3_N6thrust23THRUST_200600_302600_NS16reverse_iteratorIPKiEESD_NSA_IPiEEiN6hipcub16HIPCUB_304000_NS3MaxENSH_8EqualityEiEE10hipError_tPvRmT2_T3_T4_T5_mT6_T7_P12ihipStream_tbENKUlT_T0_E_clISt17integral_constantIbLb1EES10_EEDaSV_SW_EUlSV_E_NS1_11comp_targetILNS1_3genE10ELNS1_11target_archE1201ELNS1_3gpuE5ELNS1_3repE0EEENS1_30default_config_static_selectorELNS0_4arch9wavefront6targetE1EEEvT1_,comdat
.Lfunc_end64:
	.size	_ZN7rocprim17ROCPRIM_400000_NS6detail17trampoline_kernelINS0_14default_configENS1_27scan_by_key_config_selectorIiiEEZZNS1_16scan_by_key_implILNS1_25lookback_scan_determinismE0ELb0ES3_N6thrust23THRUST_200600_302600_NS16reverse_iteratorIPKiEESD_NSA_IPiEEiN6hipcub16HIPCUB_304000_NS3MaxENSH_8EqualityEiEE10hipError_tPvRmT2_T3_T4_T5_mT6_T7_P12ihipStream_tbENKUlT_T0_E_clISt17integral_constantIbLb1EES10_EEDaSV_SW_EUlSV_E_NS1_11comp_targetILNS1_3genE10ELNS1_11target_archE1201ELNS1_3gpuE5ELNS1_3repE0EEENS1_30default_config_static_selectorELNS0_4arch9wavefront6targetE1EEEvT1_, .Lfunc_end64-_ZN7rocprim17ROCPRIM_400000_NS6detail17trampoline_kernelINS0_14default_configENS1_27scan_by_key_config_selectorIiiEEZZNS1_16scan_by_key_implILNS1_25lookback_scan_determinismE0ELb0ES3_N6thrust23THRUST_200600_302600_NS16reverse_iteratorIPKiEESD_NSA_IPiEEiN6hipcub16HIPCUB_304000_NS3MaxENSH_8EqualityEiEE10hipError_tPvRmT2_T3_T4_T5_mT6_T7_P12ihipStream_tbENKUlT_T0_E_clISt17integral_constantIbLb1EES10_EEDaSV_SW_EUlSV_E_NS1_11comp_targetILNS1_3genE10ELNS1_11target_archE1201ELNS1_3gpuE5ELNS1_3repE0EEENS1_30default_config_static_selectorELNS0_4arch9wavefront6targetE1EEEvT1_
                                        ; -- End function
	.section	.AMDGPU.csdata,"",@progbits
; Kernel info:
; codeLenInByte = 0
; NumSgprs: 6
; NumVgprs: 0
; NumAgprs: 0
; TotalNumVgprs: 0
; ScratchSize: 0
; MemoryBound: 0
; FloatMode: 240
; IeeeMode: 1
; LDSByteSize: 0 bytes/workgroup (compile time only)
; SGPRBlocks: 0
; VGPRBlocks: 0
; NumSGPRsForWavesPerEU: 6
; NumVGPRsForWavesPerEU: 1
; AccumOffset: 4
; Occupancy: 8
; WaveLimiterHint : 0
; COMPUTE_PGM_RSRC2:SCRATCH_EN: 0
; COMPUTE_PGM_RSRC2:USER_SGPR: 2
; COMPUTE_PGM_RSRC2:TRAP_HANDLER: 0
; COMPUTE_PGM_RSRC2:TGID_X_EN: 1
; COMPUTE_PGM_RSRC2:TGID_Y_EN: 0
; COMPUTE_PGM_RSRC2:TGID_Z_EN: 0
; COMPUTE_PGM_RSRC2:TIDIG_COMP_CNT: 0
; COMPUTE_PGM_RSRC3_GFX90A:ACCUM_OFFSET: 0
; COMPUTE_PGM_RSRC3_GFX90A:TG_SPLIT: 0
	.section	.text._ZN7rocprim17ROCPRIM_400000_NS6detail17trampoline_kernelINS0_14default_configENS1_27scan_by_key_config_selectorIiiEEZZNS1_16scan_by_key_implILNS1_25lookback_scan_determinismE0ELb0ES3_N6thrust23THRUST_200600_302600_NS16reverse_iteratorIPKiEESD_NSA_IPiEEiN6hipcub16HIPCUB_304000_NS3MaxENSH_8EqualityEiEE10hipError_tPvRmT2_T3_T4_T5_mT6_T7_P12ihipStream_tbENKUlT_T0_E_clISt17integral_constantIbLb1EES10_EEDaSV_SW_EUlSV_E_NS1_11comp_targetILNS1_3genE5ELNS1_11target_archE942ELNS1_3gpuE9ELNS1_3repE0EEENS1_30default_config_static_selectorELNS0_4arch9wavefront6targetE1EEEvT1_,"axG",@progbits,_ZN7rocprim17ROCPRIM_400000_NS6detail17trampoline_kernelINS0_14default_configENS1_27scan_by_key_config_selectorIiiEEZZNS1_16scan_by_key_implILNS1_25lookback_scan_determinismE0ELb0ES3_N6thrust23THRUST_200600_302600_NS16reverse_iteratorIPKiEESD_NSA_IPiEEiN6hipcub16HIPCUB_304000_NS3MaxENSH_8EqualityEiEE10hipError_tPvRmT2_T3_T4_T5_mT6_T7_P12ihipStream_tbENKUlT_T0_E_clISt17integral_constantIbLb1EES10_EEDaSV_SW_EUlSV_E_NS1_11comp_targetILNS1_3genE5ELNS1_11target_archE942ELNS1_3gpuE9ELNS1_3repE0EEENS1_30default_config_static_selectorELNS0_4arch9wavefront6targetE1EEEvT1_,comdat
	.protected	_ZN7rocprim17ROCPRIM_400000_NS6detail17trampoline_kernelINS0_14default_configENS1_27scan_by_key_config_selectorIiiEEZZNS1_16scan_by_key_implILNS1_25lookback_scan_determinismE0ELb0ES3_N6thrust23THRUST_200600_302600_NS16reverse_iteratorIPKiEESD_NSA_IPiEEiN6hipcub16HIPCUB_304000_NS3MaxENSH_8EqualityEiEE10hipError_tPvRmT2_T3_T4_T5_mT6_T7_P12ihipStream_tbENKUlT_T0_E_clISt17integral_constantIbLb1EES10_EEDaSV_SW_EUlSV_E_NS1_11comp_targetILNS1_3genE5ELNS1_11target_archE942ELNS1_3gpuE9ELNS1_3repE0EEENS1_30default_config_static_selectorELNS0_4arch9wavefront6targetE1EEEvT1_ ; -- Begin function _ZN7rocprim17ROCPRIM_400000_NS6detail17trampoline_kernelINS0_14default_configENS1_27scan_by_key_config_selectorIiiEEZZNS1_16scan_by_key_implILNS1_25lookback_scan_determinismE0ELb0ES3_N6thrust23THRUST_200600_302600_NS16reverse_iteratorIPKiEESD_NSA_IPiEEiN6hipcub16HIPCUB_304000_NS3MaxENSH_8EqualityEiEE10hipError_tPvRmT2_T3_T4_T5_mT6_T7_P12ihipStream_tbENKUlT_T0_E_clISt17integral_constantIbLb1EES10_EEDaSV_SW_EUlSV_E_NS1_11comp_targetILNS1_3genE5ELNS1_11target_archE942ELNS1_3gpuE9ELNS1_3repE0EEENS1_30default_config_static_selectorELNS0_4arch9wavefront6targetE1EEEvT1_
	.globl	_ZN7rocprim17ROCPRIM_400000_NS6detail17trampoline_kernelINS0_14default_configENS1_27scan_by_key_config_selectorIiiEEZZNS1_16scan_by_key_implILNS1_25lookback_scan_determinismE0ELb0ES3_N6thrust23THRUST_200600_302600_NS16reverse_iteratorIPKiEESD_NSA_IPiEEiN6hipcub16HIPCUB_304000_NS3MaxENSH_8EqualityEiEE10hipError_tPvRmT2_T3_T4_T5_mT6_T7_P12ihipStream_tbENKUlT_T0_E_clISt17integral_constantIbLb1EES10_EEDaSV_SW_EUlSV_E_NS1_11comp_targetILNS1_3genE5ELNS1_11target_archE942ELNS1_3gpuE9ELNS1_3repE0EEENS1_30default_config_static_selectorELNS0_4arch9wavefront6targetE1EEEvT1_
	.p2align	8
	.type	_ZN7rocprim17ROCPRIM_400000_NS6detail17trampoline_kernelINS0_14default_configENS1_27scan_by_key_config_selectorIiiEEZZNS1_16scan_by_key_implILNS1_25lookback_scan_determinismE0ELb0ES3_N6thrust23THRUST_200600_302600_NS16reverse_iteratorIPKiEESD_NSA_IPiEEiN6hipcub16HIPCUB_304000_NS3MaxENSH_8EqualityEiEE10hipError_tPvRmT2_T3_T4_T5_mT6_T7_P12ihipStream_tbENKUlT_T0_E_clISt17integral_constantIbLb1EES10_EEDaSV_SW_EUlSV_E_NS1_11comp_targetILNS1_3genE5ELNS1_11target_archE942ELNS1_3gpuE9ELNS1_3repE0EEENS1_30default_config_static_selectorELNS0_4arch9wavefront6targetE1EEEvT1_,@function
_ZN7rocprim17ROCPRIM_400000_NS6detail17trampoline_kernelINS0_14default_configENS1_27scan_by_key_config_selectorIiiEEZZNS1_16scan_by_key_implILNS1_25lookback_scan_determinismE0ELb0ES3_N6thrust23THRUST_200600_302600_NS16reverse_iteratorIPKiEESD_NSA_IPiEEiN6hipcub16HIPCUB_304000_NS3MaxENSH_8EqualityEiEE10hipError_tPvRmT2_T3_T4_T5_mT6_T7_P12ihipStream_tbENKUlT_T0_E_clISt17integral_constantIbLb1EES10_EEDaSV_SW_EUlSV_E_NS1_11comp_targetILNS1_3genE5ELNS1_11target_archE942ELNS1_3gpuE9ELNS1_3repE0EEENS1_30default_config_static_selectorELNS0_4arch9wavefront6targetE1EEEvT1_: ; @_ZN7rocprim17ROCPRIM_400000_NS6detail17trampoline_kernelINS0_14default_configENS1_27scan_by_key_config_selectorIiiEEZZNS1_16scan_by_key_implILNS1_25lookback_scan_determinismE0ELb0ES3_N6thrust23THRUST_200600_302600_NS16reverse_iteratorIPKiEESD_NSA_IPiEEiN6hipcub16HIPCUB_304000_NS3MaxENSH_8EqualityEiEE10hipError_tPvRmT2_T3_T4_T5_mT6_T7_P12ihipStream_tbENKUlT_T0_E_clISt17integral_constantIbLb1EES10_EEDaSV_SW_EUlSV_E_NS1_11comp_targetILNS1_3genE5ELNS1_11target_archE942ELNS1_3gpuE9ELNS1_3repE0EEENS1_30default_config_static_selectorELNS0_4arch9wavefront6targetE1EEEvT1_
; %bb.0:
	s_load_dwordx4 s[72:75], s[0:1], 0x28
	s_load_dwordx2 s[78:79], s[0:1], 0x38
	v_cmp_ne_u32_e64 s[4:5], 0, v0
	v_cmp_eq_u32_e64 s[54:55], 0, v0
	s_and_saveexec_b64 s[2:3], s[54:55]
	s_cbranch_execz .LBB65_4
; %bb.1:
	s_mov_b64 s[8:9], exec
	v_mbcnt_lo_u32_b32 v1, s8, 0
	v_mbcnt_hi_u32_b32 v1, s9, v1
	v_cmp_eq_u32_e32 vcc, 0, v1
                                        ; implicit-def: $vgpr2
	s_and_saveexec_b64 s[6:7], vcc
	s_cbranch_execz .LBB65_3
; %bb.2:
	s_load_dwordx2 s[10:11], s[0:1], 0x68
	s_bcnt1_i32_b64 s8, s[8:9]
	v_mov_b32_e32 v2, 0
	v_mov_b32_e32 v3, s8
	s_waitcnt lgkmcnt(0)
	global_atomic_add v2, v2, v3, s[10:11] sc0
.LBB65_3:
	s_or_b64 exec, exec, s[6:7]
	s_waitcnt vmcnt(0)
	v_readfirstlane_b32 s6, v2
	v_mov_b32_e32 v2, 0
	s_nop 0
	v_add_u32_e32 v1, s6, v1
	ds_write_b32 v2, v1
.LBB65_4:
	s_or_b64 exec, exec, s[2:3]
	s_load_dwordx8 s[56:63], s[0:1], 0x0
	s_load_dword s2, s[0:1], 0x40
	s_load_dwordx8 s[64:71], s[0:1], 0x48
	v_mov_b32_e32 v1, 0
	s_waitcnt lgkmcnt(0)
	s_sub_u32 s76, 0, s58
	s_subb_u32 s77, 0, s59
	s_lshl_b64 s[0:1], s[58:59], 2
	s_barrier
	ds_read_b32 v1, v1
	s_sub_u32 s3, s56, s0
	s_subb_u32 s6, s57, s1
	s_sub_u32 s7, s60, s0
	s_subb_u32 s8, s61, s1
	s_mul_i32 s0, s79, s2
	s_mul_hi_u32 s1, s78, s2
	s_add_i32 s9, s1, s0
	s_waitcnt lgkmcnt(0)
	v_readfirstlane_b32 s75, v1
	s_cmp_eq_u64 s[68:69], 0
	s_mul_i32 s0, s75, 0x1700
	s_cselect_b64 s[58:59], -1, 0
	s_mov_b32 s1, 0
	s_sub_u32 s56, 0, s0
	s_subb_u32 s57, 0, 0
	s_lshl_b64 s[0:1], s[0:1], 2
	s_sub_u32 s82, s3, s0
	s_subb_u32 s83, s6, s1
	s_sub_u32 s52, s7, s0
	s_mul_i32 s2, s78, s2
	s_subb_u32 s53, s8, s1
	s_add_u32 s60, s2, s75
	s_addc_u32 s61, s9, 0
	s_add_u32 s0, s64, -1
	s_addc_u32 s1, s65, -1
	v_mov_b64_e32 v[2:3], s[0:1]
	v_cmp_ge_u64_e64 s[2:3], s[60:61], v[2:3]
	s_mov_b64 s[10:11], 0
	s_mov_b64 s[6:7], -1
	s_and_b64 vcc, exec, s[2:3]
	s_mul_i32 s33, s0, 0xffffe900
	s_barrier
	s_barrier
	s_cbranch_vccz .LBB65_75
; %bb.5:
	v_mov_b32_e32 v1, s83
	v_add_co_u32_e64 v2, vcc, -4, s82
	s_add_i32 s84, s33, s74
	s_nop 0
	v_addc_co_u32_e32 v3, vcc, -1, v1, vcc
	flat_load_dword v1, v[2:3]
	s_add_u32 s68, s82, -4
	s_addc_u32 s69, s83, -1
	v_cmp_gt_u32_e32 vcc, s84, v0
	s_waitcnt vmcnt(0) lgkmcnt(0)
	v_mov_b32_e32 v4, v1
	s_and_saveexec_b64 s[6:7], vcc
	s_cbranch_execz .LBB65_7
; %bb.6:
	v_lshlrev_b32_e32 v2, 2, v0
	v_mov_b32_e32 v3, s69
	v_sub_co_u32_e64 v2, s[0:1], s68, v2
	s_nop 1
	v_subbrev_co_u32_e64 v3, s[0:1], 0, v3, s[0:1]
	flat_load_dword v4, v[2:3]
.LBB65_7:
	s_or_b64 exec, exec, s[6:7]
	v_or_b32_e32 v2, 0x100, v0
	v_cmp_gt_u32_e64 s[6:7], s84, v2
	v_mov_b32_e32 v5, v1
	s_and_saveexec_b64 s[8:9], s[6:7]
	s_cbranch_execz .LBB65_9
; %bb.8:
	v_lshlrev_b32_e32 v3, 2, v2
	v_mov_b32_e32 v5, s69
	v_sub_co_u32_e64 v6, s[0:1], s68, v3
	s_nop 1
	v_subbrev_co_u32_e64 v7, s[0:1], 0, v5, s[0:1]
	flat_load_dword v5, v[6:7]
.LBB65_9:
	s_or_b64 exec, exec, s[8:9]
	v_or_b32_e32 v3, 0x200, v0
	v_cmp_gt_u32_e64 s[8:9], s84, v3
	v_mov_b32_e32 v6, v1
	s_and_saveexec_b64 s[10:11], s[8:9]
	;; [unrolled: 14-line block ×21, first 2 shown]
	s_cbranch_execz .LBB65_49
; %bb.48:
	v_lshlrev_b32_e32 v28, 2, v29
	v_mov_b32_e32 v30, s69
	v_sub_co_u32_e64 v46, s[0:1], s68, v28
	s_nop 1
	v_subbrev_co_u32_e64 v47, s[0:1], 0, v30, s[0:1]
	flat_load_dword v46, v[46:47]
.LBB65_49:
	s_or_b64 exec, exec, s[50:51]
	v_or_b32_e32 v30, 0x1600, v0
	v_cmp_gt_u32_e64 s[50:51], s84, v30
	s_and_saveexec_b64 s[64:65], s[50:51]
	s_cbranch_execz .LBB65_51
; %bb.50:
	v_lshlrev_b32_e32 v1, 2, v30
	v_mov_b32_e32 v28, s69
	v_sub_co_u32_e64 v48, s[0:1], s68, v1
	s_nop 1
	v_subbrev_co_u32_e64 v49, s[0:1], 0, v28, s[0:1]
	flat_load_dword v1, v[48:49]
.LBB65_51:
	s_or_b64 exec, exec, s[64:65]
	s_lshl_b64 s[0:1], s[60:61], 2
	s_add_u32 s0, s70, s0
	s_addc_u32 s1, s71, s1
	s_add_u32 s64, s0, -4
	s_addc_u32 s65, s1, -1
	s_and_b64 s[0:1], s[58:59], exec
	s_cselect_b32 s0, s82, s64
	s_cselect_b32 s1, s83, s65
	s_cmp_eq_u64 s[60:61], 0
	v_lshlrev_b32_e32 v28, 2, v0
	s_cselect_b32 s1, s69, s1
	s_cselect_b32 s0, s68, s0
	s_waitcnt vmcnt(0) lgkmcnt(0)
	ds_write2st64_b32 v28, v4, v5 offset1:4
	ds_write2st64_b32 v28, v6, v7 offset0:8 offset1:12
	ds_write2st64_b32 v28, v8, v9 offset0:16 offset1:20
	;; [unrolled: 1-line block ×10, first 2 shown]
	ds_write_b32 v28, v1 offset:22528
	v_mov_b32_e32 v4, s0
	v_mov_b32_e32 v5, s1
	s_waitcnt lgkmcnt(0)
	s_barrier
	flat_load_dword v70, v[4:5]
	s_movk_i32 s0, 0x58
	v_mad_u32_u24 v1, v0, s0, v28
	s_movk_i32 s0, 0xffa8
	ds_read2_b32 v[68:69], v1 offset1:1
	ds_read2_b32 v[66:67], v1 offset0:2 offset1:3
	ds_read2_b32 v[64:65], v1 offset0:4 offset1:5
	ds_read2_b32 v[62:63], v1 offset0:6 offset1:7
	ds_read2_b32 v[8:9], v1 offset0:16 offset1:17
	ds_read2_b32 v[6:7], v1 offset0:18 offset1:19
	ds_read2_b32 v[4:5], v1 offset0:20 offset1:21
	ds_read_b32 v72, v1 offset:88
	ds_read2_b32 v[60:61], v1 offset0:8 offset1:9
	ds_read2_b32 v[58:59], v1 offset0:10 offset1:11
	;; [unrolled: 1-line block ×4, first 2 shown]
	v_mad_i32_i24 v31, v0, s0, v1
	s_waitcnt lgkmcnt(0)
	ds_write_b32 v31, v72 offset:23552
	s_waitcnt lgkmcnt(0)
	s_barrier
	s_and_saveexec_b64 s[0:1], s[4:5]
	s_cbranch_execz .LBB65_53
; %bb.52:
	v_mul_i32_i24_e32 v31, 0xffffffa8, v0
	v_add_u32_e32 v31, v1, v31
	s_waitcnt vmcnt(0)
	ds_read_b32 v70, v31 offset:23548
.LBB65_53:
	s_or_b64 exec, exec, s[0:1]
	s_add_u32 s64, s52, -4
	s_addc_u32 s65, s53, -1
	s_waitcnt lgkmcnt(0)
	s_barrier
	s_waitcnt lgkmcnt(0)
                                        ; implicit-def: $vgpr31
	s_and_saveexec_b64 s[0:1], vcc
	s_cbranch_execz .LBB65_76
; %bb.54:
	v_mov_b32_e32 v31, s65
	v_sub_co_u32_e32 v32, vcc, s64, v28
	s_nop 1
	v_subbrev_co_u32_e32 v33, vcc, 0, v31, vcc
	flat_load_dword v31, v[32:33]
	s_or_b64 exec, exec, s[0:1]
                                        ; implicit-def: $vgpr32
	s_and_saveexec_b64 s[0:1], s[6:7]
	s_cbranch_execnz .LBB65_77
.LBB65_55:
	s_or_b64 exec, exec, s[0:1]
                                        ; implicit-def: $vgpr2
	s_and_saveexec_b64 s[0:1], s[8:9]
	s_cbranch_execz .LBB65_78
.LBB65_56:
	v_lshlrev_b32_e32 v2, 2, v3
	v_mov_b32_e32 v3, s65
	v_sub_co_u32_e32 v2, vcc, s64, v2
	s_nop 1
	v_subbrev_co_u32_e32 v3, vcc, 0, v3, vcc
	flat_load_dword v2, v[2:3]
	s_or_b64 exec, exec, s[0:1]
                                        ; implicit-def: $vgpr3
	s_and_saveexec_b64 s[0:1], s[10:11]
	s_cbranch_execnz .LBB65_79
.LBB65_57:
	s_or_b64 exec, exec, s[0:1]
                                        ; implicit-def: $vgpr10
	s_and_saveexec_b64 s[0:1], s[12:13]
	s_cbranch_execz .LBB65_80
.LBB65_58:
	v_lshlrev_b32_e32 v10, 2, v11
	v_mov_b32_e32 v11, s65
	v_sub_co_u32_e32 v10, vcc, s64, v10
	s_nop 1
	v_subbrev_co_u32_e32 v11, vcc, 0, v11, vcc
	flat_load_dword v10, v[10:11]
	s_or_b64 exec, exec, s[0:1]
                                        ; implicit-def: $vgpr11
	s_and_saveexec_b64 s[0:1], s[14:15]
	s_cbranch_execnz .LBB65_81
.LBB65_59:
	s_or_b64 exec, exec, s[0:1]
                                        ; implicit-def: $vgpr12
	s_and_saveexec_b64 s[0:1], s[16:17]
	s_cbranch_execz .LBB65_82
.LBB65_60:
	v_lshlrev_b32_e32 v12, 2, v13
	v_mov_b32_e32 v13, s65
	v_sub_co_u32_e32 v12, vcc, s64, v12
	s_nop 1
	v_subbrev_co_u32_e32 v13, vcc, 0, v13, vcc
	flat_load_dword v12, v[12:13]
	s_or_b64 exec, exec, s[0:1]
                                        ; implicit-def: $vgpr13
	s_and_saveexec_b64 s[0:1], s[18:19]
	s_cbranch_execnz .LBB65_83
.LBB65_61:
	s_or_b64 exec, exec, s[0:1]
                                        ; implicit-def: $vgpr14
	s_and_saveexec_b64 s[0:1], s[20:21]
	s_cbranch_execz .LBB65_84
.LBB65_62:
	v_lshlrev_b32_e32 v14, 2, v15
	v_mov_b32_e32 v15, s65
	v_sub_co_u32_e32 v14, vcc, s64, v14
	s_nop 1
	v_subbrev_co_u32_e32 v15, vcc, 0, v15, vcc
	flat_load_dword v14, v[14:15]
	s_or_b64 exec, exec, s[0:1]
                                        ; implicit-def: $vgpr15
	s_and_saveexec_b64 s[0:1], s[22:23]
	s_cbranch_execnz .LBB65_85
.LBB65_63:
	s_or_b64 exec, exec, s[0:1]
                                        ; implicit-def: $vgpr16
	s_and_saveexec_b64 s[0:1], s[24:25]
	s_cbranch_execz .LBB65_86
.LBB65_64:
	v_lshlrev_b32_e32 v16, 2, v17
	v_mov_b32_e32 v17, s65
	v_sub_co_u32_e32 v16, vcc, s64, v16
	s_nop 1
	v_subbrev_co_u32_e32 v17, vcc, 0, v17, vcc
	flat_load_dword v16, v[16:17]
	s_or_b64 exec, exec, s[0:1]
                                        ; implicit-def: $vgpr17
	s_and_saveexec_b64 s[0:1], s[26:27]
	s_cbranch_execnz .LBB65_87
.LBB65_65:
	s_or_b64 exec, exec, s[0:1]
                                        ; implicit-def: $vgpr18
	s_and_saveexec_b64 s[0:1], s[28:29]
	s_cbranch_execz .LBB65_88
.LBB65_66:
	v_lshlrev_b32_e32 v18, 2, v19
	v_mov_b32_e32 v19, s65
	v_sub_co_u32_e32 v18, vcc, s64, v18
	s_nop 1
	v_subbrev_co_u32_e32 v19, vcc, 0, v19, vcc
	flat_load_dword v18, v[18:19]
	s_or_b64 exec, exec, s[0:1]
                                        ; implicit-def: $vgpr19
	s_and_saveexec_b64 s[0:1], s[30:31]
	s_cbranch_execnz .LBB65_89
.LBB65_67:
	s_or_b64 exec, exec, s[0:1]
                                        ; implicit-def: $vgpr20
	s_and_saveexec_b64 s[0:1], s[34:35]
	s_cbranch_execz .LBB65_90
.LBB65_68:
	v_lshlrev_b32_e32 v20, 2, v21
	v_mov_b32_e32 v21, s65
	v_sub_co_u32_e32 v20, vcc, s64, v20
	s_nop 1
	v_subbrev_co_u32_e32 v21, vcc, 0, v21, vcc
	flat_load_dword v20, v[20:21]
	s_or_b64 exec, exec, s[0:1]
                                        ; implicit-def: $vgpr21
	s_and_saveexec_b64 s[0:1], s[36:37]
	s_cbranch_execnz .LBB65_91
.LBB65_69:
	s_or_b64 exec, exec, s[0:1]
                                        ; implicit-def: $vgpr22
	s_and_saveexec_b64 s[0:1], s[38:39]
	s_cbranch_execz .LBB65_92
.LBB65_70:
	v_lshlrev_b32_e32 v22, 2, v23
	v_mov_b32_e32 v23, s65
	v_sub_co_u32_e32 v22, vcc, s64, v22
	s_nop 1
	v_subbrev_co_u32_e32 v23, vcc, 0, v23, vcc
	flat_load_dword v22, v[22:23]
	s_or_b64 exec, exec, s[0:1]
                                        ; implicit-def: $vgpr23
	s_and_saveexec_b64 s[0:1], s[40:41]
	s_cbranch_execnz .LBB65_93
.LBB65_71:
	s_or_b64 exec, exec, s[0:1]
                                        ; implicit-def: $vgpr24
	s_and_saveexec_b64 s[0:1], s[42:43]
	s_cbranch_execz .LBB65_94
.LBB65_72:
	v_lshlrev_b32_e32 v24, 2, v25
	v_mov_b32_e32 v25, s65
	v_sub_co_u32_e32 v24, vcc, s64, v24
	s_nop 1
	v_subbrev_co_u32_e32 v25, vcc, 0, v25, vcc
	flat_load_dword v24, v[24:25]
	s_or_b64 exec, exec, s[0:1]
                                        ; implicit-def: $vgpr25
	s_and_saveexec_b64 s[0:1], s[44:45]
	s_cbranch_execnz .LBB65_95
.LBB65_73:
	s_or_b64 exec, exec, s[0:1]
                                        ; implicit-def: $vgpr26
	s_and_saveexec_b64 s[0:1], s[46:47]
	s_cbranch_execz .LBB65_96
.LBB65_74:
	v_lshlrev_b32_e32 v26, 2, v27
	v_mov_b32_e32 v27, s65
	v_sub_co_u32_e32 v26, vcc, s64, v26
	s_nop 1
	v_subbrev_co_u32_e32 v27, vcc, 0, v27, vcc
	flat_load_dword v26, v[26:27]
	s_or_b64 exec, exec, s[0:1]
                                        ; implicit-def: $vgpr27
	s_and_saveexec_b64 s[0:1], s[48:49]
	s_cbranch_execz .LBB65_98
	s_branch .LBB65_97
.LBB65_75:
                                        ; implicit-def: $sgpr0_sgpr1
                                        ; implicit-def: $vgpr3
                                        ; implicit-def: $vgpr10_vgpr11
                                        ; implicit-def: $vgpr12_vgpr13
                                        ; implicit-def: $vgpr14_vgpr15
                                        ; implicit-def: $vgpr16_vgpr17
                                        ; implicit-def: $vgpr18_vgpr19
                                        ; implicit-def: $vgpr20_vgpr21
                                        ; implicit-def: $vgpr22_vgpr23
                                        ; implicit-def: $vgpr24_vgpr25
                                        ; implicit-def: $vgpr26_vgpr27
                                        ; implicit-def: $vgpr28_vgpr29
                                        ; implicit-def: $vgpr30_vgpr31
                                        ; implicit-def: $vgpr32_vgpr33
                                        ; implicit-def: $vgpr34_vgpr35
                                        ; implicit-def: $vgpr36_vgpr37
                                        ; implicit-def: $vgpr38_vgpr39
                                        ; implicit-def: $vgpr40_vgpr41
                                        ; implicit-def: $vgpr42_vgpr43
                                        ; implicit-def: $vgpr44_vgpr45
                                        ; implicit-def: $vgpr46_vgpr47
                                        ; implicit-def: $vgpr48_vgpr49
                                        ; implicit-def: $vgpr50_vgpr51
                                        ; implicit-def: $vgpr52_vgpr53
                                        ; implicit-def: $sgpr8_sgpr9
	s_and_b64 vcc, exec, s[6:7]
	v_lshlrev_b32_e32 v1, 2, v0
	s_cbranch_vccz .LBB65_148
	s_branch .LBB65_145
.LBB65_76:
	s_or_b64 exec, exec, s[0:1]
                                        ; implicit-def: $vgpr32
	s_and_saveexec_b64 s[0:1], s[6:7]
	s_cbranch_execz .LBB65_55
.LBB65_77:
	v_lshlrev_b32_e32 v2, 2, v2
	v_mov_b32_e32 v33, s65
	v_sub_co_u32_e32 v32, vcc, s64, v2
	s_nop 1
	v_subbrev_co_u32_e32 v33, vcc, 0, v33, vcc
	flat_load_dword v32, v[32:33]
	s_or_b64 exec, exec, s[0:1]
                                        ; implicit-def: $vgpr2
	s_and_saveexec_b64 s[0:1], s[8:9]
	s_cbranch_execnz .LBB65_56
.LBB65_78:
	s_or_b64 exec, exec, s[0:1]
                                        ; implicit-def: $vgpr3
	s_and_saveexec_b64 s[0:1], s[10:11]
	s_cbranch_execz .LBB65_57
.LBB65_79:
	v_lshlrev_b32_e32 v3, 2, v10
	v_mov_b32_e32 v10, s65
	v_sub_co_u32_e32 v34, vcc, s64, v3
	s_nop 1
	v_subbrev_co_u32_e32 v35, vcc, 0, v10, vcc
	flat_load_dword v3, v[34:35]
	s_or_b64 exec, exec, s[0:1]
                                        ; implicit-def: $vgpr10
	s_and_saveexec_b64 s[0:1], s[12:13]
	s_cbranch_execnz .LBB65_58
.LBB65_80:
	s_or_b64 exec, exec, s[0:1]
                                        ; implicit-def: $vgpr11
	s_and_saveexec_b64 s[0:1], s[14:15]
	s_cbranch_execz .LBB65_59
.LBB65_81:
	v_lshlrev_b32_e32 v11, 2, v12
	v_mov_b32_e32 v12, s65
	v_sub_co_u32_e32 v34, vcc, s64, v11
	s_nop 1
	v_subbrev_co_u32_e32 v35, vcc, 0, v12, vcc
	flat_load_dword v11, v[34:35]
	s_or_b64 exec, exec, s[0:1]
                                        ; implicit-def: $vgpr12
	s_and_saveexec_b64 s[0:1], s[16:17]
	s_cbranch_execnz .LBB65_60
.LBB65_82:
	s_or_b64 exec, exec, s[0:1]
                                        ; implicit-def: $vgpr13
	s_and_saveexec_b64 s[0:1], s[18:19]
	s_cbranch_execz .LBB65_61
.LBB65_83:
	v_lshlrev_b32_e32 v13, 2, v14
	v_mov_b32_e32 v14, s65
	v_sub_co_u32_e32 v34, vcc, s64, v13
	s_nop 1
	v_subbrev_co_u32_e32 v35, vcc, 0, v14, vcc
	flat_load_dword v13, v[34:35]
	s_or_b64 exec, exec, s[0:1]
                                        ; implicit-def: $vgpr14
	s_and_saveexec_b64 s[0:1], s[20:21]
	s_cbranch_execnz .LBB65_62
.LBB65_84:
	s_or_b64 exec, exec, s[0:1]
                                        ; implicit-def: $vgpr15
	s_and_saveexec_b64 s[0:1], s[22:23]
	s_cbranch_execz .LBB65_63
.LBB65_85:
	v_lshlrev_b32_e32 v15, 2, v16
	v_mov_b32_e32 v16, s65
	v_sub_co_u32_e32 v34, vcc, s64, v15
	s_nop 1
	v_subbrev_co_u32_e32 v35, vcc, 0, v16, vcc
	flat_load_dword v15, v[34:35]
	s_or_b64 exec, exec, s[0:1]
                                        ; implicit-def: $vgpr16
	s_and_saveexec_b64 s[0:1], s[24:25]
	s_cbranch_execnz .LBB65_64
.LBB65_86:
	s_or_b64 exec, exec, s[0:1]
                                        ; implicit-def: $vgpr17
	s_and_saveexec_b64 s[0:1], s[26:27]
	s_cbranch_execz .LBB65_65
.LBB65_87:
	v_lshlrev_b32_e32 v17, 2, v18
	v_mov_b32_e32 v18, s65
	v_sub_co_u32_e32 v34, vcc, s64, v17
	s_nop 1
	v_subbrev_co_u32_e32 v35, vcc, 0, v18, vcc
	flat_load_dword v17, v[34:35]
	s_or_b64 exec, exec, s[0:1]
                                        ; implicit-def: $vgpr18
	s_and_saveexec_b64 s[0:1], s[28:29]
	s_cbranch_execnz .LBB65_66
.LBB65_88:
	s_or_b64 exec, exec, s[0:1]
                                        ; implicit-def: $vgpr19
	s_and_saveexec_b64 s[0:1], s[30:31]
	s_cbranch_execz .LBB65_67
.LBB65_89:
	v_lshlrev_b32_e32 v19, 2, v20
	v_mov_b32_e32 v20, s65
	v_sub_co_u32_e32 v34, vcc, s64, v19
	s_nop 1
	v_subbrev_co_u32_e32 v35, vcc, 0, v20, vcc
	flat_load_dword v19, v[34:35]
	s_or_b64 exec, exec, s[0:1]
                                        ; implicit-def: $vgpr20
	s_and_saveexec_b64 s[0:1], s[34:35]
	s_cbranch_execnz .LBB65_68
.LBB65_90:
	s_or_b64 exec, exec, s[0:1]
                                        ; implicit-def: $vgpr21
	s_and_saveexec_b64 s[0:1], s[36:37]
	s_cbranch_execz .LBB65_69
.LBB65_91:
	v_lshlrev_b32_e32 v21, 2, v22
	v_mov_b32_e32 v22, s65
	v_sub_co_u32_e32 v34, vcc, s64, v21
	s_nop 1
	v_subbrev_co_u32_e32 v35, vcc, 0, v22, vcc
	flat_load_dword v21, v[34:35]
	s_or_b64 exec, exec, s[0:1]
                                        ; implicit-def: $vgpr22
	s_and_saveexec_b64 s[0:1], s[38:39]
	s_cbranch_execnz .LBB65_70
.LBB65_92:
	s_or_b64 exec, exec, s[0:1]
                                        ; implicit-def: $vgpr23
	s_and_saveexec_b64 s[0:1], s[40:41]
	s_cbranch_execz .LBB65_71
.LBB65_93:
	v_lshlrev_b32_e32 v23, 2, v24
	v_mov_b32_e32 v24, s65
	v_sub_co_u32_e32 v34, vcc, s64, v23
	s_nop 1
	v_subbrev_co_u32_e32 v35, vcc, 0, v24, vcc
	flat_load_dword v23, v[34:35]
	s_or_b64 exec, exec, s[0:1]
                                        ; implicit-def: $vgpr24
	s_and_saveexec_b64 s[0:1], s[42:43]
	s_cbranch_execnz .LBB65_72
.LBB65_94:
	s_or_b64 exec, exec, s[0:1]
                                        ; implicit-def: $vgpr25
	s_and_saveexec_b64 s[0:1], s[44:45]
	s_cbranch_execz .LBB65_73
.LBB65_95:
	v_lshlrev_b32_e32 v25, 2, v26
	v_mov_b32_e32 v26, s65
	v_sub_co_u32_e32 v34, vcc, s64, v25
	s_nop 1
	v_subbrev_co_u32_e32 v35, vcc, 0, v26, vcc
	flat_load_dword v25, v[34:35]
	s_or_b64 exec, exec, s[0:1]
                                        ; implicit-def: $vgpr26
	s_and_saveexec_b64 s[0:1], s[46:47]
	s_cbranch_execnz .LBB65_74
.LBB65_96:
	s_or_b64 exec, exec, s[0:1]
                                        ; implicit-def: $vgpr27
	s_and_saveexec_b64 s[0:1], s[48:49]
	s_cbranch_execz .LBB65_98
.LBB65_97:
	v_lshlrev_b32_e32 v27, 2, v29
	v_mov_b32_e32 v29, s65
	v_sub_co_u32_e32 v34, vcc, s64, v27
	s_nop 1
	v_subbrev_co_u32_e32 v35, vcc, 0, v29, vcc
	flat_load_dword v27, v[34:35]
.LBB65_98:
	s_or_b64 exec, exec, s[0:1]
	v_mul_u32_u24_e32 v73, 23, v0
                                        ; implicit-def: $vgpr29
	s_and_saveexec_b64 s[0:1], s[50:51]
	s_cbranch_execz .LBB65_100
; %bb.99:
	v_lshlrev_b32_e32 v29, 2, v30
	v_mov_b32_e32 v30, s65
	v_sub_co_u32_e32 v34, vcc, s64, v29
	s_nop 1
	v_subbrev_co_u32_e32 v35, vcc, 0, v30, vcc
	flat_load_dword v29, v[34:35]
.LBB65_100:
	s_or_b64 exec, exec, s[0:1]
	s_waitcnt vmcnt(0) lgkmcnt(0)
	ds_write2st64_b32 v28, v31, v32 offset1:4
	ds_write2st64_b32 v28, v2, v3 offset0:8 offset1:12
	ds_write2st64_b32 v28, v10, v11 offset0:16 offset1:20
	;; [unrolled: 1-line block ×10, first 2 shown]
	ds_write_b32 v28, v29 offset:22528
	v_mov_b64_e32 v[10:11], 0
	v_cmp_gt_u32_e32 vcc, s84, v73
	s_mov_b64 s[10:11], 0
	s_mov_b64 s[6:7], 0
	v_mov_b64_e32 v[12:13], v[10:11]
	v_mov_b64_e32 v[14:15], v[10:11]
	;; [unrolled: 1-line block ×21, first 2 shown]
	s_waitcnt lgkmcnt(0)
	s_barrier
	s_waitcnt lgkmcnt(0)
                                        ; implicit-def: $sgpr0_sgpr1
                                        ; implicit-def: $vgpr3
	s_and_saveexec_b64 s[8:9], vcc
	s_cbranch_execz .LBB65_144
; %bb.101:
	ds_read_b32 v10, v1
	v_add_u32_e32 v2, 1, v73
	v_cmp_ne_u32_e32 vcc, v70, v68
	v_mov_b64_e32 v[12:13], 0
	s_mov_b64 s[12:13], 0
	v_cndmask_b32_e64 v11, 0, 1, vcc
	v_cmp_gt_u32_e32 vcc, s84, v2
	s_mov_b64 s[0:1], 0
	v_mov_b64_e32 v[14:15], v[12:13]
	v_mov_b64_e32 v[16:17], v[12:13]
	;; [unrolled: 1-line block ×20, first 2 shown]
                                        ; implicit-def: $sgpr14_sgpr15
                                        ; implicit-def: $vgpr3
	s_and_saveexec_b64 s[10:11], vcc
	s_cbranch_execz .LBB65_143
; %bb.102:
	ds_read2_b32 v[70:71], v1 offset0:1 offset1:2
	v_add_u32_e32 v2, 2, v73
	v_cmp_ne_u32_e32 vcc, v68, v69
	v_mov_b64_e32 v[14:15], 0
	s_mov_b64 s[16:17], 0
	v_cndmask_b32_e64 v13, 0, 1, vcc
	v_cmp_gt_u32_e32 vcc, s84, v2
	s_waitcnt lgkmcnt(0)
	v_mov_b32_e32 v12, v70
	v_mov_b64_e32 v[16:17], v[14:15]
	v_mov_b64_e32 v[18:19], v[14:15]
	;; [unrolled: 1-line block ×19, first 2 shown]
                                        ; implicit-def: $sgpr14_sgpr15
                                        ; implicit-def: $vgpr3
	s_and_saveexec_b64 s[12:13], vcc
	s_cbranch_execz .LBB65_142
; %bb.103:
	v_add_u32_e32 v2, 3, v73
	v_cmp_ne_u32_e32 vcc, v69, v66
	v_mov_b64_e32 v[16:17], 0
	v_mov_b32_e32 v14, v71
	v_cndmask_b32_e64 v15, 0, 1, vcc
	v_cmp_gt_u32_e32 vcc, s84, v2
	v_mov_b64_e32 v[18:19], v[16:17]
	v_mov_b64_e32 v[20:21], v[16:17]
	;; [unrolled: 1-line block ×18, first 2 shown]
                                        ; implicit-def: $sgpr18_sgpr19
                                        ; implicit-def: $vgpr3
	s_and_saveexec_b64 s[14:15], vcc
	s_cbranch_execz .LBB65_141
; %bb.104:
	ds_read2_b32 v[68:69], v1 offset0:3 offset1:4
	v_add_u32_e32 v2, 4, v73
	v_cmp_ne_u32_e32 vcc, v66, v67
	v_mov_b64_e32 v[18:19], 0
	s_mov_b64 s[20:21], 0
	v_cndmask_b32_e64 v17, 0, 1, vcc
	v_cmp_gt_u32_e32 vcc, s84, v2
	s_waitcnt lgkmcnt(0)
	v_mov_b32_e32 v16, v68
	v_mov_b64_e32 v[20:21], v[18:19]
	v_mov_b64_e32 v[22:23], v[18:19]
	;; [unrolled: 1-line block ×17, first 2 shown]
                                        ; implicit-def: $sgpr18_sgpr19
                                        ; implicit-def: $vgpr3
	s_and_saveexec_b64 s[16:17], vcc
	s_cbranch_execz .LBB65_140
; %bb.105:
	v_add_u32_e32 v2, 5, v73
	v_cmp_ne_u32_e32 vcc, v67, v64
	v_mov_b64_e32 v[20:21], 0
	v_mov_b32_e32 v18, v69
	v_cndmask_b32_e64 v19, 0, 1, vcc
	v_cmp_gt_u32_e32 vcc, s84, v2
	v_mov_b64_e32 v[22:23], v[20:21]
	v_mov_b64_e32 v[24:25], v[20:21]
	;; [unrolled: 1-line block ×16, first 2 shown]
                                        ; implicit-def: $sgpr22_sgpr23
                                        ; implicit-def: $vgpr3
	s_and_saveexec_b64 s[18:19], vcc
	s_cbranch_execz .LBB65_139
; %bb.106:
	ds_read2_b32 v[66:67], v1 offset0:5 offset1:6
	v_add_u32_e32 v2, 6, v73
	v_cmp_ne_u32_e32 vcc, v64, v65
	v_mov_b64_e32 v[22:23], 0
	s_mov_b64 s[24:25], 0
	v_cndmask_b32_e64 v21, 0, 1, vcc
	v_cmp_gt_u32_e32 vcc, s84, v2
	s_waitcnt lgkmcnt(0)
	v_mov_b32_e32 v20, v66
	v_mov_b64_e32 v[24:25], v[22:23]
	v_mov_b64_e32 v[26:27], v[22:23]
	;; [unrolled: 1-line block ×15, first 2 shown]
                                        ; implicit-def: $sgpr22_sgpr23
                                        ; implicit-def: $vgpr3
	s_and_saveexec_b64 s[20:21], vcc
	s_cbranch_execz .LBB65_138
; %bb.107:
	v_add_u32_e32 v2, 7, v73
	v_cmp_ne_u32_e32 vcc, v65, v62
	v_mov_b64_e32 v[24:25], 0
	v_mov_b32_e32 v22, v67
	v_cndmask_b32_e64 v23, 0, 1, vcc
	v_cmp_gt_u32_e32 vcc, s84, v2
	v_mov_b64_e32 v[26:27], v[24:25]
	v_mov_b64_e32 v[28:29], v[24:25]
	;; [unrolled: 1-line block ×14, first 2 shown]
                                        ; implicit-def: $sgpr26_sgpr27
                                        ; implicit-def: $vgpr3
	s_and_saveexec_b64 s[22:23], vcc
	s_cbranch_execz .LBB65_137
; %bb.108:
	ds_read2_b32 v[64:65], v1 offset0:7 offset1:8
	v_add_u32_e32 v2, 8, v73
	v_cmp_ne_u32_e32 vcc, v62, v63
	v_mov_b64_e32 v[26:27], 0
	s_mov_b64 s[28:29], 0
	v_cndmask_b32_e64 v25, 0, 1, vcc
	v_cmp_gt_u32_e32 vcc, s84, v2
	s_waitcnt lgkmcnt(0)
	v_mov_b32_e32 v24, v64
	v_mov_b64_e32 v[28:29], v[26:27]
	v_mov_b64_e32 v[30:31], v[26:27]
	;; [unrolled: 1-line block ×13, first 2 shown]
                                        ; implicit-def: $sgpr26_sgpr27
                                        ; implicit-def: $vgpr3
	s_and_saveexec_b64 s[24:25], vcc
	s_cbranch_execz .LBB65_136
; %bb.109:
	v_add_u32_e32 v2, 9, v73
	v_cmp_ne_u32_e32 vcc, v63, v60
	v_mov_b64_e32 v[28:29], 0
	v_mov_b32_e32 v26, v65
	v_cndmask_b32_e64 v27, 0, 1, vcc
	v_cmp_gt_u32_e32 vcc, s84, v2
	v_mov_b64_e32 v[30:31], v[28:29]
	v_mov_b64_e32 v[32:33], v[28:29]
	;; [unrolled: 1-line block ×12, first 2 shown]
                                        ; implicit-def: $sgpr30_sgpr31
                                        ; implicit-def: $vgpr3
	s_and_saveexec_b64 s[26:27], vcc
	s_cbranch_execz .LBB65_135
; %bb.110:
	ds_read2_b32 v[62:63], v1 offset0:9 offset1:10
	v_add_u32_e32 v2, 10, v73
	v_cmp_ne_u32_e32 vcc, v60, v61
	v_mov_b64_e32 v[30:31], 0
	s_mov_b64 s[34:35], 0
	v_cndmask_b32_e64 v29, 0, 1, vcc
	v_cmp_gt_u32_e32 vcc, s84, v2
	s_waitcnt lgkmcnt(0)
	v_mov_b32_e32 v28, v62
	v_mov_b64_e32 v[32:33], v[30:31]
	v_mov_b64_e32 v[34:35], v[30:31]
	;; [unrolled: 1-line block ×11, first 2 shown]
                                        ; implicit-def: $sgpr30_sgpr31
                                        ; implicit-def: $vgpr3
	s_and_saveexec_b64 s[28:29], vcc
	s_cbranch_execz .LBB65_134
; %bb.111:
	v_add_u32_e32 v2, 11, v73
	v_cmp_ne_u32_e32 vcc, v61, v58
	v_mov_b64_e32 v[32:33], 0
	v_mov_b32_e32 v30, v63
	v_cndmask_b32_e64 v31, 0, 1, vcc
	v_cmp_gt_u32_e32 vcc, s84, v2
	v_mov_b64_e32 v[34:35], v[32:33]
	v_mov_b64_e32 v[36:37], v[32:33]
	;; [unrolled: 1-line block ×10, first 2 shown]
                                        ; implicit-def: $sgpr36_sgpr37
                                        ; implicit-def: $vgpr3
	s_and_saveexec_b64 s[30:31], vcc
	s_cbranch_execz .LBB65_133
; %bb.112:
	ds_read2_b32 v[60:61], v1 offset0:11 offset1:12
	v_add_u32_e32 v2, 12, v73
	v_cmp_ne_u32_e32 vcc, v58, v59
	v_mov_b64_e32 v[34:35], 0
	s_mov_b64 s[38:39], 0
	v_cndmask_b32_e64 v33, 0, 1, vcc
	v_cmp_gt_u32_e32 vcc, s84, v2
	s_waitcnt lgkmcnt(0)
	v_mov_b32_e32 v32, v60
	v_mov_b64_e32 v[36:37], v[34:35]
	v_mov_b64_e32 v[38:39], v[34:35]
	v_mov_b64_e32 v[40:41], v[34:35]
	v_mov_b64_e32 v[42:43], v[34:35]
	v_mov_b64_e32 v[44:45], v[34:35]
	v_mov_b64_e32 v[46:47], v[34:35]
	v_mov_b64_e32 v[48:49], v[34:35]
	v_mov_b64_e32 v[50:51], v[34:35]
	v_mov_b64_e32 v[52:53], v[34:35]
                                        ; implicit-def: $sgpr36_sgpr37
                                        ; implicit-def: $vgpr3
	s_and_saveexec_b64 s[34:35], vcc
	s_cbranch_execz .LBB65_132
; %bb.113:
	v_add_u32_e32 v2, 13, v73
	v_cmp_ne_u32_e32 vcc, v59, v56
	v_mov_b64_e32 v[36:37], 0
	v_mov_b32_e32 v34, v61
	v_cndmask_b32_e64 v35, 0, 1, vcc
	v_cmp_gt_u32_e32 vcc, s84, v2
	v_mov_b64_e32 v[38:39], v[36:37]
	v_mov_b64_e32 v[40:41], v[36:37]
	v_mov_b64_e32 v[42:43], v[36:37]
	v_mov_b64_e32 v[44:45], v[36:37]
	v_mov_b64_e32 v[46:47], v[36:37]
	v_mov_b64_e32 v[48:49], v[36:37]
	v_mov_b64_e32 v[50:51], v[36:37]
	v_mov_b64_e32 v[52:53], v[36:37]
                                        ; implicit-def: $sgpr40_sgpr41
                                        ; implicit-def: $vgpr3
	s_and_saveexec_b64 s[36:37], vcc
	s_cbranch_execz .LBB65_131
; %bb.114:
	ds_read2_b32 v[58:59], v1 offset0:13 offset1:14
	v_add_u32_e32 v2, 14, v73
	v_cmp_ne_u32_e32 vcc, v56, v57
	v_mov_b64_e32 v[38:39], 0
	s_mov_b64 s[42:43], 0
	v_cndmask_b32_e64 v37, 0, 1, vcc
	v_cmp_gt_u32_e32 vcc, s84, v2
	s_waitcnt lgkmcnt(0)
	v_mov_b32_e32 v36, v58
	v_mov_b64_e32 v[40:41], v[38:39]
	v_mov_b64_e32 v[42:43], v[38:39]
	;; [unrolled: 1-line block ×7, first 2 shown]
                                        ; implicit-def: $sgpr40_sgpr41
                                        ; implicit-def: $vgpr3
	s_and_saveexec_b64 s[38:39], vcc
	s_cbranch_execz .LBB65_130
; %bb.115:
	v_add_u32_e32 v2, 15, v73
	v_cmp_ne_u32_e32 vcc, v57, v54
	v_mov_b64_e32 v[40:41], 0
	v_mov_b32_e32 v38, v59
	v_cndmask_b32_e64 v39, 0, 1, vcc
	v_cmp_gt_u32_e32 vcc, s84, v2
	v_mov_b64_e32 v[42:43], v[40:41]
	v_mov_b64_e32 v[44:45], v[40:41]
	;; [unrolled: 1-line block ×6, first 2 shown]
                                        ; implicit-def: $sgpr44_sgpr45
                                        ; implicit-def: $vgpr3
	s_and_saveexec_b64 s[40:41], vcc
	s_cbranch_execz .LBB65_129
; %bb.116:
	ds_read2_b32 v[56:57], v1 offset0:15 offset1:16
	v_add_u32_e32 v2, 16, v73
	v_cmp_ne_u32_e32 vcc, v54, v55
	v_mov_b64_e32 v[42:43], 0
	s_mov_b64 s[46:47], 0
	v_cndmask_b32_e64 v41, 0, 1, vcc
	v_cmp_gt_u32_e32 vcc, s84, v2
	s_waitcnt lgkmcnt(0)
	v_mov_b32_e32 v40, v56
	v_mov_b64_e32 v[44:45], v[42:43]
	v_mov_b64_e32 v[46:47], v[42:43]
	;; [unrolled: 1-line block ×5, first 2 shown]
                                        ; implicit-def: $sgpr44_sgpr45
                                        ; implicit-def: $vgpr3
	s_and_saveexec_b64 s[42:43], vcc
	s_cbranch_execz .LBB65_128
; %bb.117:
	v_add_u32_e32 v2, 17, v73
	v_cmp_ne_u32_e32 vcc, v55, v8
	v_mov_b64_e32 v[44:45], 0
	v_mov_b32_e32 v42, v57
	v_cndmask_b32_e64 v43, 0, 1, vcc
	v_cmp_gt_u32_e32 vcc, s84, v2
	v_mov_b64_e32 v[46:47], v[44:45]
	v_mov_b64_e32 v[48:49], v[44:45]
	v_mov_b64_e32 v[50:51], v[44:45]
	v_mov_b64_e32 v[52:53], v[44:45]
                                        ; implicit-def: $sgpr48_sgpr49
                                        ; implicit-def: $vgpr3
	s_and_saveexec_b64 s[44:45], vcc
	s_cbranch_execz .LBB65_127
; %bb.118:
	ds_read2_b32 v[54:55], v1 offset0:17 offset1:18
	v_add_u32_e32 v2, 18, v73
	v_cmp_ne_u32_e32 vcc, v8, v9
	v_mov_b64_e32 v[46:47], 0
	s_mov_b64 s[50:51], 0
	v_cndmask_b32_e64 v45, 0, 1, vcc
	v_cmp_gt_u32_e32 vcc, s84, v2
	s_waitcnt lgkmcnt(0)
	v_mov_b32_e32 v44, v54
	v_mov_b64_e32 v[48:49], v[46:47]
	v_mov_b64_e32 v[50:51], v[46:47]
	v_mov_b64_e32 v[52:53], v[46:47]
                                        ; implicit-def: $sgpr48_sgpr49
                                        ; implicit-def: $vgpr3
	s_and_saveexec_b64 s[46:47], vcc
	s_cbranch_execz .LBB65_126
; %bb.119:
	v_add_u32_e32 v2, 19, v73
	v_cmp_ne_u32_e32 vcc, v9, v6
	v_mov_b64_e32 v[48:49], 0
	v_mov_b32_e32 v46, v55
	v_cndmask_b32_e64 v47, 0, 1, vcc
	v_cmp_gt_u32_e32 vcc, s84, v2
	v_mov_b64_e32 v[50:51], v[48:49]
	v_mov_b64_e32 v[52:53], v[48:49]
                                        ; implicit-def: $sgpr64_sgpr65
                                        ; implicit-def: $vgpr3
	s_and_saveexec_b64 s[48:49], vcc
	s_cbranch_execz .LBB65_125
; %bb.120:
	ds_read2_b32 v[8:9], v1 offset0:19 offset1:20
	v_add_u32_e32 v2, 20, v73
	v_cmp_ne_u32_e32 vcc, v6, v7
	v_mov_b64_e32 v[50:51], 0
	s_mov_b64 s[64:65], 0
	v_cndmask_b32_e64 v49, 0, 1, vcc
	v_cmp_gt_u32_e32 vcc, s84, v2
	s_waitcnt lgkmcnt(0)
	v_mov_b32_e32 v48, v8
	v_mov_b64_e32 v[52:53], v[50:51]
                                        ; implicit-def: $sgpr68_sgpr69
                                        ; implicit-def: $vgpr3
	s_and_saveexec_b64 s[50:51], vcc
	s_cbranch_execz .LBB65_124
; %bb.121:
	v_add_u32_e32 v2, 21, v73
	v_cmp_ne_u32_e32 vcc, v7, v4
	v_mov_b32_e32 v50, v9
	v_mov_b64_e32 v[52:53], 0
	v_cndmask_b32_e64 v51, 0, 1, vcc
	v_cmp_gt_u32_e32 vcc, s84, v2
                                        ; implicit-def: $sgpr68_sgpr69
                                        ; implicit-def: $vgpr3
	s_and_saveexec_b64 s[0:1], vcc
	s_xor_b64 s[80:81], exec, s[0:1]
	s_cbranch_execz .LBB65_123
; %bb.122:
	ds_read2_b32 v[2:3], v1 offset0:21 offset1:22
	v_add_u32_e32 v1, 22, v73
	v_cmp_ne_u32_e64 s[0:1], v4, v5
	v_cmp_ne_u32_e32 vcc, v5, v72
	s_and_b64 s[68:69], vcc, exec
	v_cndmask_b32_e64 v53, 0, 1, s[0:1]
	v_cmp_gt_u32_e64 s[0:1], s84, v1
	s_waitcnt lgkmcnt(0)
	v_mov_b32_e32 v52, v2
	s_and_b64 s[64:65], s[0:1], exec
.LBB65_123:
	s_or_b64 exec, exec, s[80:81]
	s_and_b64 s[68:69], s[68:69], exec
	s_and_b64 s[0:1], s[64:65], exec
.LBB65_124:
	s_or_b64 exec, exec, s[50:51]
	s_and_b64 s[64:65], s[68:69], exec
	s_and_b64 s[50:51], s[0:1], exec
.LBB65_125:
	s_or_b64 exec, exec, s[48:49]
	s_and_b64 s[48:49], s[64:65], exec
	s_and_b64 s[0:1], s[50:51], exec
.LBB65_126:
	s_or_b64 exec, exec, s[46:47]
	s_and_b64 s[48:49], s[48:49], exec
	s_and_b64 s[46:47], s[0:1], exec
.LBB65_127:
	s_or_b64 exec, exec, s[44:45]
	s_and_b64 s[44:45], s[48:49], exec
	s_and_b64 s[0:1], s[46:47], exec
.LBB65_128:
	s_or_b64 exec, exec, s[42:43]
	s_and_b64 s[44:45], s[44:45], exec
	s_and_b64 s[42:43], s[0:1], exec
.LBB65_129:
	s_or_b64 exec, exec, s[40:41]
	s_and_b64 s[40:41], s[44:45], exec
	s_and_b64 s[0:1], s[42:43], exec
.LBB65_130:
	s_or_b64 exec, exec, s[38:39]
	s_and_b64 s[40:41], s[40:41], exec
	s_and_b64 s[38:39], s[0:1], exec
.LBB65_131:
	s_or_b64 exec, exec, s[36:37]
	s_and_b64 s[36:37], s[40:41], exec
	s_and_b64 s[0:1], s[38:39], exec
.LBB65_132:
	s_or_b64 exec, exec, s[34:35]
	s_and_b64 s[36:37], s[36:37], exec
	s_and_b64 s[34:35], s[0:1], exec
.LBB65_133:
	s_or_b64 exec, exec, s[30:31]
	s_and_b64 s[30:31], s[36:37], exec
	s_and_b64 s[0:1], s[34:35], exec
.LBB65_134:
	s_or_b64 exec, exec, s[28:29]
	s_and_b64 s[30:31], s[30:31], exec
	s_and_b64 s[28:29], s[0:1], exec
.LBB65_135:
	s_or_b64 exec, exec, s[26:27]
	s_and_b64 s[26:27], s[30:31], exec
	s_and_b64 s[0:1], s[28:29], exec
.LBB65_136:
	s_or_b64 exec, exec, s[24:25]
	s_and_b64 s[26:27], s[26:27], exec
	s_and_b64 s[24:25], s[0:1], exec
.LBB65_137:
	s_or_b64 exec, exec, s[22:23]
	s_and_b64 s[22:23], s[26:27], exec
	s_and_b64 s[0:1], s[24:25], exec
.LBB65_138:
	s_or_b64 exec, exec, s[20:21]
	s_and_b64 s[22:23], s[22:23], exec
	s_and_b64 s[20:21], s[0:1], exec
.LBB65_139:
	s_or_b64 exec, exec, s[18:19]
	s_and_b64 s[18:19], s[22:23], exec
	s_and_b64 s[0:1], s[20:21], exec
.LBB65_140:
	s_or_b64 exec, exec, s[16:17]
	s_and_b64 s[18:19], s[18:19], exec
	s_and_b64 s[16:17], s[0:1], exec
.LBB65_141:
	s_or_b64 exec, exec, s[14:15]
	s_and_b64 s[14:15], s[18:19], exec
	s_and_b64 s[0:1], s[16:17], exec
.LBB65_142:
	s_or_b64 exec, exec, s[12:13]
	s_and_b64 s[14:15], s[14:15], exec
	s_and_b64 s[12:13], s[0:1], exec
.LBB65_143:
	s_or_b64 exec, exec, s[10:11]
	s_and_b64 s[0:1], s[14:15], exec
	s_and_b64 s[10:11], s[12:13], exec
.LBB65_144:
	s_or_b64 exec, exec, s[8:9]
	s_mov_b64 s[8:9], 0
	s_and_b64 vcc, exec, s[6:7]
	v_lshlrev_b32_e32 v1, 2, v0
	s_cbranch_vccz .LBB65_148
.LBB65_145:
	v_mov_b32_e32 v2, s83
	v_sub_co_u32_e32 v18, vcc, s82, v1
	s_add_u32 s6, s82, -4
	s_nop 0
	v_subbrev_co_u32_e32 v19, vcc, 0, v2, vcc
	v_add_co_u32_e32 v2, vcc, -4, v18
	s_addc_u32 s7, s83, -1
	s_nop 0
	v_addc_co_u32_e32 v3, vcc, -1, v19, vcc
	v_add_co_u32_e32 v4, vcc, 0xfffffbfc, v18
	s_lshl_b64 s[0:1], s[60:61], 2
	s_nop 0
	v_addc_co_u32_e32 v5, vcc, -1, v19, vcc
	v_add_co_u32_e32 v6, vcc, 0xfffff7fc, v18
	s_add_u32 s0, s70, s0
	s_nop 0
	v_addc_co_u32_e32 v7, vcc, -1, v19, vcc
	v_add_co_u32_e32 v8, vcc, 0xfffff3fc, v18
	s_addc_u32 s1, s71, s1
	s_nop 0
	v_addc_co_u32_e32 v9, vcc, -1, v19, vcc
	s_waitcnt lgkmcnt(0)
	v_add_co_u32_e32 v10, vcc, 0xffffeffc, v18
	s_add_u32 s8, s0, -4
	s_nop 0
	v_addc_co_u32_e32 v11, vcc, -1, v19, vcc
	v_add_co_u32_e32 v12, vcc, 0xffffebfc, v18
	s_addc_u32 s9, s1, -1
	s_nop 0
	v_addc_co_u32_e32 v13, vcc, -1, v19, vcc
	v_add_co_u32_e32 v14, vcc, 0xffffe7fc, v18
	s_and_b64 s[0:1], s[58:59], exec
	s_nop 0
	v_addc_co_u32_e32 v15, vcc, -1, v19, vcc
	v_add_co_u32_e32 v16, vcc, 0xffffe3fc, v18
	s_cselect_b32 s0, s82, s8
	s_nop 0
	v_addc_co_u32_e32 v17, vcc, -1, v19, vcc
	flat_load_dword v20, v[2:3]
	flat_load_dword v21, v[4:5]
	;; [unrolled: 1-line block ×8, first 2 shown]
	v_add_co_u32_e32 v2, vcc, 0xffffdffc, v18
	s_cselect_b32 s1, s83, s9
	s_nop 0
	v_addc_co_u32_e32 v3, vcc, -1, v19, vcc
	v_add_co_u32_e32 v4, vcc, 0xffffdbfc, v18
	s_cmp_eq_u64 s[60:61], 0
	s_nop 0
	v_addc_co_u32_e32 v5, vcc, -1, v19, vcc
	v_add_co_u32_e32 v6, vcc, 0xffffd7fc, v18
	s_cselect_b32 s1, s7, s1
	s_nop 0
	v_addc_co_u32_e32 v7, vcc, -1, v19, vcc
	v_add_co_u32_e32 v8, vcc, 0xffffd3fc, v18
	s_cselect_b32 s0, s6, s0
	s_nop 0
	v_addc_co_u32_e32 v9, vcc, -1, v19, vcc
	v_add_co_u32_e32 v10, vcc, 0xffffcffc, v18
	s_movk_i32 s11, 0xf3fc
	s_nop 0
	v_addc_co_u32_e32 v11, vcc, -1, v19, vcc
	v_add_co_u32_e32 v12, vcc, 0xffffcbfc, v18
	s_movk_i32 s10, 0xe3fc
	;; [unrolled: 4-line block ×4, first 2 shown]
	s_nop 0
	v_addc_co_u32_e32 v17, vcc, -1, v19, vcc
	flat_load_dword v28, v[2:3]
	flat_load_dword v29, v[4:5]
	;; [unrolled: 1-line block ×8, first 2 shown]
	v_add_co_u32_e32 v2, vcc, 0xffffbffc, v18
	s_movk_i32 s7, 0xb3fc
	s_nop 0
	v_addc_co_u32_e32 v3, vcc, -1, v19, vcc
	v_add_co_u32_e32 v4, vcc, 0xffffbbfc, v18
	s_movk_i32 s6, 0xa7fc
	s_nop 0
	v_addc_co_u32_e32 v5, vcc, -1, v19, vcc
	v_add_co_u32_e32 v6, vcc, 0xffffb7fc, v18
	s_nop 1
	v_addc_co_u32_e32 v7, vcc, -1, v19, vcc
	v_add_co_u32_e32 v8, vcc, 0xffffb3fc, v18
	s_nop 1
	v_addc_co_u32_e32 v9, vcc, -1, v19, vcc
	v_add_co_u32_e32 v10, vcc, 0xffffaffc, v18
	s_nop 1
	v_addc_co_u32_e32 v11, vcc, -1, v19, vcc
	v_add_co_u32_e32 v12, vcc, 0xffffabfc, v18
	s_nop 1
	v_addc_co_u32_e32 v13, vcc, -1, v19, vcc
	v_add_co_u32_e32 v14, vcc, 0xffffa7fc, v18
	s_nop 1
	v_addc_co_u32_e32 v15, vcc, -1, v19, vcc
	flat_load_dword v16, v[2:3]
	flat_load_dword v17, v[4:5]
	;; [unrolled: 1-line block ×7, first 2 shown]
	v_mov_b32_e32 v2, s0
	v_mov_b32_e32 v3, s1
	v_sub_co_u32_e32 v10, vcc, 0, v0
	s_waitcnt vmcnt(0) lgkmcnt(0)
	ds_write2st64_b32 v1, v20, v21 offset1:4
	ds_write2st64_b32 v1, v22, v23 offset0:8 offset1:12
	ds_write2st64_b32 v1, v24, v25 offset0:16 offset1:20
	;; [unrolled: 1-line block ×10, first 2 shown]
	ds_write_b32 v1, v38 offset:22528
	s_waitcnt lgkmcnt(0)
	s_barrier
	flat_load_dword v13, v[2:3]
	v_subb_co_u32_e64 v11, s[0:1], 0, 0, vcc
	s_movk_i32 s0, 0x58
	s_nop 0
	v_mad_u32_u24 v12, v0, s0, v1
	s_movk_i32 s0, 0xffa8
	ds_read2_b32 v[2:3], v12 offset1:1
	ds_read2_b32 v[18:19], v12 offset0:2 offset1:3
	ds_read2_b32 v[22:23], v12 offset0:4 offset1:5
	;; [unrolled: 1-line block ×6, first 2 shown]
	ds_read_b32 v14, v12 offset:88
	ds_read2_b32 v[30:31], v12 offset0:8 offset1:9
	ds_read2_b32 v[34:35], v12 offset0:10 offset1:11
	;; [unrolled: 1-line block ×4, first 2 shown]
	v_mad_i32_i24 v15, v0, s0, v12
	s_waitcnt lgkmcnt(0)
	ds_write_b32 v15, v14 offset:23552
	s_waitcnt lgkmcnt(0)
	s_barrier
	s_and_saveexec_b64 s[0:1], s[4:5]
	s_cbranch_execz .LBB65_147
; %bb.146:
	s_waitcnt vmcnt(0)
	v_mul_i32_i24_e32 v13, 0xffffffa8, v0
	v_add_u32_e32 v13, v12, v13
	ds_read_b32 v13, v13 offset:23548
.LBB65_147:
	s_or_b64 exec, exec, s[0:1]
	v_lshl_add_u64 v[10:11], v[10:11], 2, s[52:53]
	v_add_co_u32_e32 v16, vcc, s11, v10
	s_waitcnt lgkmcnt(0)
	s_nop 0
	v_addc_co_u32_e32 v17, vcc, -1, v11, vcc
	v_add_co_u32_e32 v20, vcc, s10, v10
	s_barrier
	s_nop 0
	v_addc_co_u32_e32 v21, vcc, -1, v11, vcc
	flat_load_dword v24, v[20:21] offset:3072
	flat_load_dword v25, v[20:21] offset:2048
	;; [unrolled: 1-line block ×3, first 2 shown]
	flat_load_dword v29, v[20:21]
	flat_load_dword v32, v[16:17] offset:3072
	flat_load_dword v33, v[16:17] offset:2048
	;; [unrolled: 1-line block ×3, first 2 shown]
	flat_load_dword v37, v[16:17]
	v_add_co_u32_e32 v16, vcc, s9, v10
	v_cmp_ne_u32_e64 s[0:1], v5, v14
	s_nop 0
	v_addc_co_u32_e32 v17, vcc, -1, v11, vcc
	v_add_co_u32_e32 v20, vcc, s8, v10
	s_mov_b64 s[10:11], -1
	s_nop 0
	v_addc_co_u32_e32 v21, vcc, -1, v11, vcc
	flat_load_dword v40, v[20:21] offset:3072
	flat_load_dword v41, v[20:21] offset:2048
	;; [unrolled: 1-line block ×3, first 2 shown]
	flat_load_dword v45, v[20:21]
	flat_load_dword v46, v[16:17] offset:3072
	flat_load_dword v47, v[16:17] offset:2048
	;; [unrolled: 1-line block ×3, first 2 shown]
	flat_load_dword v49, v[16:17]
	v_add_co_u32_e32 v16, vcc, s7, v10
                                        ; implicit-def: $sgpr8_sgpr9
	s_nop 1
	v_addc_co_u32_e32 v17, vcc, -1, v11, vcc
	v_add_co_u32_e32 v10, vcc, s6, v10
	s_nop 1
	v_addc_co_u32_e32 v11, vcc, -1, v11, vcc
	flat_load_dword v20, v[10:11]
	flat_load_dword v21, v[16:17] offset:3072
	flat_load_dword v50, v[16:17] offset:2048
	;; [unrolled: 1-line block ×3, first 2 shown]
	flat_load_dword v52, v[16:17]
	flat_load_dword v53, v[10:11] offset:2048
	flat_load_dword v54, v[10:11] offset:1024
	s_waitcnt vmcnt(0)
	v_cmp_ne_u32_e32 vcc, v13, v2
	s_waitcnt lgkmcnt(0)
	ds_write2st64_b32 v1, v32, v33 offset1:4
	ds_write2st64_b32 v1, v36, v37 offset0:8 offset1:12
	ds_write2st64_b32 v1, v24, v25 offset0:16 offset1:20
	;; [unrolled: 1-line block ×10, first 2 shown]
	ds_write_b32 v1, v20 offset:22528
	v_cndmask_b32_e64 v11, 0, 1, vcc
	v_cmp_ne_u32_e32 vcc, v2, v3
	s_waitcnt lgkmcnt(0)
	s_barrier
	v_cndmask_b32_e64 v13, 0, 1, vcc
	v_cmp_ne_u32_e32 vcc, v3, v18
	ds_read2_b32 v[16:17], v12 offset1:1
	ds_read2_b32 v[20:21], v12 offset0:2 offset1:3
	ds_read2_b32 v[24:25], v12 offset0:4 offset1:5
	;; [unrolled: 1-line block ×10, first 2 shown]
	ds_read_b32 v3, v12 offset:88
	v_cndmask_b32_e64 v15, 0, 1, vcc
	v_cmp_ne_u32_e32 vcc, v18, v19
	s_waitcnt lgkmcnt(11)
	v_mov_b32_e32 v12, v17
	v_mov_b32_e32 v10, v16
	v_cndmask_b32_e64 v17, 0, 1, vcc
	v_cmp_ne_u32_e32 vcc, v19, v22
	s_waitcnt lgkmcnt(10)
	v_mov_b32_e32 v16, v21
	v_mov_b32_e32 v14, v20
	;; [unrolled: 5-line block ×5, first 2 shown]
	v_cndmask_b32_e64 v25, 0, 1, vcc
	v_cmp_ne_u32_e32 vcc, v27, v30
	s_waitcnt lgkmcnt(6)
	v_mov_b32_e32 v32, v37
	s_waitcnt lgkmcnt(2)
	v_mov_b32_e32 v48, v51
	v_cndmask_b32_e64 v27, 0, 1, vcc
	v_cmp_ne_u32_e32 vcc, v30, v31
	v_mov_b32_e32 v30, v36
	v_mov_b32_e32 v36, v41
	v_cndmask_b32_e64 v29, 0, 1, vcc
	v_cmp_ne_u32_e32 vcc, v31, v34
	s_waitcnt lgkmcnt(1)
	v_mov_b32_e32 v52, v55
	v_cndmask_b32_e64 v31, 0, 1, vcc
	v_cmp_ne_u32_e32 vcc, v34, v35
	v_mov_b32_e32 v34, v40
	v_mov_b32_e32 v40, v45
	v_cndmask_b32_e64 v33, 0, 1, vcc
	v_cmp_ne_u32_e32 vcc, v35, v38
	s_nop 1
	v_cndmask_b32_e64 v35, 0, 1, vcc
	v_cmp_ne_u32_e32 vcc, v38, v39
	v_mov_b32_e32 v38, v44
	v_mov_b32_e32 v44, v47
	v_cndmask_b32_e64 v37, 0, 1, vcc
	v_cmp_ne_u32_e32 vcc, v39, v42
	s_nop 1
	v_cndmask_b32_e64 v39, 0, 1, vcc
	v_cmp_ne_u32_e32 vcc, v42, v43
	v_mov_b32_e32 v42, v46
	v_mov_b32_e32 v46, v50
	v_cndmask_b32_e64 v41, 0, 1, vcc
	v_cmp_ne_u32_e32 vcc, v43, v8
	v_mov_b32_e32 v50, v54
	s_nop 0
	v_cndmask_b32_e64 v43, 0, 1, vcc
	v_cmp_ne_u32_e32 vcc, v8, v9
	s_nop 1
	v_cndmask_b32_e64 v45, 0, 1, vcc
	v_cmp_ne_u32_e32 vcc, v9, v6
	;; [unrolled: 3-line block ×5, first 2 shown]
	s_nop 1
	v_cndmask_b32_e64 v53, 0, 1, vcc
.LBB65_148:
	v_mov_b64_e32 v[54:55], s[8:9]
	s_and_saveexec_b64 s[6:7], s[10:11]
	s_cbranch_execz .LBB65_150
; %bb.149:
	v_cndmask_b32_e64 v55, 0, 1, s[0:1]
	s_waitcnt lgkmcnt(0)
	v_mov_b32_e32 v54, v3
.LBB65_150:
	s_or_b64 exec, exec, s[6:7]
	s_mov_b32 s0, 0
	s_cmp_lg_u32 s75, 0
	v_or_b32_e32 v61, v55, v53
	v_lshrrev_b32_e32 v60, 5, v0
	v_cmp_gt_u32_e32 vcc, 64, v0
	s_waitcnt lgkmcnt(0)
	s_barrier
	s_cbranch_scc0 .LBB65_213
; %bb.151:
	s_mov_b32 s1, 1
	v_max_i32_e32 v2, v12, v10
	v_cmp_gt_u64_e64 s[6:7], s[0:1], v[12:13]
	v_cmp_gt_u64_e64 s[8:9], s[0:1], v[14:15]
	v_cmp_gt_u64_e64 s[10:11], s[0:1], v[16:17]
	v_cndmask_b32_e64 v2, v12, v2, s[6:7]
	v_max_i32_e32 v2, v14, v2
	v_cndmask_b32_e64 v2, v14, v2, s[8:9]
	v_max_i32_e32 v2, v16, v2
	v_cndmask_b32_e64 v2, v16, v2, s[10:11]
	v_max_i32_e32 v2, v18, v2
	v_cmp_gt_u64_e64 s[12:13], s[0:1], v[18:19]
	v_cmp_gt_u64_e64 s[14:15], s[0:1], v[20:21]
	v_cmp_gt_u64_e64 s[16:17], s[0:1], v[22:23]
	v_cndmask_b32_e64 v2, v18, v2, s[12:13]
	v_max_i32_e32 v2, v20, v2
	v_cndmask_b32_e64 v2, v20, v2, s[14:15]
	v_max_i32_e32 v2, v22, v2
	v_cndmask_b32_e64 v2, v22, v2, s[16:17]
	;; [unrolled: 9-line block ×7, first 2 shown]
	v_max_i32_e32 v2, v54, v2
	v_cmp_gt_u64_e64 s[50:51], s[0:1], v[54:55]
	s_nop 1
	v_cndmask_b32_e64 v62, v54, v2, s[50:51]
	v_or3_b32 v2, v61, v51, v49
	v_or3_b32 v2, v2, v47, v45
	;; [unrolled: 1-line block ×10, first 2 shown]
	v_and_b32_e32 v2, 1, v2
	v_cmp_eq_u32_e64 s[0:1], 1, v2
	v_add_lshl_u32 v2, v60, v0, 3
	s_nop 0
	v_cndmask_b32_e64 v63, v11, 1, s[0:1]
	ds_write_b32 v2, v62
	ds_write_b8 v2, v63 offset:4
	s_waitcnt lgkmcnt(0)
	s_barrier
	s_and_saveexec_b64 s[52:53], vcc
	s_cbranch_execz .LBB65_165
; %bb.152:
	v_lshrrev_b32_e32 v2, 3, v0
	v_add_lshl_u32 v4, v2, v1, 3
	ds_read2_b32 v[6:7], v4 offset0:2 offset1:4
	ds_read_b64 v[2:3], v4
	ds_read_u8 v8, v4 offset:12
	ds_read_u8 v9, v4 offset:20
	ds_read_b32 v56, v4 offset:24
	ds_read_u8 v57, v4 offset:28
	v_mov_b32_e32 v58, 0
	s_waitcnt lgkmcnt(4)
	v_max_i32_e32 v59, v6, v2
	s_waitcnt lgkmcnt(3)
	v_cmp_eq_u16_sdwa s[0:1], v8, v58 src0_sel:BYTE_0 src1_sel:DWORD
	v_and_b32_e32 v5, 1, v3
	s_nop 0
	v_cndmask_b32_e64 v6, v6, v59, s[0:1]
	v_max_i32_e32 v6, v7, v6
	s_waitcnt lgkmcnt(2)
	v_cmp_eq_u16_sdwa s[0:1], v9, v58 src0_sel:BYTE_0 src1_sel:DWORD
	s_nop 1
	v_cndmask_b32_e64 v6, v7, v6, s[0:1]
	s_waitcnt lgkmcnt(0)
	v_or_b32_e32 v7, v57, v9
	v_or_b32_e32 v7, v7, v8
	v_max_i32_e32 v6, v56, v6
	v_cmp_eq_u16_e64 s[0:1], 0, v57
	v_and_b32_e32 v7, 1, v7
	v_mbcnt_lo_u32_b32 v8, -1, 0
	v_cndmask_b32_e64 v6, v56, v6, s[0:1]
	v_cmp_eq_u32_e64 s[0:1], 1, v7
	v_and_b32_e32 v7, 0xffffff00, v3
	v_mbcnt_hi_u32_b32 v8, -1, v8
	v_cndmask_b32_e64 v9, v5, 1, s[0:1]
	v_and_b32_e32 v57, 15, v8
	v_or_b32_sdwa v56, v7, v9 dst_sel:DWORD dst_unused:UNUSED_PAD src0_sel:DWORD src1_sel:WORD_0
	v_mov_b32_dpp v59, v6 row_shr:1 row_mask:0xf bank_mask:0xf
	v_cmp_ne_u32_e64 s[0:1], 0, v57
	v_mov_b32_dpp v58, v56 row_shr:1 row_mask:0xf bank_mask:0xf
	s_and_saveexec_b64 s[58:59], s[0:1]
; %bb.153:
	v_max_i32_e32 v56, v6, v59
	v_cmp_eq_u16_e64 s[0:1], 0, v9
	v_and_b32_e32 v9, 1, v9
	s_nop 0
	v_cndmask_b32_e64 v6, v6, v56, s[0:1]
	v_and_b32_e32 v56, 1, v58
	v_cmp_eq_u32_e64 s[0:1], 1, v9
	s_nop 1
	v_cndmask_b32_e64 v9, v56, 1, s[0:1]
	v_or_b32_sdwa v56, v7, v9 dst_sel:DWORD dst_unused:UNUSED_PAD src0_sel:DWORD src1_sel:WORD_0
; %bb.154:
	s_or_b64 exec, exec, s[58:59]
	v_mov_b32_dpp v59, v6 row_shr:2 row_mask:0xf bank_mask:0xf
	v_mov_b32_dpp v58, v56 row_shr:2 row_mask:0xf bank_mask:0xf
	v_cmp_lt_u32_e64 s[0:1], 1, v57
	s_and_saveexec_b64 s[58:59], s[0:1]
; %bb.155:
	v_max_i32_e32 v56, v6, v59
	v_cmp_eq_u16_e64 s[0:1], 0, v9
	v_and_b32_e32 v9, 1, v9
	s_nop 0
	v_cndmask_b32_e64 v6, v6, v56, s[0:1]
	v_and_b32_e32 v56, 1, v58
	v_cmp_eq_u32_e64 s[0:1], 1, v9
	s_nop 1
	v_cndmask_b32_e64 v9, v56, 1, s[0:1]
	v_or_b32_sdwa v56, v7, v9 dst_sel:DWORD dst_unused:UNUSED_PAD src0_sel:DWORD src1_sel:WORD_0
; %bb.156:
	s_or_b64 exec, exec, s[58:59]
	v_mov_b32_dpp v59, v6 row_shr:4 row_mask:0xf bank_mask:0xf
	v_mov_b32_dpp v58, v56 row_shr:4 row_mask:0xf bank_mask:0xf
	v_cmp_lt_u32_e64 s[0:1], 3, v57
	;; [unrolled: 17-line block ×3, first 2 shown]
	s_and_saveexec_b64 s[58:59], s[0:1]
; %bb.159:
	v_max_i32_e32 v56, v6, v59
	v_cmp_eq_u16_e64 s[0:1], 0, v9
	v_and_b32_e32 v9, 1, v9
	s_nop 0
	v_cndmask_b32_e64 v6, v6, v56, s[0:1]
	v_and_b32_e32 v56, 1, v58
	v_cmp_eq_u32_e64 s[0:1], 1, v9
	s_nop 1
	v_cndmask_b32_e64 v9, v56, 1, s[0:1]
	v_or_b32_sdwa v56, v7, v9 dst_sel:DWORD dst_unused:UNUSED_PAD src0_sel:DWORD src1_sel:WORD_0
; %bb.160:
	s_or_b64 exec, exec, s[58:59]
	v_and_b32_e32 v59, 16, v8
	v_mov_b32_dpp v58, v6 row_bcast:15 row_mask:0xf bank_mask:0xf
	v_mov_b32_dpp v57, v56 row_bcast:15 row_mask:0xf bank_mask:0xf
	v_cmp_ne_u32_e64 s[0:1], 0, v59
	s_and_saveexec_b64 s[58:59], s[0:1]
; %bb.161:
	v_max_i32_e32 v56, v6, v58
	v_cmp_eq_u16_e64 s[0:1], 0, v9
	v_and_b32_e32 v9, 1, v9
	s_nop 0
	v_cndmask_b32_e64 v6, v6, v56, s[0:1]
	v_and_b32_e32 v56, 1, v57
	v_cmp_eq_u32_e64 s[0:1], 1, v9
	s_nop 1
	v_cndmask_b32_e64 v9, v56, 1, s[0:1]
	v_or_b32_sdwa v56, v7, v9 dst_sel:DWORD dst_unused:UNUSED_PAD src0_sel:DWORD src1_sel:WORD_0
; %bb.162:
	s_or_b64 exec, exec, s[58:59]
	v_mov_b32_dpp v57, v6 row_bcast:31 row_mask:0xf bank_mask:0xf
	v_mov_b32_dpp v56, v56 row_bcast:31 row_mask:0xf bank_mask:0xf
	v_cmp_lt_u32_e64 s[0:1], 31, v8
	s_and_saveexec_b64 s[58:59], s[0:1]
; %bb.163:
	v_max_i32_e32 v57, v6, v57
	v_cmp_eq_u16_e64 s[0:1], 0, v9
	v_and_b32_e32 v9, 1, v9
	v_and_b32_e32 v56, 1, v56
	v_cndmask_b32_e64 v6, v6, v57, s[0:1]
	v_cmp_eq_u32_e64 s[0:1], 1, v9
	s_nop 1
	v_cndmask_b32_e64 v9, v56, 1, s[0:1]
; %bb.164:
	s_or_b64 exec, exec, s[58:59]
	v_add_u32_e32 v56, -1, v8
	v_and_b32_e32 v57, 64, v8
	v_cmp_lt_i32_e64 s[0:1], v56, v57
	v_or_b32_sdwa v7, v7, v9 dst_sel:DWORD dst_unused:UNUSED_PAD src0_sel:DWORD src1_sel:WORD_0
	s_nop 0
	v_cndmask_b32_e64 v8, v56, v8, s[0:1]
	v_lshlrev_b32_e32 v8, 2, v8
	ds_bpermute_b32 v6, v8, v6
	ds_bpermute_b32 v7, v8, v7
	v_mov_b32_e32 v8, 0
	v_cmp_eq_u16_sdwa s[0:1], v3, v8 src0_sel:BYTE_0 src1_sel:DWORD
	; wave barrier
	s_waitcnt lgkmcnt(1)
	v_max_i32_e32 v6, v2, v6
	v_cndmask_b32_e64 v2, v2, v6, s[0:1]
	s_waitcnt lgkmcnt(0)
	v_and_b32_e32 v3, 1, v7
	v_cmp_eq_u32_e64 s[0:1], 1, v5
	v_cndmask_b32_e64 v5, v2, v62, s[54:55]
	s_nop 0
	v_cndmask_b32_e64 v3, v3, 1, s[0:1]
	v_cndmask_b32_e64 v6, v3, v63, s[54:55]
	ds_write_b32 v4, v5
	ds_write_b8 v4, v6 offset:4
	; wave barrier
	ds_read2_b32 v[2:3], v4 offset0:2 offset1:4
	ds_read_u8 v7, v4 offset:12
	ds_read_u8 v8, v4 offset:20
	ds_read_b32 v9, v4 offset:24
	ds_read_u8 v56, v4 offset:28
	s_waitcnt lgkmcnt(4)
	v_max_i32_e32 v5, v2, v5
	s_waitcnt lgkmcnt(3)
	v_cmp_eq_u16_e64 s[0:1], 0, v7
	s_nop 1
	v_cndmask_b32_e64 v2, v2, v5, s[0:1]
	v_and_b32_e32 v5, 1, v7
	v_cmp_eq_u32_e64 s[0:1], 1, v5
	s_nop 1
	v_cndmask_b32_e64 v5, v6, 1, s[0:1]
	v_max_i32_e32 v6, v3, v2
	s_waitcnt lgkmcnt(2)
	v_cmp_eq_u16_e64 s[0:1], 0, v8
	ds_write_b8 v4, v5 offset:12
	s_nop 0
	v_cndmask_b32_e64 v3, v3, v6, s[0:1]
	v_and_b32_e32 v6, 1, v8
	v_cmp_eq_u32_e64 s[0:1], 1, v6
	s_nop 1
	v_cndmask_b32_e64 v5, v5, 1, s[0:1]
	ds_write2_b32 v4, v2, v3 offset0:2 offset1:4
	ds_write_b8 v4, v5 offset:20
	s_waitcnt lgkmcnt(4)
	v_max_i32_e32 v2, v9, v3
	s_waitcnt lgkmcnt(3)
	v_cmp_eq_u16_e64 s[0:1], 0, v56
	v_and_b32_e32 v3, 1, v56
	s_nop 0
	v_cndmask_b32_e64 v2, v9, v2, s[0:1]
	v_cmp_eq_u32_e64 s[0:1], 1, v3
	s_nop 1
	v_cndmask_b32_e64 v3, v5, 1, s[0:1]
	ds_write_b32 v4, v2 offset:24
	ds_write_b8 v4, v3 offset:28
.LBB65_165:
	s_or_b64 exec, exec, s[52:53]
	s_waitcnt lgkmcnt(0)
	s_barrier
	s_and_saveexec_b64 s[0:1], s[4:5]
	s_cbranch_execz .LBB65_167
; %bb.166:
	v_add_u32_e32 v2, -1, v0
	v_lshrrev_b32_e32 v3, 5, v2
	v_add_lshl_u32 v2, v3, v2, 3
	ds_read_b32 v62, v2
	ds_read_u8 v63, v2 offset:4
.LBB65_167:
	s_or_b64 exec, exec, s[0:1]
	s_and_saveexec_b64 s[0:1], vcc
	s_cbranch_execz .LBB65_212
; %bb.168:
	v_mov_b32_e32 v5, 0
	ds_read_b64 v[2:3], v5 offset:2096
	v_mbcnt_lo_u32_b32 v4, -1, 0
	v_mbcnt_hi_u32_b32 v57, -1, v4
	s_mov_b32 s61, 0
	v_cmp_eq_u32_e64 s[52:53], 0, v57
	s_waitcnt lgkmcnt(0)
	v_readfirstlane_b32 s68, v3
	s_and_saveexec_b64 s[58:59], s[52:53]
	s_cbranch_execz .LBB65_170
; %bb.169:
	s_add_i32 s60, s75, 64
	s_lshl_b64 s[64:65], s[60:61], 4
	s_add_u32 s64, s72, s64
	s_addc_u32 s65, s73, s65
	s_and_b32 s71, s68, 0xff000000
	s_mov_b32 s70, s61
	s_and_b32 s81, s68, 0xff0000
	s_mov_b32 s80, s61
	s_or_b64 s[70:71], s[80:81], s[70:71]
	s_and_b32 s81, s68, 0xff00
	s_or_b64 s[70:71], s[70:71], s[80:81]
	s_and_b32 s81, s68, 0xff
	s_or_b64 s[60:61], s[70:71], s[80:81]
	v_mov_b32_e32 v3, s61
	v_mov_b32_e32 v4, 1
	v_mov_b64_e32 v[6:7], s[64:65]
	;;#ASMSTART
	global_store_dwordx4 v[6:7], v[2:5] off sc1	
s_waitcnt vmcnt(0)
	;;#ASMEND
.LBB65_170:
	s_or_b64 exec, exec, s[58:59]
	v_xad_u32 v56, v57, -1, s75
	v_add_u32_e32 v4, 64, v56
	v_lshl_add_u64 v[58:59], v[4:5], 4, s[72:73]
	;;#ASMSTART
	global_load_dwordx4 v[6:9], v[58:59] off sc1	
s_waitcnt vmcnt(0)
	;;#ASMEND
	s_nop 0
	v_and_b32_e32 v3, 0xff0000, v6
	v_and_b32_e32 v4, 0xff000000, v6
	;; [unrolled: 1-line block ×3, first 2 shown]
	v_or_b32_sdwa v3, v6, v3 dst_sel:DWORD dst_unused:UNUSED_PAD src0_sel:WORD_0 src1_sel:DWORD
	v_or3_b32 v7, 0, 0, v7
	v_or3_b32 v6, v3, v4, 0
	v_cmp_eq_u16_sdwa s[60:61], v8, v5 src0_sel:BYTE_0 src1_sel:DWORD
	s_and_saveexec_b64 s[58:59], s[60:61]
	s_cbranch_execz .LBB65_176
; %bb.171:
	s_mov_b32 s64, 1
	s_mov_b64 s[60:61], 0
	v_mov_b32_e32 v3, 0
.LBB65_172:                             ; =>This Loop Header: Depth=1
                                        ;     Child Loop BB65_173 Depth 2
	s_max_u32 s65, s64, 1
.LBB65_173:                             ;   Parent Loop BB65_172 Depth=1
                                        ; =>  This Inner Loop Header: Depth=2
	s_add_i32 s65, s65, -1
	s_cmp_eq_u32 s65, 0
	s_sleep 1
	s_cbranch_scc0 .LBB65_173
; %bb.174:                              ;   in Loop: Header=BB65_172 Depth=1
	s_cmp_lt_u32 s64, 32
	s_cselect_b64 s[70:71], -1, 0
	s_cmp_lg_u64 s[70:71], 0
	s_addc_u32 s64, s64, 0
	;;#ASMSTART
	global_load_dwordx4 v[6:9], v[58:59] off sc1	
s_waitcnt vmcnt(0)
	;;#ASMEND
	s_nop 0
	v_cmp_ne_u16_sdwa s[70:71], v8, v3 src0_sel:BYTE_0 src1_sel:DWORD
	s_or_b64 s[60:61], s[70:71], s[60:61]
	s_andn2_b64 exec, exec, s[60:61]
	s_cbranch_execnz .LBB65_172
; %bb.175:
	s_or_b64 exec, exec, s[60:61]
	v_and_b32_e32 v7, 0xff, v7
.LBB65_176:
	s_or_b64 exec, exec, s[58:59]
	v_mov_b32_e32 v3, 2
	v_cmp_eq_u16_sdwa s[58:59], v8, v3 src0_sel:BYTE_0 src1_sel:DWORD
	v_lshlrev_b64 v[4:5], v57, -1
	s_mov_b32 s60, 0
	v_and_b32_e32 v3, s59, v5
	v_or_b32_e32 v3, 0x80000000, v3
	v_ffbl_b32_e32 v3, v3
	v_add_u32_e32 v58, 32, v3
	v_and_b32_e32 v3, 63, v57
	v_cmp_ne_u32_e32 vcc, 63, v3
	v_and_b32_e32 v9, s58, v4
	v_ffbl_b32_e32 v9, v9
	v_addc_co_u32_e32 v59, vcc, 0, v57, vcc
	v_lshlrev_b32_e32 v64, 2, v59
	ds_bpermute_b32 v65, v64, v6
	ds_bpermute_b32 v59, v64, v7
	v_min_u32_e32 v9, v9, v58
	v_cmp_lt_u32_e32 vcc, v3, v9
	v_mov_b32_e32 v58, v7
	s_and_saveexec_b64 s[58:59], vcc
	s_cbranch_execz .LBB65_178
; %bb.177:
	s_mov_b32 s61, 1
	s_waitcnt lgkmcnt(1)
	v_max_i32_e32 v58, v6, v65
	v_cmp_gt_u64_e32 vcc, s[60:61], v[6:7]
	v_and_b32_e32 v7, 1, v7
	s_nop 0
	v_cndmask_b32_e32 v6, v6, v58, vcc
	s_waitcnt lgkmcnt(0)
	v_and_b32_e32 v58, 1, v59
	v_cmp_eq_u32_e32 vcc, 1, v7
	s_nop 1
	v_cndmask_b32_e64 v7, v58, 1, vcc
	v_and_b32_e32 v58, 0xffff, v7
.LBB65_178:
	s_or_b64 exec, exec, s[58:59]
	v_cmp_gt_u32_e32 vcc, 62, v3
	v_add_u32_e32 v66, 2, v3
	s_waitcnt lgkmcnt(0)
	v_cndmask_b32_e64 v59, 0, 1, vcc
	v_lshlrev_b32_e32 v59, 1, v59
	v_add_lshl_u32 v65, v59, v57, 2
	ds_bpermute_b32 v67, v65, v6
	ds_bpermute_b32 v59, v65, v58
	v_cmp_le_u32_e32 vcc, v66, v9
	s_and_saveexec_b64 s[58:59], vcc
	s_cbranch_execz .LBB65_180
; %bb.179:
	s_waitcnt lgkmcnt(1)
	v_max_i32_e32 v58, v6, v67
	v_cmp_eq_u16_e32 vcc, 0, v7
	v_and_b32_e32 v7, 1, v7
	s_nop 0
	v_cndmask_b32_e32 v6, v6, v58, vcc
	s_waitcnt lgkmcnt(0)
	v_and_b32_e32 v58, 1, v59
	v_cmp_eq_u32_e32 vcc, 1, v7
	s_nop 1
	v_cndmask_b32_e64 v7, v58, 1, vcc
	v_and_b32_e32 v58, 0xffff, v7
.LBB65_180:
	s_or_b64 exec, exec, s[58:59]
	v_cmp_gt_u32_e32 vcc, 60, v3
	v_add_u32_e32 v68, 4, v3
	s_waitcnt lgkmcnt(0)
	v_cndmask_b32_e64 v59, 0, 1, vcc
	v_lshlrev_b32_e32 v59, 2, v59
	v_add_lshl_u32 v67, v59, v57, 2
	ds_bpermute_b32 v69, v67, v6
	ds_bpermute_b32 v59, v67, v58
	v_cmp_le_u32_e32 vcc, v68, v9
	s_and_saveexec_b64 s[58:59], vcc
	s_cbranch_execz .LBB65_182
; %bb.181:
	s_waitcnt lgkmcnt(1)
	v_max_i32_e32 v58, v6, v69
	v_cmp_eq_u16_e32 vcc, 0, v7
	v_and_b32_e32 v7, 1, v7
	s_nop 0
	v_cndmask_b32_e32 v6, v6, v58, vcc
	s_waitcnt lgkmcnt(0)
	v_and_b32_e32 v58, 1, v59
	v_cmp_eq_u32_e32 vcc, 1, v7
	s_nop 1
	v_cndmask_b32_e64 v7, v58, 1, vcc
	v_and_b32_e32 v58, 0xffff, v7
.LBB65_182:
	;; [unrolled: 26-line block ×4, first 2 shown]
	s_or_b64 exec, exec, s[58:59]
	v_cmp_gt_u32_e32 vcc, 32, v3
	v_add_u32_e32 v75, 32, v3
	s_waitcnt lgkmcnt(0)
	v_cndmask_b32_e64 v59, 0, 1, vcc
	v_lshlrev_b32_e32 v59, 5, v59
	v_add_lshl_u32 v74, v59, v57, 2
	ds_bpermute_b32 v59, v74, v6
	ds_bpermute_b32 v57, v74, v58
	v_cmp_le_u32_e32 vcc, v75, v9
	s_and_saveexec_b64 s[58:59], vcc
	s_cbranch_execz .LBB65_188
; %bb.187:
	s_waitcnt lgkmcnt(1)
	v_max_i32_e32 v9, v6, v59
	v_cmp_eq_u16_e32 vcc, 0, v7
	v_and_b32_e32 v7, 1, v7
	s_nop 0
	v_cndmask_b32_e32 v6, v6, v9, vcc
	s_waitcnt lgkmcnt(0)
	v_and_b32_e32 v9, 1, v57
	v_cmp_eq_u32_e32 vcc, 1, v7
	s_nop 1
	v_cndmask_b32_e64 v7, v9, 1, vcc
.LBB65_188:
	s_or_b64 exec, exec, s[58:59]
	s_mov_b32 s58, 0
	s_mov_b32 s59, 1
	s_waitcnt lgkmcnt(0)
	v_mov_b32_e32 v57, 0
	v_mov_b32_e32 v77, 2
	s_branch .LBB65_190
.LBB65_189:                             ;   in Loop: Header=BB65_190 Depth=1
	s_or_b64 exec, exec, s[60:61]
	s_waitcnt lgkmcnt(0)
	ds_bpermute_b32 v59, v74, v6
	ds_bpermute_b32 v58, v74, v58
	v_and_b32_e32 v78, 1, v7
	v_cmp_eq_u16_e32 vcc, 0, v7
	v_subrev_u32_e32 v56, 64, v56
	s_waitcnt lgkmcnt(1)
	v_max_i32_e32 v59, v6, v59
	v_cndmask_b32_e32 v59, v6, v59, vcc
	v_cmp_eq_u32_e32 vcc, 1, v78
	s_waitcnt lgkmcnt(0)
	s_nop 0
	v_cndmask_b32_e64 v58, v58, 1, vcc
	v_cmp_gt_u32_e32 vcc, v75, v9
	v_and_b32_e32 v9, 1, v73
	s_nop 0
	v_cndmask_b32_e32 v6, v59, v6, vcc
	v_cndmask_b32_e32 v7, v58, v7, vcc
	v_max_i32_e32 v6, v76, v6
	v_cmp_eq_u16_sdwa vcc, v73, v57 src0_sel:BYTE_0 src1_sel:DWORD
	v_and_b32_e32 v7, 1, v7
	s_nop 0
	v_cndmask_b32_e32 v6, v76, v6, vcc
	v_cmp_eq_u32_e32 vcc, 1, v9
	s_nop 1
	v_cndmask_b32_e64 v7, v7, 1, vcc
.LBB65_190:                             ; =>This Loop Header: Depth=1
                                        ;     Child Loop BB65_193 Depth 2
                                        ;       Child Loop BB65_194 Depth 3
	v_cmp_ne_u16_sdwa s[60:61], v8, v77 src0_sel:BYTE_0 src1_sel:DWORD
	v_mov_b32_e32 v73, v7
	v_mov_b32_e32 v76, v6
	v_cndmask_b32_e64 v7, 0, 1, s[60:61]
	;;#ASMSTART
	;;#ASMEND
	s_nop 0
	v_cmp_ne_u32_e32 vcc, 0, v7
	s_cmp_lg_u64 vcc, exec
	s_cbranch_scc1 .LBB65_207
; %bb.191:                              ;   in Loop: Header=BB65_190 Depth=1
	v_lshl_add_u64 v[58:59], v[56:57], 4, s[72:73]
	;;#ASMSTART
	global_load_dwordx4 v[6:9], v[58:59] off sc1	
s_waitcnt vmcnt(0)
	;;#ASMEND
	s_nop 0
	v_and_b32_e32 v9, 0xff0000, v6
	v_and_b32_e32 v78, 0xff000000, v6
	v_and_b32_e32 v7, 0xff, v7
	v_or_b32_sdwa v6, v6, v9 dst_sel:DWORD dst_unused:UNUSED_PAD src0_sel:WORD_0 src1_sel:DWORD
	v_or3_b32 v7, 0, 0, v7
	v_or3_b32 v6, v6, v78, 0
	v_cmp_eq_u16_sdwa s[64:65], v8, v57 src0_sel:BYTE_0 src1_sel:DWORD
	s_and_saveexec_b64 s[60:61], s[64:65]
	s_cbranch_execz .LBB65_197
; %bb.192:                              ;   in Loop: Header=BB65_190 Depth=1
	s_mov_b32 s69, 1
	s_mov_b64 s[64:65], 0
.LBB65_193:                             ;   Parent Loop BB65_190 Depth=1
                                        ; =>  This Loop Header: Depth=2
                                        ;       Child Loop BB65_194 Depth 3
	s_max_u32 s70, s69, 1
.LBB65_194:                             ;   Parent Loop BB65_190 Depth=1
                                        ;     Parent Loop BB65_193 Depth=2
                                        ; =>    This Inner Loop Header: Depth=3
	s_add_i32 s70, s70, -1
	s_cmp_eq_u32 s70, 0
	s_sleep 1
	s_cbranch_scc0 .LBB65_194
; %bb.195:                              ;   in Loop: Header=BB65_193 Depth=2
	s_cmp_lt_u32 s69, 32
	s_cselect_b64 s[70:71], -1, 0
	s_cmp_lg_u64 s[70:71], 0
	s_addc_u32 s69, s69, 0
	;;#ASMSTART
	global_load_dwordx4 v[6:9], v[58:59] off sc1	
s_waitcnt vmcnt(0)
	;;#ASMEND
	s_nop 0
	v_cmp_ne_u16_sdwa s[70:71], v8, v57 src0_sel:BYTE_0 src1_sel:DWORD
	s_or_b64 s[64:65], s[70:71], s[64:65]
	s_andn2_b64 exec, exec, s[64:65]
	s_cbranch_execnz .LBB65_193
; %bb.196:                              ;   in Loop: Header=BB65_190 Depth=1
	s_or_b64 exec, exec, s[64:65]
	v_and_b32_e32 v7, 0xff, v7
.LBB65_197:                             ;   in Loop: Header=BB65_190 Depth=1
	s_or_b64 exec, exec, s[60:61]
	v_cmp_eq_u16_sdwa s[60:61], v8, v77 src0_sel:BYTE_0 src1_sel:DWORD
	ds_bpermute_b32 v78, v64, v6
	ds_bpermute_b32 v59, v64, v7
	v_and_b32_e32 v9, s61, v5
	v_or_b32_e32 v9, 0x80000000, v9
	v_and_b32_e32 v58, s60, v4
	v_ffbl_b32_e32 v9, v9
	v_add_u32_e32 v9, 32, v9
	v_ffbl_b32_e32 v58, v58
	v_min_u32_e32 v9, v58, v9
	v_cmp_lt_u32_e32 vcc, v3, v9
	v_mov_b32_e32 v58, v7
	s_and_saveexec_b64 s[60:61], vcc
	s_cbranch_execz .LBB65_199
; %bb.198:                              ;   in Loop: Header=BB65_190 Depth=1
	s_waitcnt lgkmcnt(1)
	v_max_i32_e32 v58, v6, v78
	v_cmp_gt_u64_e32 vcc, s[58:59], v[6:7]
	v_and_b32_e32 v7, 1, v7
	s_nop 0
	v_cndmask_b32_e32 v6, v6, v58, vcc
	s_waitcnt lgkmcnt(0)
	v_and_b32_e32 v58, 1, v59
	v_cmp_eq_u32_e32 vcc, 1, v7
	s_nop 1
	v_cndmask_b32_e64 v7, v58, 1, vcc
	v_and_b32_e32 v58, 0xffff, v7
.LBB65_199:                             ;   in Loop: Header=BB65_190 Depth=1
	s_or_b64 exec, exec, s[60:61]
	s_waitcnt lgkmcnt(1)
	ds_bpermute_b32 v78, v65, v6
	s_waitcnt lgkmcnt(1)
	ds_bpermute_b32 v59, v65, v58
	v_cmp_le_u32_e32 vcc, v66, v9
	s_and_saveexec_b64 s[60:61], vcc
	s_cbranch_execz .LBB65_201
; %bb.200:                              ;   in Loop: Header=BB65_190 Depth=1
	s_waitcnt lgkmcnt(1)
	v_max_i32_e32 v58, v6, v78
	v_cmp_eq_u16_e32 vcc, 0, v7
	v_and_b32_e32 v7, 1, v7
	s_nop 0
	v_cndmask_b32_e32 v6, v6, v58, vcc
	s_waitcnt lgkmcnt(0)
	v_and_b32_e32 v58, 1, v59
	v_cmp_eq_u32_e32 vcc, 1, v7
	s_nop 1
	v_cndmask_b32_e64 v7, v58, 1, vcc
	v_and_b32_e32 v58, 0xffff, v7
.LBB65_201:                             ;   in Loop: Header=BB65_190 Depth=1
	s_or_b64 exec, exec, s[60:61]
	s_waitcnt lgkmcnt(1)
	ds_bpermute_b32 v78, v67, v6
	s_waitcnt lgkmcnt(1)
	ds_bpermute_b32 v59, v67, v58
	v_cmp_le_u32_e32 vcc, v68, v9
	s_and_saveexec_b64 s[60:61], vcc
	s_cbranch_execz .LBB65_203
; %bb.202:                              ;   in Loop: Header=BB65_190 Depth=1
	s_waitcnt lgkmcnt(1)
	v_max_i32_e32 v58, v6, v78
	v_cmp_eq_u16_e32 vcc, 0, v7
	v_and_b32_e32 v7, 1, v7
	s_nop 0
	v_cndmask_b32_e32 v6, v6, v58, vcc
	s_waitcnt lgkmcnt(0)
	v_and_b32_e32 v58, 1, v59
	v_cmp_eq_u32_e32 vcc, 1, v7
	s_nop 1
	v_cndmask_b32_e64 v7, v58, 1, vcc
	v_and_b32_e32 v58, 0xffff, v7
.LBB65_203:                             ;   in Loop: Header=BB65_190 Depth=1
	;; [unrolled: 22-line block ×3, first 2 shown]
	s_or_b64 exec, exec, s[60:61]
	s_waitcnt lgkmcnt(1)
	ds_bpermute_b32 v78, v71, v6
	s_waitcnt lgkmcnt(1)
	ds_bpermute_b32 v59, v71, v58
	v_cmp_le_u32_e32 vcc, v72, v9
	s_and_saveexec_b64 s[60:61], vcc
	s_cbranch_execz .LBB65_189
; %bb.206:                              ;   in Loop: Header=BB65_190 Depth=1
	s_waitcnt lgkmcnt(1)
	v_max_i32_e32 v58, v6, v78
	v_cmp_eq_u16_e32 vcc, 0, v7
	v_and_b32_e32 v7, 1, v7
	s_nop 0
	v_cndmask_b32_e32 v6, v6, v58, vcc
	s_waitcnt lgkmcnt(0)
	v_and_b32_e32 v58, 1, v59
	v_cmp_eq_u32_e32 vcc, 1, v7
	s_nop 1
	v_cndmask_b32_e64 v7, v58, 1, vcc
	v_and_b32_e32 v58, 0xffff, v7
	s_branch .LBB65_189
.LBB65_207:                             ;   in Loop: Header=BB65_190 Depth=1
                                        ; implicit-def: $vgpr7
	s_cbranch_execz .LBB65_190
; %bb.208:
	s_and_saveexec_b64 s[58:59], s[52:53]
	s_cbranch_execz .LBB65_210
; %bb.209:
	s_and_b32 s52, s68, 0xff
	s_cmp_eq_u32 s52, 0
	s_cselect_b64 vcc, -1, 0
	s_bitcmp1_b32 s68, 0
	s_mov_b32 s53, 0
	s_cselect_b64 s[60:61], -1, 0
	s_add_i32 s52, s75, 64
	s_lshl_b64 s[52:53], s[52:53], 4
	v_max_i32_e32 v3, v2, v76
	s_add_u32 s52, s72, s52
	v_cndmask_b32_e32 v2, v2, v3, vcc
	v_and_b32_e32 v3, 1, v73
	s_addc_u32 s53, s73, s53
	v_cndmask_b32_e64 v3, v3, 1, s[60:61]
	v_mov_b32_e32 v4, 2
	v_mov_b32_e32 v5, 0
	v_mov_b64_e32 v[6:7], s[52:53]
	;;#ASMSTART
	global_store_dwordx4 v[6:7], v[2:5] off sc1	
s_waitcnt vmcnt(0)
	;;#ASMEND
.LBB65_210:
	s_or_b64 exec, exec, s[58:59]
	s_and_b64 exec, exec, s[54:55]
	s_cbranch_execz .LBB65_212
; %bb.211:
	v_mov_b32_e32 v2, 0
	ds_write_b32 v2, v76
	ds_write_b8 v2, v73 offset:4
.LBB65_212:
	s_or_b64 exec, exec, s[0:1]
	v_mov_b32_e32 v2, 0
	s_waitcnt lgkmcnt(0)
	s_barrier
	ds_read_b32 v3, v2
	s_mov_b32 s0, 0
	v_and_b32_e32 v4, 1, v11
	s_mov_b32 s1, 1
	v_and_b32_e32 v5, 1, v63
	v_cmp_eq_u32_e32 vcc, 1, v4
	s_nop 1
	v_cndmask_b32_e64 v4, v5, 1, vcc
	v_max_i32_e32 v5, v10, v62
	v_cmp_gt_u64_e32 vcc, s[0:1], v[10:11]
	v_cndmask_b32_e64 v4, v4, v11, s[54:55]
	s_nop 0
	v_cndmask_b32_e32 v5, v10, v5, vcc
	v_cndmask_b32_e64 v5, v5, v10, s[54:55]
	s_waitcnt lgkmcnt(0)
	v_max_i32_e32 v3, v5, v3
	v_cmp_eq_u16_sdwa vcc, v4, v2 src0_sel:BYTE_0 src1_sel:DWORD
	s_nop 1
	v_cndmask_b32_e32 v80, v5, v3, vcc
	v_max_i32_e32 v2, v12, v80
	v_cndmask_b32_e64 v56, v12, v2, s[6:7]
	v_max_i32_e32 v2, v14, v56
	v_cndmask_b32_e64 v57, v14, v2, s[8:9]
	;; [unrolled: 2-line block ×22, first 2 shown]
	s_branch .LBB65_235
.LBB65_213:
                                        ; implicit-def: $vgpr78
                                        ; implicit-def: $vgpr77
                                        ; implicit-def: $vgpr76
                                        ; implicit-def: $vgpr75
                                        ; implicit-def: $vgpr74
                                        ; implicit-def: $vgpr73
                                        ; implicit-def: $vgpr72
                                        ; implicit-def: $vgpr71
                                        ; implicit-def: $vgpr70
                                        ; implicit-def: $vgpr69
                                        ; implicit-def: $vgpr68
                                        ; implicit-def: $vgpr67
                                        ; implicit-def: $vgpr66
                                        ; implicit-def: $vgpr65
                                        ; implicit-def: $vgpr64
                                        ; implicit-def: $vgpr63
                                        ; implicit-def: $vgpr62
                                        ; implicit-def: $vgpr59
                                        ; implicit-def: $vgpr58
                                        ; implicit-def: $vgpr57
                                        ; implicit-def: $vgpr56
                                        ; implicit-def: $vgpr80
                                        ; implicit-def: $vgpr79
	s_cbranch_execz .LBB65_235
; %bb.214:
	s_cmp_lg_u64 s[78:79], 0
	s_cselect_b32 s9, s67, 0
	s_cselect_b32 s8, s66, 0
	s_cmp_lg_u64 s[8:9], 0
	s_cselect_b64 s[6:7], -1, 0
	s_mov_b32 s0, 0
	s_and_b64 s[10:11], s[54:55], s[6:7]
	s_and_saveexec_b64 s[6:7], s[10:11]
	s_cbranch_execz .LBB65_216
; %bb.215:
	v_mov_b32_e32 v2, 0
	global_load_dword v4, v2, s[8:9]
	global_load_ubyte v5, v2, s[8:9] offset:4
	s_mov_b32 s1, 1
	v_and_b32_e32 v3, 1, v11
	v_cmp_gt_u64_e32 vcc, s[0:1], v[10:11]
	s_waitcnt vmcnt(1)
	v_max_i32_e32 v4, v10, v4
	s_waitcnt vmcnt(0)
	v_and_b32_e32 v5, 1, v5
	v_cndmask_b32_e32 v10, v10, v4, vcc
	v_cmp_eq_u64_e32 vcc, 0, v[2:3]
	s_nop 1
	v_cndmask_b32_e32 v11, 1, v5, vcc
.LBB65_216:
	s_or_b64 exec, exec, s[6:7]
	s_mov_b32 s1, 1
	v_max_i32_e32 v2, v12, v10
	v_cmp_gt_u64_e32 vcc, s[0:1], v[12:13]
	v_cmp_gt_u64_e64 s[6:7], s[0:1], v[14:15]
	v_cmp_gt_u64_e64 s[8:9], s[0:1], v[16:17]
	v_cndmask_b32_e32 v56, v12, v2, vcc
	v_max_i32_e32 v2, v14, v56
	v_cndmask_b32_e64 v57, v14, v2, s[6:7]
	v_max_i32_e32 v2, v16, v57
	v_cndmask_b32_e64 v58, v16, v2, s[8:9]
	v_max_i32_e32 v2, v18, v58
	v_cmp_gt_u64_e64 s[10:11], s[0:1], v[18:19]
	v_cmp_gt_u64_e64 s[12:13], s[0:1], v[20:21]
	v_cmp_gt_u64_e64 s[14:15], s[0:1], v[22:23]
	v_cndmask_b32_e64 v59, v18, v2, s[10:11]
	v_max_i32_e32 v2, v20, v59
	v_cndmask_b32_e64 v62, v20, v2, s[12:13]
	v_max_i32_e32 v2, v22, v62
	v_cndmask_b32_e64 v63, v22, v2, s[14:15]
	v_max_i32_e32 v2, v24, v63
	v_cmp_gt_u64_e64 s[16:17], s[0:1], v[24:25]
	v_cmp_gt_u64_e64 s[18:19], s[0:1], v[26:27]
	v_cmp_gt_u64_e64 s[20:21], s[0:1], v[28:29]
	v_cndmask_b32_e64 v64, v24, v2, s[16:17]
	;; [unrolled: 9-line block ×6, first 2 shown]
	v_max_i32_e32 v2, v50, v76
	v_cndmask_b32_e64 v77, v50, v2, s[44:45]
	v_max_i32_e32 v2, v52, v77
	v_cndmask_b32_e64 v78, v52, v2, s[46:47]
	v_max_i32_e32 v2, v54, v78
	v_cmp_gt_u64_e64 s[48:49], s[0:1], v[54:55]
	s_nop 1
	v_cndmask_b32_e64 v79, v54, v2, s[48:49]
	v_or3_b32 v2, v61, v51, v49
	v_or3_b32 v2, v2, v47, v45
	;; [unrolled: 1-line block ×10, first 2 shown]
	v_and_b32_e32 v2, 1, v2
	v_cmp_eq_u32_e64 s[0:1], 1, v2
	v_add_lshl_u32 v2, v60, v0, 3
	s_nop 0
	v_cndmask_b32_e64 v5, v11, 1, s[0:1]
	v_cmp_gt_u32_e64 s[0:1], 64, v0
	ds_write_b32 v2, v79
	ds_write_b8 v2, v5 offset:4
	s_waitcnt lgkmcnt(0)
	s_barrier
	s_and_saveexec_b64 s[50:51], s[0:1]
	s_cbranch_execz .LBB65_230
; %bb.217:
	v_lshrrev_b32_e32 v2, 3, v0
	v_add_lshl_u32 v4, v2, v1, 3
	ds_read2_b32 v[8:9], v4 offset0:2 offset1:4
	ds_read_b64 v[2:3], v4
	ds_read_u8 v13, v4 offset:12
	ds_read_u8 v15, v4 offset:20
	ds_read_b32 v7, v4 offset:24
	ds_read_u8 v17, v4 offset:28
	v_mov_b32_e32 v19, 0
	s_waitcnt lgkmcnt(4)
	v_max_i32_e32 v21, v8, v2
	s_waitcnt lgkmcnt(3)
	v_cmp_eq_u16_sdwa s[0:1], v13, v19 src0_sel:BYTE_0 src1_sel:DWORD
	v_and_b32_e32 v6, 1, v3
	s_nop 0
	v_cndmask_b32_e64 v8, v8, v21, s[0:1]
	v_max_i32_e32 v8, v9, v8
	s_waitcnt lgkmcnt(2)
	v_cmp_eq_u16_sdwa s[0:1], v15, v19 src0_sel:BYTE_0 src1_sel:DWORD
	s_nop 1
	v_cndmask_b32_e64 v8, v9, v8, s[0:1]
	s_waitcnt lgkmcnt(1)
	v_max_i32_e32 v8, v7, v8
	s_waitcnt lgkmcnt(0)
	v_cmp_eq_u16_e64 s[0:1], 0, v17
	v_mbcnt_lo_u32_b32 v9, -1, 0
	v_mbcnt_hi_u32_b32 v9, -1, v9
	v_cndmask_b32_e64 v7, v7, v8, s[0:1]
	v_or_b32_e32 v8, v17, v15
	v_or_b32_e32 v8, v8, v13
	v_and_b32_e32 v8, 1, v8
	v_cmp_eq_u32_e64 s[0:1], 1, v8
	v_and_b32_e32 v8, 0xffffff00, v3
	v_and_b32_e32 v17, 15, v9
	v_cndmask_b32_e64 v13, v6, 1, s[0:1]
	v_or_b32_sdwa v15, v8, v13 dst_sel:DWORD dst_unused:UNUSED_PAD src0_sel:DWORD src1_sel:WORD_0
	v_mov_b32_dpp v21, v7 row_shr:1 row_mask:0xf bank_mask:0xf
	v_cmp_ne_u32_e64 s[0:1], 0, v17
	v_mov_b32_dpp v19, v15 row_shr:1 row_mask:0xf bank_mask:0xf
	s_and_saveexec_b64 s[52:53], s[0:1]
; %bb.218:
	v_max_i32_e32 v15, v7, v21
	v_cmp_eq_u16_e64 s[0:1], 0, v13
	v_and_b32_e32 v13, 1, v13
	s_nop 0
	v_cndmask_b32_e64 v7, v7, v15, s[0:1]
	v_and_b32_e32 v15, 1, v19
	v_cmp_eq_u32_e64 s[0:1], 1, v13
	s_nop 1
	v_cndmask_b32_e64 v13, v15, 1, s[0:1]
	v_or_b32_sdwa v15, v8, v13 dst_sel:DWORD dst_unused:UNUSED_PAD src0_sel:DWORD src1_sel:WORD_0
; %bb.219:
	s_or_b64 exec, exec, s[52:53]
	v_mov_b32_dpp v21, v7 row_shr:2 row_mask:0xf bank_mask:0xf
	v_mov_b32_dpp v19, v15 row_shr:2 row_mask:0xf bank_mask:0xf
	v_cmp_lt_u32_e64 s[0:1], 1, v17
	s_and_saveexec_b64 s[52:53], s[0:1]
; %bb.220:
	v_max_i32_e32 v15, v7, v21
	v_cmp_eq_u16_e64 s[0:1], 0, v13
	v_and_b32_e32 v13, 1, v13
	s_nop 0
	v_cndmask_b32_e64 v7, v7, v15, s[0:1]
	v_and_b32_e32 v15, 1, v19
	v_cmp_eq_u32_e64 s[0:1], 1, v13
	s_nop 1
	v_cndmask_b32_e64 v13, v15, 1, s[0:1]
	v_or_b32_sdwa v15, v8, v13 dst_sel:DWORD dst_unused:UNUSED_PAD src0_sel:DWORD src1_sel:WORD_0
; %bb.221:
	s_or_b64 exec, exec, s[52:53]
	v_mov_b32_dpp v21, v7 row_shr:4 row_mask:0xf bank_mask:0xf
	v_mov_b32_dpp v19, v15 row_shr:4 row_mask:0xf bank_mask:0xf
	v_cmp_lt_u32_e64 s[0:1], 3, v17
	;; [unrolled: 17-line block ×3, first 2 shown]
	s_and_saveexec_b64 s[52:53], s[0:1]
; %bb.224:
	v_max_i32_e32 v15, v7, v21
	v_cmp_eq_u16_e64 s[0:1], 0, v13
	v_and_b32_e32 v13, 1, v13
	s_nop 0
	v_cndmask_b32_e64 v7, v7, v15, s[0:1]
	v_and_b32_e32 v15, 1, v19
	v_cmp_eq_u32_e64 s[0:1], 1, v13
	s_nop 1
	v_cndmask_b32_e64 v13, v15, 1, s[0:1]
	v_or_b32_sdwa v15, v8, v13 dst_sel:DWORD dst_unused:UNUSED_PAD src0_sel:DWORD src1_sel:WORD_0
; %bb.225:
	s_or_b64 exec, exec, s[52:53]
	v_and_b32_e32 v21, 16, v9
	v_mov_b32_dpp v19, v7 row_bcast:15 row_mask:0xf bank_mask:0xf
	v_mov_b32_dpp v17, v15 row_bcast:15 row_mask:0xf bank_mask:0xf
	v_cmp_ne_u32_e64 s[0:1], 0, v21
	s_and_saveexec_b64 s[52:53], s[0:1]
; %bb.226:
	v_max_i32_e32 v15, v7, v19
	v_cmp_eq_u16_e64 s[0:1], 0, v13
	v_and_b32_e32 v13, 1, v13
	s_nop 0
	v_cndmask_b32_e64 v7, v7, v15, s[0:1]
	v_and_b32_e32 v15, 1, v17
	v_cmp_eq_u32_e64 s[0:1], 1, v13
	s_nop 1
	v_cndmask_b32_e64 v13, v15, 1, s[0:1]
	v_or_b32_sdwa v15, v8, v13 dst_sel:DWORD dst_unused:UNUSED_PAD src0_sel:DWORD src1_sel:WORD_0
; %bb.227:
	s_or_b64 exec, exec, s[52:53]
	v_mov_b32_dpp v17, v7 row_bcast:31 row_mask:0xf bank_mask:0xf
	v_mov_b32_dpp v15, v15 row_bcast:31 row_mask:0xf bank_mask:0xf
	v_cmp_lt_u32_e64 s[0:1], 31, v9
	s_and_saveexec_b64 s[52:53], s[0:1]
; %bb.228:
	v_max_i32_e32 v17, v7, v17
	v_cmp_eq_u16_e64 s[0:1], 0, v13
	v_and_b32_e32 v13, 1, v13
	v_and_b32_e32 v15, 1, v15
	v_cndmask_b32_e64 v7, v7, v17, s[0:1]
	v_cmp_eq_u32_e64 s[0:1], 1, v13
	s_nop 1
	v_cndmask_b32_e64 v13, v15, 1, s[0:1]
; %bb.229:
	s_or_b64 exec, exec, s[52:53]
	v_add_u32_e32 v15, -1, v9
	v_and_b32_e32 v17, 64, v9
	v_cmp_lt_i32_e64 s[0:1], v15, v17
	v_or_b32_sdwa v8, v8, v13 dst_sel:DWORD dst_unused:UNUSED_PAD src0_sel:DWORD src1_sel:WORD_0
	s_nop 0
	v_cndmask_b32_e64 v9, v15, v9, s[0:1]
	v_lshlrev_b32_e32 v9, 2, v9
	ds_bpermute_b32 v7, v9, v7
	ds_bpermute_b32 v8, v9, v8
	v_mov_b32_e32 v9, 0
	v_cmp_eq_u16_sdwa s[0:1], v3, v9 src0_sel:BYTE_0 src1_sel:DWORD
	; wave barrier
	s_waitcnt lgkmcnt(1)
	v_max_i32_e32 v7, v2, v7
	v_cndmask_b32_e64 v2, v2, v7, s[0:1]
	s_waitcnt lgkmcnt(0)
	v_and_b32_e32 v3, 1, v8
	v_cmp_eq_u32_e64 s[0:1], 1, v6
	v_cndmask_b32_e64 v6, v2, v79, s[54:55]
	s_nop 0
	v_cndmask_b32_e64 v3, v3, 1, s[0:1]
	v_cndmask_b32_e64 v5, v3, v5, s[54:55]
	ds_write_b32 v4, v6
	ds_write_b8 v4, v5 offset:4
	; wave barrier
	ds_read2_b32 v[2:3], v4 offset0:2 offset1:4
	ds_read_u8 v7, v4 offset:12
	ds_read_u8 v8, v4 offset:20
	ds_read_b32 v9, v4 offset:24
	ds_read_u8 v13, v4 offset:28
	s_waitcnt lgkmcnt(4)
	v_max_i32_e32 v6, v2, v6
	s_waitcnt lgkmcnt(3)
	v_cmp_eq_u16_e64 s[0:1], 0, v7
	s_nop 1
	v_cndmask_b32_e64 v2, v2, v6, s[0:1]
	v_and_b32_e32 v6, 1, v7
	v_cmp_eq_u32_e64 s[0:1], 1, v6
	v_max_i32_e32 v6, v3, v2
	s_nop 0
	v_cndmask_b32_e64 v5, v5, 1, s[0:1]
	s_waitcnt lgkmcnt(2)
	v_cmp_eq_u16_e64 s[0:1], 0, v8
	ds_write_b8 v4, v5 offset:12
	s_nop 0
	v_cndmask_b32_e64 v3, v3, v6, s[0:1]
	v_and_b32_e32 v6, 1, v8
	v_cmp_eq_u32_e64 s[0:1], 1, v6
	s_nop 1
	v_cndmask_b32_e64 v5, v5, 1, s[0:1]
	ds_write2_b32 v4, v2, v3 offset0:2 offset1:4
	ds_write_b8 v4, v5 offset:20
	s_waitcnt lgkmcnt(4)
	v_max_i32_e32 v2, v9, v3
	s_waitcnt lgkmcnt(3)
	v_cmp_eq_u16_e64 s[0:1], 0, v13
	v_and_b32_e32 v3, 1, v13
	s_nop 0
	v_cndmask_b32_e64 v2, v9, v2, s[0:1]
	v_cmp_eq_u32_e64 s[0:1], 1, v3
	s_nop 1
	v_cndmask_b32_e64 v3, v5, 1, s[0:1]
	ds_write_b32 v4, v2 offset:24
	ds_write_b8 v4, v3 offset:28
.LBB65_230:
	s_or_b64 exec, exec, s[50:51]
	v_mov_b32_e32 v2, v79
	s_waitcnt lgkmcnt(0)
	s_barrier
	s_and_saveexec_b64 s[0:1], s[4:5]
	s_cbranch_execz .LBB65_281
; %bb.231:
	v_add_u32_e32 v2, -1, v0
	v_lshrrev_b32_e32 v3, 5, v2
	v_add_lshl_u32 v2, v3, v2, 3
	ds_read_b32 v2, v2
	s_or_b64 exec, exec, s[0:1]
	s_and_saveexec_b64 s[50:51], s[4:5]
	s_cbranch_execnz .LBB65_282
.LBB65_232:
	s_or_b64 exec, exec, s[50:51]
	s_and_saveexec_b64 s[0:1], s[54:55]
	s_cbranch_execz .LBB65_234
.LBB65_233:
	v_mov_b32_e32 v5, 0
	s_waitcnt lgkmcnt(0)
	ds_read_b32 v2, v5 offset:2096
	ds_read_u8 v3, v5 offset:2100
	s_add_u32 s4, s72, 0x400
	s_addc_u32 s5, s73, 0
	v_mov_b32_e32 v4, 2
	v_mov_b64_e32 v[6:7], s[4:5]
	s_waitcnt lgkmcnt(0)
	;;#ASMSTART
	global_store_dwordx4 v[6:7], v[2:5] off sc1	
s_waitcnt vmcnt(0)
	;;#ASMEND
.LBB65_234:
	s_or_b64 exec, exec, s[0:1]
	v_mov_b32_e32 v80, v10
.LBB65_235:
	s_lshl_b64 s[0:1], s[76:77], 2
	s_add_u32 s4, s62, s0
	s_addc_u32 s5, s63, s1
	s_lshl_b64 s[0:1], s[56:57], 2
	s_add_u32 s0, s4, s0
	s_addc_u32 s1, s5, s1
	s_and_b64 vcc, exec, s[2:3]
	s_cbranch_vccz .LBB65_283
; %bb.236:
	s_movk_i32 s2, 0x5c
	v_mul_i32_i24_e32 v27, 0xffffffa8, v0
	v_mul_u32_u24_e32 v26, 0x5c, v0
	s_waitcnt lgkmcnt(0)
	v_mad_u32_u24 v2, v0, s2, v27
	s_barrier
	ds_write2_b32 v26, v80, v56 offset1:1
	ds_write2_b32 v26, v57, v58 offset0:2 offset1:3
	ds_write2_b32 v26, v59, v62 offset0:4 offset1:5
	ds_write2_b32 v26, v63, v64 offset0:6 offset1:7
	ds_write2_b32 v26, v65, v66 offset0:8 offset1:9
	ds_write2_b32 v26, v67, v68 offset0:10 offset1:11
	ds_write2_b32 v26, v69, v70 offset0:12 offset1:13
	ds_write2_b32 v26, v71, v72 offset0:14 offset1:15
	ds_write2_b32 v26, v73, v74 offset0:16 offset1:17
	ds_write2_b32 v26, v75, v76 offset0:18 offset1:19
	ds_write2_b32 v26, v77, v78 offset0:20 offset1:21
	ds_write_b32 v26, v79 offset:88
	s_waitcnt lgkmcnt(0)
	s_barrier
	ds_read2st64_b32 v[22:23], v2 offset0:4 offset1:8
	ds_read2st64_b32 v[20:21], v2 offset0:12 offset1:16
	;; [unrolled: 1-line block ×11, first 2 shown]
	v_mov_b32_e32 v24, s1
	v_sub_co_u32_e32 v25, vcc, s0, v1
	s_add_i32 s33, s33, s74
	s_nop 0
	v_subbrev_co_u32_e32 v24, vcc, 0, v24, vcc
	v_cmp_gt_u32_e32 vcc, s33, v0
	s_and_saveexec_b64 s[2:3], vcc
	s_cbranch_execz .LBB65_238
; %bb.237:
	v_add_u32_e32 v26, v26, v27
	ds_read_b32 v28, v26
	v_add_co_u32_e32 v26, vcc, -4, v25
	s_nop 1
	v_addc_co_u32_e32 v27, vcc, -1, v24, vcc
	s_waitcnt lgkmcnt(0)
	flat_store_dword v[26:27], v28
.LBB65_238:
	s_or_b64 exec, exec, s[2:3]
	v_or_b32_e32 v26, 0x100, v0
	v_cmp_gt_u32_e32 vcc, s33, v26
	s_and_saveexec_b64 s[2:3], vcc
	s_cbranch_execz .LBB65_240
; %bb.239:
	v_add_co_u32_e32 v26, vcc, 0xfffffbfc, v25
	s_nop 1
	v_addc_co_u32_e32 v27, vcc, -1, v24, vcc
	s_waitcnt lgkmcnt(0)
	flat_store_dword v[26:27], v22
.LBB65_240:
	s_or_b64 exec, exec, s[2:3]
	s_waitcnt lgkmcnt(0)
	v_or_b32_e32 v22, 0x200, v0
	v_cmp_gt_u32_e32 vcc, s33, v22
	s_and_saveexec_b64 s[2:3], vcc
	s_cbranch_execz .LBB65_242
; %bb.241:
	v_add_co_u32_e32 v26, vcc, 0xfffff7fc, v25
	s_nop 1
	v_addc_co_u32_e32 v27, vcc, -1, v24, vcc
	flat_store_dword v[26:27], v23
.LBB65_242:
	s_or_b64 exec, exec, s[2:3]
	v_or_b32_e32 v22, 0x300, v0
	v_cmp_gt_u32_e32 vcc, s33, v22
	s_and_saveexec_b64 s[2:3], vcc
	s_cbranch_execz .LBB65_244
; %bb.243:
	v_add_co_u32_e32 v22, vcc, 0xfffff3fc, v25
	s_nop 1
	v_addc_co_u32_e32 v23, vcc, -1, v24, vcc
	flat_store_dword v[22:23], v20
.LBB65_244:
	s_or_b64 exec, exec, s[2:3]
	;; [unrolled: 11-line block ×19, first 2 shown]
	v_sub_co_u32_e32 v4, vcc, 0, v0
	v_or_b32_e32 v6, 0x1500, v0
	s_nop 0
	v_subb_co_u32_e64 v5, s[2:3], 0, 0, vcc
	v_cmp_gt_u32_e32 vcc, s33, v6
	s_and_saveexec_b64 s[2:3], vcc
	s_cbranch_execz .LBB65_280
; %bb.279:
	v_add_co_u32_e32 v6, vcc, 0xffffabfc, v25
	s_nop 1
	v_addc_co_u32_e32 v7, vcc, -1, v24, vcc
	flat_store_dword v[6:7], v2
.LBB65_280:
	s_or_b64 exec, exec, s[2:3]
	v_or_b32_e32 v2, 0x1600, v0
	v_cmp_gt_u32_e64 s[2:3], s33, v2
	s_branch .LBB65_285
.LBB65_281:
	s_or_b64 exec, exec, s[0:1]
	s_and_saveexec_b64 s[50:51], s[4:5]
	s_cbranch_execz .LBB65_232
.LBB65_282:
	v_and_b32_e32 v5, 0xff, v11
	v_mov_b32_e32 v4, 0
	s_waitcnt lgkmcnt(0)
	v_max_i32_e32 v2, v10, v2
	v_cmp_eq_u64_e64 s[0:1], 0, v[4:5]
	;;#ASMSTART
	;;#ASMEND
	s_nop 1
	v_cndmask_b32_e64 v10, v10, v2, s[0:1]
	v_max_i32_e32 v2, v12, v10
	v_cndmask_b32_e32 v56, v12, v2, vcc
	v_max_i32_e32 v2, v14, v56
	v_cndmask_b32_e64 v57, v14, v2, s[6:7]
	v_max_i32_e32 v2, v16, v57
	v_cndmask_b32_e64 v58, v16, v2, s[8:9]
	;; [unrolled: 2-line block ×21, first 2 shown]
	s_or_b64 exec, exec, s[50:51]
	s_and_saveexec_b64 s[0:1], s[54:55]
	s_cbranch_execnz .LBB65_233
	s_branch .LBB65_234
.LBB65_283:
	s_mov_b64 s[2:3], 0
                                        ; implicit-def: $vgpr3
                                        ; implicit-def: $vgpr4_vgpr5
	s_cbranch_execz .LBB65_285
; %bb.284:
	s_waitcnt lgkmcnt(0)
	v_mul_u32_u24_e32 v2, 0x5c, v0
	s_barrier
	s_movk_i32 s4, 0x5c
	ds_write2_b32 v2, v80, v56 offset1:1
	ds_write2_b32 v2, v57, v58 offset0:2 offset1:3
	ds_write2_b32 v2, v59, v62 offset0:4 offset1:5
	;; [unrolled: 1-line block ×10, first 2 shown]
	ds_write_b32 v2, v79 offset:88
	v_mul_i32_i24_e32 v2, 0xffffffa8, v0
	v_mad_u32_u24 v2, v0, s4, v2
	v_sub_co_u32_e32 v4, vcc, 0, v0
	s_waitcnt lgkmcnt(0)
	s_barrier
	ds_read2st64_b32 v[6:7], v2 offset1:4
	ds_read2st64_b32 v[8:9], v2 offset0:8 offset1:12
	ds_read2st64_b32 v[10:11], v2 offset0:16 offset1:20
	;; [unrolled: 1-line block ×10, first 2 shown]
	ds_read_b32 v3, v2 offset:22528
	v_subb_co_u32_e64 v5, s[4:5], 0, 0, vcc
	v_mov_b32_e32 v0, s1
	v_sub_co_u32_e32 v2, vcc, s0, v1
	s_movk_i32 s4, 0xf3fc
	s_nop 0
	v_subbrev_co_u32_e32 v28, vcc, 0, v0, vcc
	v_add_co_u32_e32 v0, vcc, s4, v2
	s_movk_i32 s4, 0xe3fc
	s_nop 0
	v_addc_co_u32_e32 v1, vcc, -1, v28, vcc
	s_waitcnt lgkmcnt(0)
	flat_store_dword v[0:1], v6 offset:3072
	flat_store_dword v[0:1], v7 offset:2048
	flat_store_dword v[0:1], v8 offset:1024
	flat_store_dword v[0:1], v9
	v_add_co_u32_e32 v0, vcc, s4, v2
	s_movk_i32 s4, 0xd3fc
	s_nop 0
	v_addc_co_u32_e32 v1, vcc, -1, v28, vcc
	flat_store_dword v[0:1], v10 offset:3072
	flat_store_dword v[0:1], v11 offset:2048
	flat_store_dword v[0:1], v12 offset:1024
	flat_store_dword v[0:1], v13
	v_add_co_u32_e32 v0, vcc, s4, v2
	s_movk_i32 s4, 0xc3fc
	s_nop 0
	v_addc_co_u32_e32 v1, vcc, -1, v28, vcc
	;; [unrolled: 8-line block ×3, first 2 shown]
	flat_store_dword v[0:1], v18 offset:3072
	flat_store_dword v[0:1], v19 offset:2048
	;; [unrolled: 1-line block ×3, first 2 shown]
	flat_store_dword v[0:1], v21
	v_add_co_u32_e32 v0, vcc, s4, v2
	s_or_b64 s[2:3], s[2:3], exec
	s_nop 0
	v_addc_co_u32_e32 v1, vcc, -1, v28, vcc
	flat_store_dword v[0:1], v22 offset:2048
	flat_store_dword v[0:1], v23 offset:1024
	flat_store_dword v[0:1], v24
	v_add_co_u32_e32 v0, vcc, 0xffffb3fc, v2
	s_nop 1
	v_addc_co_u32_e32 v1, vcc, -1, v28, vcc
	flat_store_dword v[0:1], v25
	v_add_co_u32_e32 v0, vcc, 0xffffaffc, v2
	s_nop 1
	v_addc_co_u32_e32 v1, vcc, -1, v28, vcc
	;; [unrolled: 4-line block ×3, first 2 shown]
	flat_store_dword v[0:1], v27
.LBB65_285:
	s_and_saveexec_b64 s[4:5], s[2:3]
	s_cbranch_execz .LBB65_287
; %bb.286:
	v_lshl_add_u64 v[0:1], v[4:5], 2, s[0:1]
	v_add_co_u32_e32 v0, vcc, 0xffffa7fc, v0
	s_nop 1
	v_addc_co_u32_e32 v1, vcc, -1, v1, vcc
	flat_store_dword v[0:1], v3
	s_endpgm
.LBB65_287:
	s_endpgm
	.section	.rodata,"a",@progbits
	.p2align	6, 0x0
	.amdhsa_kernel _ZN7rocprim17ROCPRIM_400000_NS6detail17trampoline_kernelINS0_14default_configENS1_27scan_by_key_config_selectorIiiEEZZNS1_16scan_by_key_implILNS1_25lookback_scan_determinismE0ELb0ES3_N6thrust23THRUST_200600_302600_NS16reverse_iteratorIPKiEESD_NSA_IPiEEiN6hipcub16HIPCUB_304000_NS3MaxENSH_8EqualityEiEE10hipError_tPvRmT2_T3_T4_T5_mT6_T7_P12ihipStream_tbENKUlT_T0_E_clISt17integral_constantIbLb1EES10_EEDaSV_SW_EUlSV_E_NS1_11comp_targetILNS1_3genE5ELNS1_11target_archE942ELNS1_3gpuE9ELNS1_3repE0EEENS1_30default_config_static_selectorELNS0_4arch9wavefront6targetE1EEEvT1_
		.amdhsa_group_segment_fixed_size 25600
		.amdhsa_private_segment_fixed_size 0
		.amdhsa_kernarg_size 112
		.amdhsa_user_sgpr_count 2
		.amdhsa_user_sgpr_dispatch_ptr 0
		.amdhsa_user_sgpr_queue_ptr 0
		.amdhsa_user_sgpr_kernarg_segment_ptr 1
		.amdhsa_user_sgpr_dispatch_id 0
		.amdhsa_user_sgpr_kernarg_preload_length 0
		.amdhsa_user_sgpr_kernarg_preload_offset 0
		.amdhsa_user_sgpr_private_segment_size 0
		.amdhsa_uses_dynamic_stack 0
		.amdhsa_enable_private_segment 0
		.amdhsa_system_sgpr_workgroup_id_x 1
		.amdhsa_system_sgpr_workgroup_id_y 0
		.amdhsa_system_sgpr_workgroup_id_z 0
		.amdhsa_system_sgpr_workgroup_info 0
		.amdhsa_system_vgpr_workitem_id 0
		.amdhsa_next_free_vgpr 81
		.amdhsa_next_free_sgpr 85
		.amdhsa_accum_offset 84
		.amdhsa_reserve_vcc 1
		.amdhsa_float_round_mode_32 0
		.amdhsa_float_round_mode_16_64 0
		.amdhsa_float_denorm_mode_32 3
		.amdhsa_float_denorm_mode_16_64 3
		.amdhsa_dx10_clamp 1
		.amdhsa_ieee_mode 1
		.amdhsa_fp16_overflow 0
		.amdhsa_tg_split 0
		.amdhsa_exception_fp_ieee_invalid_op 0
		.amdhsa_exception_fp_denorm_src 0
		.amdhsa_exception_fp_ieee_div_zero 0
		.amdhsa_exception_fp_ieee_overflow 0
		.amdhsa_exception_fp_ieee_underflow 0
		.amdhsa_exception_fp_ieee_inexact 0
		.amdhsa_exception_int_div_zero 0
	.end_amdhsa_kernel
	.section	.text._ZN7rocprim17ROCPRIM_400000_NS6detail17trampoline_kernelINS0_14default_configENS1_27scan_by_key_config_selectorIiiEEZZNS1_16scan_by_key_implILNS1_25lookback_scan_determinismE0ELb0ES3_N6thrust23THRUST_200600_302600_NS16reverse_iteratorIPKiEESD_NSA_IPiEEiN6hipcub16HIPCUB_304000_NS3MaxENSH_8EqualityEiEE10hipError_tPvRmT2_T3_T4_T5_mT6_T7_P12ihipStream_tbENKUlT_T0_E_clISt17integral_constantIbLb1EES10_EEDaSV_SW_EUlSV_E_NS1_11comp_targetILNS1_3genE5ELNS1_11target_archE942ELNS1_3gpuE9ELNS1_3repE0EEENS1_30default_config_static_selectorELNS0_4arch9wavefront6targetE1EEEvT1_,"axG",@progbits,_ZN7rocprim17ROCPRIM_400000_NS6detail17trampoline_kernelINS0_14default_configENS1_27scan_by_key_config_selectorIiiEEZZNS1_16scan_by_key_implILNS1_25lookback_scan_determinismE0ELb0ES3_N6thrust23THRUST_200600_302600_NS16reverse_iteratorIPKiEESD_NSA_IPiEEiN6hipcub16HIPCUB_304000_NS3MaxENSH_8EqualityEiEE10hipError_tPvRmT2_T3_T4_T5_mT6_T7_P12ihipStream_tbENKUlT_T0_E_clISt17integral_constantIbLb1EES10_EEDaSV_SW_EUlSV_E_NS1_11comp_targetILNS1_3genE5ELNS1_11target_archE942ELNS1_3gpuE9ELNS1_3repE0EEENS1_30default_config_static_selectorELNS0_4arch9wavefront6targetE1EEEvT1_,comdat
.Lfunc_end65:
	.size	_ZN7rocprim17ROCPRIM_400000_NS6detail17trampoline_kernelINS0_14default_configENS1_27scan_by_key_config_selectorIiiEEZZNS1_16scan_by_key_implILNS1_25lookback_scan_determinismE0ELb0ES3_N6thrust23THRUST_200600_302600_NS16reverse_iteratorIPKiEESD_NSA_IPiEEiN6hipcub16HIPCUB_304000_NS3MaxENSH_8EqualityEiEE10hipError_tPvRmT2_T3_T4_T5_mT6_T7_P12ihipStream_tbENKUlT_T0_E_clISt17integral_constantIbLb1EES10_EEDaSV_SW_EUlSV_E_NS1_11comp_targetILNS1_3genE5ELNS1_11target_archE942ELNS1_3gpuE9ELNS1_3repE0EEENS1_30default_config_static_selectorELNS0_4arch9wavefront6targetE1EEEvT1_, .Lfunc_end65-_ZN7rocprim17ROCPRIM_400000_NS6detail17trampoline_kernelINS0_14default_configENS1_27scan_by_key_config_selectorIiiEEZZNS1_16scan_by_key_implILNS1_25lookback_scan_determinismE0ELb0ES3_N6thrust23THRUST_200600_302600_NS16reverse_iteratorIPKiEESD_NSA_IPiEEiN6hipcub16HIPCUB_304000_NS3MaxENSH_8EqualityEiEE10hipError_tPvRmT2_T3_T4_T5_mT6_T7_P12ihipStream_tbENKUlT_T0_E_clISt17integral_constantIbLb1EES10_EEDaSV_SW_EUlSV_E_NS1_11comp_targetILNS1_3genE5ELNS1_11target_archE942ELNS1_3gpuE9ELNS1_3repE0EEENS1_30default_config_static_selectorELNS0_4arch9wavefront6targetE1EEEvT1_
                                        ; -- End function
	.section	.AMDGPU.csdata,"",@progbits
; Kernel info:
; codeLenInByte = 16432
; NumSgprs: 91
; NumVgprs: 81
; NumAgprs: 0
; TotalNumVgprs: 81
; ScratchSize: 0
; MemoryBound: 0
; FloatMode: 240
; IeeeMode: 1
; LDSByteSize: 25600 bytes/workgroup (compile time only)
; SGPRBlocks: 11
; VGPRBlocks: 10
; NumSGPRsForWavesPerEU: 91
; NumVGPRsForWavesPerEU: 81
; AccumOffset: 84
; Occupancy: 2
; WaveLimiterHint : 1
; COMPUTE_PGM_RSRC2:SCRATCH_EN: 0
; COMPUTE_PGM_RSRC2:USER_SGPR: 2
; COMPUTE_PGM_RSRC2:TRAP_HANDLER: 0
; COMPUTE_PGM_RSRC2:TGID_X_EN: 1
; COMPUTE_PGM_RSRC2:TGID_Y_EN: 0
; COMPUTE_PGM_RSRC2:TGID_Z_EN: 0
; COMPUTE_PGM_RSRC2:TIDIG_COMP_CNT: 0
; COMPUTE_PGM_RSRC3_GFX90A:ACCUM_OFFSET: 20
; COMPUTE_PGM_RSRC3_GFX90A:TG_SPLIT: 0
	.section	.text._ZN7rocprim17ROCPRIM_400000_NS6detail17trampoline_kernelINS0_14default_configENS1_27scan_by_key_config_selectorIiiEEZZNS1_16scan_by_key_implILNS1_25lookback_scan_determinismE0ELb0ES3_N6thrust23THRUST_200600_302600_NS16reverse_iteratorIPKiEESD_NSA_IPiEEiN6hipcub16HIPCUB_304000_NS3MaxENSH_8EqualityEiEE10hipError_tPvRmT2_T3_T4_T5_mT6_T7_P12ihipStream_tbENKUlT_T0_E_clISt17integral_constantIbLb1EES10_EEDaSV_SW_EUlSV_E_NS1_11comp_targetILNS1_3genE4ELNS1_11target_archE910ELNS1_3gpuE8ELNS1_3repE0EEENS1_30default_config_static_selectorELNS0_4arch9wavefront6targetE1EEEvT1_,"axG",@progbits,_ZN7rocprim17ROCPRIM_400000_NS6detail17trampoline_kernelINS0_14default_configENS1_27scan_by_key_config_selectorIiiEEZZNS1_16scan_by_key_implILNS1_25lookback_scan_determinismE0ELb0ES3_N6thrust23THRUST_200600_302600_NS16reverse_iteratorIPKiEESD_NSA_IPiEEiN6hipcub16HIPCUB_304000_NS3MaxENSH_8EqualityEiEE10hipError_tPvRmT2_T3_T4_T5_mT6_T7_P12ihipStream_tbENKUlT_T0_E_clISt17integral_constantIbLb1EES10_EEDaSV_SW_EUlSV_E_NS1_11comp_targetILNS1_3genE4ELNS1_11target_archE910ELNS1_3gpuE8ELNS1_3repE0EEENS1_30default_config_static_selectorELNS0_4arch9wavefront6targetE1EEEvT1_,comdat
	.protected	_ZN7rocprim17ROCPRIM_400000_NS6detail17trampoline_kernelINS0_14default_configENS1_27scan_by_key_config_selectorIiiEEZZNS1_16scan_by_key_implILNS1_25lookback_scan_determinismE0ELb0ES3_N6thrust23THRUST_200600_302600_NS16reverse_iteratorIPKiEESD_NSA_IPiEEiN6hipcub16HIPCUB_304000_NS3MaxENSH_8EqualityEiEE10hipError_tPvRmT2_T3_T4_T5_mT6_T7_P12ihipStream_tbENKUlT_T0_E_clISt17integral_constantIbLb1EES10_EEDaSV_SW_EUlSV_E_NS1_11comp_targetILNS1_3genE4ELNS1_11target_archE910ELNS1_3gpuE8ELNS1_3repE0EEENS1_30default_config_static_selectorELNS0_4arch9wavefront6targetE1EEEvT1_ ; -- Begin function _ZN7rocprim17ROCPRIM_400000_NS6detail17trampoline_kernelINS0_14default_configENS1_27scan_by_key_config_selectorIiiEEZZNS1_16scan_by_key_implILNS1_25lookback_scan_determinismE0ELb0ES3_N6thrust23THRUST_200600_302600_NS16reverse_iteratorIPKiEESD_NSA_IPiEEiN6hipcub16HIPCUB_304000_NS3MaxENSH_8EqualityEiEE10hipError_tPvRmT2_T3_T4_T5_mT6_T7_P12ihipStream_tbENKUlT_T0_E_clISt17integral_constantIbLb1EES10_EEDaSV_SW_EUlSV_E_NS1_11comp_targetILNS1_3genE4ELNS1_11target_archE910ELNS1_3gpuE8ELNS1_3repE0EEENS1_30default_config_static_selectorELNS0_4arch9wavefront6targetE1EEEvT1_
	.globl	_ZN7rocprim17ROCPRIM_400000_NS6detail17trampoline_kernelINS0_14default_configENS1_27scan_by_key_config_selectorIiiEEZZNS1_16scan_by_key_implILNS1_25lookback_scan_determinismE0ELb0ES3_N6thrust23THRUST_200600_302600_NS16reverse_iteratorIPKiEESD_NSA_IPiEEiN6hipcub16HIPCUB_304000_NS3MaxENSH_8EqualityEiEE10hipError_tPvRmT2_T3_T4_T5_mT6_T7_P12ihipStream_tbENKUlT_T0_E_clISt17integral_constantIbLb1EES10_EEDaSV_SW_EUlSV_E_NS1_11comp_targetILNS1_3genE4ELNS1_11target_archE910ELNS1_3gpuE8ELNS1_3repE0EEENS1_30default_config_static_selectorELNS0_4arch9wavefront6targetE1EEEvT1_
	.p2align	8
	.type	_ZN7rocprim17ROCPRIM_400000_NS6detail17trampoline_kernelINS0_14default_configENS1_27scan_by_key_config_selectorIiiEEZZNS1_16scan_by_key_implILNS1_25lookback_scan_determinismE0ELb0ES3_N6thrust23THRUST_200600_302600_NS16reverse_iteratorIPKiEESD_NSA_IPiEEiN6hipcub16HIPCUB_304000_NS3MaxENSH_8EqualityEiEE10hipError_tPvRmT2_T3_T4_T5_mT6_T7_P12ihipStream_tbENKUlT_T0_E_clISt17integral_constantIbLb1EES10_EEDaSV_SW_EUlSV_E_NS1_11comp_targetILNS1_3genE4ELNS1_11target_archE910ELNS1_3gpuE8ELNS1_3repE0EEENS1_30default_config_static_selectorELNS0_4arch9wavefront6targetE1EEEvT1_,@function
_ZN7rocprim17ROCPRIM_400000_NS6detail17trampoline_kernelINS0_14default_configENS1_27scan_by_key_config_selectorIiiEEZZNS1_16scan_by_key_implILNS1_25lookback_scan_determinismE0ELb0ES3_N6thrust23THRUST_200600_302600_NS16reverse_iteratorIPKiEESD_NSA_IPiEEiN6hipcub16HIPCUB_304000_NS3MaxENSH_8EqualityEiEE10hipError_tPvRmT2_T3_T4_T5_mT6_T7_P12ihipStream_tbENKUlT_T0_E_clISt17integral_constantIbLb1EES10_EEDaSV_SW_EUlSV_E_NS1_11comp_targetILNS1_3genE4ELNS1_11target_archE910ELNS1_3gpuE8ELNS1_3repE0EEENS1_30default_config_static_selectorELNS0_4arch9wavefront6targetE1EEEvT1_: ; @_ZN7rocprim17ROCPRIM_400000_NS6detail17trampoline_kernelINS0_14default_configENS1_27scan_by_key_config_selectorIiiEEZZNS1_16scan_by_key_implILNS1_25lookback_scan_determinismE0ELb0ES3_N6thrust23THRUST_200600_302600_NS16reverse_iteratorIPKiEESD_NSA_IPiEEiN6hipcub16HIPCUB_304000_NS3MaxENSH_8EqualityEiEE10hipError_tPvRmT2_T3_T4_T5_mT6_T7_P12ihipStream_tbENKUlT_T0_E_clISt17integral_constantIbLb1EES10_EEDaSV_SW_EUlSV_E_NS1_11comp_targetILNS1_3genE4ELNS1_11target_archE910ELNS1_3gpuE8ELNS1_3repE0EEENS1_30default_config_static_selectorELNS0_4arch9wavefront6targetE1EEEvT1_
; %bb.0:
	.section	.rodata,"a",@progbits
	.p2align	6, 0x0
	.amdhsa_kernel _ZN7rocprim17ROCPRIM_400000_NS6detail17trampoline_kernelINS0_14default_configENS1_27scan_by_key_config_selectorIiiEEZZNS1_16scan_by_key_implILNS1_25lookback_scan_determinismE0ELb0ES3_N6thrust23THRUST_200600_302600_NS16reverse_iteratorIPKiEESD_NSA_IPiEEiN6hipcub16HIPCUB_304000_NS3MaxENSH_8EqualityEiEE10hipError_tPvRmT2_T3_T4_T5_mT6_T7_P12ihipStream_tbENKUlT_T0_E_clISt17integral_constantIbLb1EES10_EEDaSV_SW_EUlSV_E_NS1_11comp_targetILNS1_3genE4ELNS1_11target_archE910ELNS1_3gpuE8ELNS1_3repE0EEENS1_30default_config_static_selectorELNS0_4arch9wavefront6targetE1EEEvT1_
		.amdhsa_group_segment_fixed_size 0
		.amdhsa_private_segment_fixed_size 0
		.amdhsa_kernarg_size 112
		.amdhsa_user_sgpr_count 2
		.amdhsa_user_sgpr_dispatch_ptr 0
		.amdhsa_user_sgpr_queue_ptr 0
		.amdhsa_user_sgpr_kernarg_segment_ptr 1
		.amdhsa_user_sgpr_dispatch_id 0
		.amdhsa_user_sgpr_kernarg_preload_length 0
		.amdhsa_user_sgpr_kernarg_preload_offset 0
		.amdhsa_user_sgpr_private_segment_size 0
		.amdhsa_uses_dynamic_stack 0
		.amdhsa_enable_private_segment 0
		.amdhsa_system_sgpr_workgroup_id_x 1
		.amdhsa_system_sgpr_workgroup_id_y 0
		.amdhsa_system_sgpr_workgroup_id_z 0
		.amdhsa_system_sgpr_workgroup_info 0
		.amdhsa_system_vgpr_workitem_id 0
		.amdhsa_next_free_vgpr 1
		.amdhsa_next_free_sgpr 0
		.amdhsa_accum_offset 4
		.amdhsa_reserve_vcc 0
		.amdhsa_float_round_mode_32 0
		.amdhsa_float_round_mode_16_64 0
		.amdhsa_float_denorm_mode_32 3
		.amdhsa_float_denorm_mode_16_64 3
		.amdhsa_dx10_clamp 1
		.amdhsa_ieee_mode 1
		.amdhsa_fp16_overflow 0
		.amdhsa_tg_split 0
		.amdhsa_exception_fp_ieee_invalid_op 0
		.amdhsa_exception_fp_denorm_src 0
		.amdhsa_exception_fp_ieee_div_zero 0
		.amdhsa_exception_fp_ieee_overflow 0
		.amdhsa_exception_fp_ieee_underflow 0
		.amdhsa_exception_fp_ieee_inexact 0
		.amdhsa_exception_int_div_zero 0
	.end_amdhsa_kernel
	.section	.text._ZN7rocprim17ROCPRIM_400000_NS6detail17trampoline_kernelINS0_14default_configENS1_27scan_by_key_config_selectorIiiEEZZNS1_16scan_by_key_implILNS1_25lookback_scan_determinismE0ELb0ES3_N6thrust23THRUST_200600_302600_NS16reverse_iteratorIPKiEESD_NSA_IPiEEiN6hipcub16HIPCUB_304000_NS3MaxENSH_8EqualityEiEE10hipError_tPvRmT2_T3_T4_T5_mT6_T7_P12ihipStream_tbENKUlT_T0_E_clISt17integral_constantIbLb1EES10_EEDaSV_SW_EUlSV_E_NS1_11comp_targetILNS1_3genE4ELNS1_11target_archE910ELNS1_3gpuE8ELNS1_3repE0EEENS1_30default_config_static_selectorELNS0_4arch9wavefront6targetE1EEEvT1_,"axG",@progbits,_ZN7rocprim17ROCPRIM_400000_NS6detail17trampoline_kernelINS0_14default_configENS1_27scan_by_key_config_selectorIiiEEZZNS1_16scan_by_key_implILNS1_25lookback_scan_determinismE0ELb0ES3_N6thrust23THRUST_200600_302600_NS16reverse_iteratorIPKiEESD_NSA_IPiEEiN6hipcub16HIPCUB_304000_NS3MaxENSH_8EqualityEiEE10hipError_tPvRmT2_T3_T4_T5_mT6_T7_P12ihipStream_tbENKUlT_T0_E_clISt17integral_constantIbLb1EES10_EEDaSV_SW_EUlSV_E_NS1_11comp_targetILNS1_3genE4ELNS1_11target_archE910ELNS1_3gpuE8ELNS1_3repE0EEENS1_30default_config_static_selectorELNS0_4arch9wavefront6targetE1EEEvT1_,comdat
.Lfunc_end66:
	.size	_ZN7rocprim17ROCPRIM_400000_NS6detail17trampoline_kernelINS0_14default_configENS1_27scan_by_key_config_selectorIiiEEZZNS1_16scan_by_key_implILNS1_25lookback_scan_determinismE0ELb0ES3_N6thrust23THRUST_200600_302600_NS16reverse_iteratorIPKiEESD_NSA_IPiEEiN6hipcub16HIPCUB_304000_NS3MaxENSH_8EqualityEiEE10hipError_tPvRmT2_T3_T4_T5_mT6_T7_P12ihipStream_tbENKUlT_T0_E_clISt17integral_constantIbLb1EES10_EEDaSV_SW_EUlSV_E_NS1_11comp_targetILNS1_3genE4ELNS1_11target_archE910ELNS1_3gpuE8ELNS1_3repE0EEENS1_30default_config_static_selectorELNS0_4arch9wavefront6targetE1EEEvT1_, .Lfunc_end66-_ZN7rocprim17ROCPRIM_400000_NS6detail17trampoline_kernelINS0_14default_configENS1_27scan_by_key_config_selectorIiiEEZZNS1_16scan_by_key_implILNS1_25lookback_scan_determinismE0ELb0ES3_N6thrust23THRUST_200600_302600_NS16reverse_iteratorIPKiEESD_NSA_IPiEEiN6hipcub16HIPCUB_304000_NS3MaxENSH_8EqualityEiEE10hipError_tPvRmT2_T3_T4_T5_mT6_T7_P12ihipStream_tbENKUlT_T0_E_clISt17integral_constantIbLb1EES10_EEDaSV_SW_EUlSV_E_NS1_11comp_targetILNS1_3genE4ELNS1_11target_archE910ELNS1_3gpuE8ELNS1_3repE0EEENS1_30default_config_static_selectorELNS0_4arch9wavefront6targetE1EEEvT1_
                                        ; -- End function
	.section	.AMDGPU.csdata,"",@progbits
; Kernel info:
; codeLenInByte = 0
; NumSgprs: 6
; NumVgprs: 0
; NumAgprs: 0
; TotalNumVgprs: 0
; ScratchSize: 0
; MemoryBound: 0
; FloatMode: 240
; IeeeMode: 1
; LDSByteSize: 0 bytes/workgroup (compile time only)
; SGPRBlocks: 0
; VGPRBlocks: 0
; NumSGPRsForWavesPerEU: 6
; NumVGPRsForWavesPerEU: 1
; AccumOffset: 4
; Occupancy: 8
; WaveLimiterHint : 0
; COMPUTE_PGM_RSRC2:SCRATCH_EN: 0
; COMPUTE_PGM_RSRC2:USER_SGPR: 2
; COMPUTE_PGM_RSRC2:TRAP_HANDLER: 0
; COMPUTE_PGM_RSRC2:TGID_X_EN: 1
; COMPUTE_PGM_RSRC2:TGID_Y_EN: 0
; COMPUTE_PGM_RSRC2:TGID_Z_EN: 0
; COMPUTE_PGM_RSRC2:TIDIG_COMP_CNT: 0
; COMPUTE_PGM_RSRC3_GFX90A:ACCUM_OFFSET: 0
; COMPUTE_PGM_RSRC3_GFX90A:TG_SPLIT: 0
	.section	.text._ZN7rocprim17ROCPRIM_400000_NS6detail17trampoline_kernelINS0_14default_configENS1_27scan_by_key_config_selectorIiiEEZZNS1_16scan_by_key_implILNS1_25lookback_scan_determinismE0ELb0ES3_N6thrust23THRUST_200600_302600_NS16reverse_iteratorIPKiEESD_NSA_IPiEEiN6hipcub16HIPCUB_304000_NS3MaxENSH_8EqualityEiEE10hipError_tPvRmT2_T3_T4_T5_mT6_T7_P12ihipStream_tbENKUlT_T0_E_clISt17integral_constantIbLb1EES10_EEDaSV_SW_EUlSV_E_NS1_11comp_targetILNS1_3genE3ELNS1_11target_archE908ELNS1_3gpuE7ELNS1_3repE0EEENS1_30default_config_static_selectorELNS0_4arch9wavefront6targetE1EEEvT1_,"axG",@progbits,_ZN7rocprim17ROCPRIM_400000_NS6detail17trampoline_kernelINS0_14default_configENS1_27scan_by_key_config_selectorIiiEEZZNS1_16scan_by_key_implILNS1_25lookback_scan_determinismE0ELb0ES3_N6thrust23THRUST_200600_302600_NS16reverse_iteratorIPKiEESD_NSA_IPiEEiN6hipcub16HIPCUB_304000_NS3MaxENSH_8EqualityEiEE10hipError_tPvRmT2_T3_T4_T5_mT6_T7_P12ihipStream_tbENKUlT_T0_E_clISt17integral_constantIbLb1EES10_EEDaSV_SW_EUlSV_E_NS1_11comp_targetILNS1_3genE3ELNS1_11target_archE908ELNS1_3gpuE7ELNS1_3repE0EEENS1_30default_config_static_selectorELNS0_4arch9wavefront6targetE1EEEvT1_,comdat
	.protected	_ZN7rocprim17ROCPRIM_400000_NS6detail17trampoline_kernelINS0_14default_configENS1_27scan_by_key_config_selectorIiiEEZZNS1_16scan_by_key_implILNS1_25lookback_scan_determinismE0ELb0ES3_N6thrust23THRUST_200600_302600_NS16reverse_iteratorIPKiEESD_NSA_IPiEEiN6hipcub16HIPCUB_304000_NS3MaxENSH_8EqualityEiEE10hipError_tPvRmT2_T3_T4_T5_mT6_T7_P12ihipStream_tbENKUlT_T0_E_clISt17integral_constantIbLb1EES10_EEDaSV_SW_EUlSV_E_NS1_11comp_targetILNS1_3genE3ELNS1_11target_archE908ELNS1_3gpuE7ELNS1_3repE0EEENS1_30default_config_static_selectorELNS0_4arch9wavefront6targetE1EEEvT1_ ; -- Begin function _ZN7rocprim17ROCPRIM_400000_NS6detail17trampoline_kernelINS0_14default_configENS1_27scan_by_key_config_selectorIiiEEZZNS1_16scan_by_key_implILNS1_25lookback_scan_determinismE0ELb0ES3_N6thrust23THRUST_200600_302600_NS16reverse_iteratorIPKiEESD_NSA_IPiEEiN6hipcub16HIPCUB_304000_NS3MaxENSH_8EqualityEiEE10hipError_tPvRmT2_T3_T4_T5_mT6_T7_P12ihipStream_tbENKUlT_T0_E_clISt17integral_constantIbLb1EES10_EEDaSV_SW_EUlSV_E_NS1_11comp_targetILNS1_3genE3ELNS1_11target_archE908ELNS1_3gpuE7ELNS1_3repE0EEENS1_30default_config_static_selectorELNS0_4arch9wavefront6targetE1EEEvT1_
	.globl	_ZN7rocprim17ROCPRIM_400000_NS6detail17trampoline_kernelINS0_14default_configENS1_27scan_by_key_config_selectorIiiEEZZNS1_16scan_by_key_implILNS1_25lookback_scan_determinismE0ELb0ES3_N6thrust23THRUST_200600_302600_NS16reverse_iteratorIPKiEESD_NSA_IPiEEiN6hipcub16HIPCUB_304000_NS3MaxENSH_8EqualityEiEE10hipError_tPvRmT2_T3_T4_T5_mT6_T7_P12ihipStream_tbENKUlT_T0_E_clISt17integral_constantIbLb1EES10_EEDaSV_SW_EUlSV_E_NS1_11comp_targetILNS1_3genE3ELNS1_11target_archE908ELNS1_3gpuE7ELNS1_3repE0EEENS1_30default_config_static_selectorELNS0_4arch9wavefront6targetE1EEEvT1_
	.p2align	8
	.type	_ZN7rocprim17ROCPRIM_400000_NS6detail17trampoline_kernelINS0_14default_configENS1_27scan_by_key_config_selectorIiiEEZZNS1_16scan_by_key_implILNS1_25lookback_scan_determinismE0ELb0ES3_N6thrust23THRUST_200600_302600_NS16reverse_iteratorIPKiEESD_NSA_IPiEEiN6hipcub16HIPCUB_304000_NS3MaxENSH_8EqualityEiEE10hipError_tPvRmT2_T3_T4_T5_mT6_T7_P12ihipStream_tbENKUlT_T0_E_clISt17integral_constantIbLb1EES10_EEDaSV_SW_EUlSV_E_NS1_11comp_targetILNS1_3genE3ELNS1_11target_archE908ELNS1_3gpuE7ELNS1_3repE0EEENS1_30default_config_static_selectorELNS0_4arch9wavefront6targetE1EEEvT1_,@function
_ZN7rocprim17ROCPRIM_400000_NS6detail17trampoline_kernelINS0_14default_configENS1_27scan_by_key_config_selectorIiiEEZZNS1_16scan_by_key_implILNS1_25lookback_scan_determinismE0ELb0ES3_N6thrust23THRUST_200600_302600_NS16reverse_iteratorIPKiEESD_NSA_IPiEEiN6hipcub16HIPCUB_304000_NS3MaxENSH_8EqualityEiEE10hipError_tPvRmT2_T3_T4_T5_mT6_T7_P12ihipStream_tbENKUlT_T0_E_clISt17integral_constantIbLb1EES10_EEDaSV_SW_EUlSV_E_NS1_11comp_targetILNS1_3genE3ELNS1_11target_archE908ELNS1_3gpuE7ELNS1_3repE0EEENS1_30default_config_static_selectorELNS0_4arch9wavefront6targetE1EEEvT1_: ; @_ZN7rocprim17ROCPRIM_400000_NS6detail17trampoline_kernelINS0_14default_configENS1_27scan_by_key_config_selectorIiiEEZZNS1_16scan_by_key_implILNS1_25lookback_scan_determinismE0ELb0ES3_N6thrust23THRUST_200600_302600_NS16reverse_iteratorIPKiEESD_NSA_IPiEEiN6hipcub16HIPCUB_304000_NS3MaxENSH_8EqualityEiEE10hipError_tPvRmT2_T3_T4_T5_mT6_T7_P12ihipStream_tbENKUlT_T0_E_clISt17integral_constantIbLb1EES10_EEDaSV_SW_EUlSV_E_NS1_11comp_targetILNS1_3genE3ELNS1_11target_archE908ELNS1_3gpuE7ELNS1_3repE0EEENS1_30default_config_static_selectorELNS0_4arch9wavefront6targetE1EEEvT1_
; %bb.0:
	.section	.rodata,"a",@progbits
	.p2align	6, 0x0
	.amdhsa_kernel _ZN7rocprim17ROCPRIM_400000_NS6detail17trampoline_kernelINS0_14default_configENS1_27scan_by_key_config_selectorIiiEEZZNS1_16scan_by_key_implILNS1_25lookback_scan_determinismE0ELb0ES3_N6thrust23THRUST_200600_302600_NS16reverse_iteratorIPKiEESD_NSA_IPiEEiN6hipcub16HIPCUB_304000_NS3MaxENSH_8EqualityEiEE10hipError_tPvRmT2_T3_T4_T5_mT6_T7_P12ihipStream_tbENKUlT_T0_E_clISt17integral_constantIbLb1EES10_EEDaSV_SW_EUlSV_E_NS1_11comp_targetILNS1_3genE3ELNS1_11target_archE908ELNS1_3gpuE7ELNS1_3repE0EEENS1_30default_config_static_selectorELNS0_4arch9wavefront6targetE1EEEvT1_
		.amdhsa_group_segment_fixed_size 0
		.amdhsa_private_segment_fixed_size 0
		.amdhsa_kernarg_size 112
		.amdhsa_user_sgpr_count 2
		.amdhsa_user_sgpr_dispatch_ptr 0
		.amdhsa_user_sgpr_queue_ptr 0
		.amdhsa_user_sgpr_kernarg_segment_ptr 1
		.amdhsa_user_sgpr_dispatch_id 0
		.amdhsa_user_sgpr_kernarg_preload_length 0
		.amdhsa_user_sgpr_kernarg_preload_offset 0
		.amdhsa_user_sgpr_private_segment_size 0
		.amdhsa_uses_dynamic_stack 0
		.amdhsa_enable_private_segment 0
		.amdhsa_system_sgpr_workgroup_id_x 1
		.amdhsa_system_sgpr_workgroup_id_y 0
		.amdhsa_system_sgpr_workgroup_id_z 0
		.amdhsa_system_sgpr_workgroup_info 0
		.amdhsa_system_vgpr_workitem_id 0
		.amdhsa_next_free_vgpr 1
		.amdhsa_next_free_sgpr 0
		.amdhsa_accum_offset 4
		.amdhsa_reserve_vcc 0
		.amdhsa_float_round_mode_32 0
		.amdhsa_float_round_mode_16_64 0
		.amdhsa_float_denorm_mode_32 3
		.amdhsa_float_denorm_mode_16_64 3
		.amdhsa_dx10_clamp 1
		.amdhsa_ieee_mode 1
		.amdhsa_fp16_overflow 0
		.amdhsa_tg_split 0
		.amdhsa_exception_fp_ieee_invalid_op 0
		.amdhsa_exception_fp_denorm_src 0
		.amdhsa_exception_fp_ieee_div_zero 0
		.amdhsa_exception_fp_ieee_overflow 0
		.amdhsa_exception_fp_ieee_underflow 0
		.amdhsa_exception_fp_ieee_inexact 0
		.amdhsa_exception_int_div_zero 0
	.end_amdhsa_kernel
	.section	.text._ZN7rocprim17ROCPRIM_400000_NS6detail17trampoline_kernelINS0_14default_configENS1_27scan_by_key_config_selectorIiiEEZZNS1_16scan_by_key_implILNS1_25lookback_scan_determinismE0ELb0ES3_N6thrust23THRUST_200600_302600_NS16reverse_iteratorIPKiEESD_NSA_IPiEEiN6hipcub16HIPCUB_304000_NS3MaxENSH_8EqualityEiEE10hipError_tPvRmT2_T3_T4_T5_mT6_T7_P12ihipStream_tbENKUlT_T0_E_clISt17integral_constantIbLb1EES10_EEDaSV_SW_EUlSV_E_NS1_11comp_targetILNS1_3genE3ELNS1_11target_archE908ELNS1_3gpuE7ELNS1_3repE0EEENS1_30default_config_static_selectorELNS0_4arch9wavefront6targetE1EEEvT1_,"axG",@progbits,_ZN7rocprim17ROCPRIM_400000_NS6detail17trampoline_kernelINS0_14default_configENS1_27scan_by_key_config_selectorIiiEEZZNS1_16scan_by_key_implILNS1_25lookback_scan_determinismE0ELb0ES3_N6thrust23THRUST_200600_302600_NS16reverse_iteratorIPKiEESD_NSA_IPiEEiN6hipcub16HIPCUB_304000_NS3MaxENSH_8EqualityEiEE10hipError_tPvRmT2_T3_T4_T5_mT6_T7_P12ihipStream_tbENKUlT_T0_E_clISt17integral_constantIbLb1EES10_EEDaSV_SW_EUlSV_E_NS1_11comp_targetILNS1_3genE3ELNS1_11target_archE908ELNS1_3gpuE7ELNS1_3repE0EEENS1_30default_config_static_selectorELNS0_4arch9wavefront6targetE1EEEvT1_,comdat
.Lfunc_end67:
	.size	_ZN7rocprim17ROCPRIM_400000_NS6detail17trampoline_kernelINS0_14default_configENS1_27scan_by_key_config_selectorIiiEEZZNS1_16scan_by_key_implILNS1_25lookback_scan_determinismE0ELb0ES3_N6thrust23THRUST_200600_302600_NS16reverse_iteratorIPKiEESD_NSA_IPiEEiN6hipcub16HIPCUB_304000_NS3MaxENSH_8EqualityEiEE10hipError_tPvRmT2_T3_T4_T5_mT6_T7_P12ihipStream_tbENKUlT_T0_E_clISt17integral_constantIbLb1EES10_EEDaSV_SW_EUlSV_E_NS1_11comp_targetILNS1_3genE3ELNS1_11target_archE908ELNS1_3gpuE7ELNS1_3repE0EEENS1_30default_config_static_selectorELNS0_4arch9wavefront6targetE1EEEvT1_, .Lfunc_end67-_ZN7rocprim17ROCPRIM_400000_NS6detail17trampoline_kernelINS0_14default_configENS1_27scan_by_key_config_selectorIiiEEZZNS1_16scan_by_key_implILNS1_25lookback_scan_determinismE0ELb0ES3_N6thrust23THRUST_200600_302600_NS16reverse_iteratorIPKiEESD_NSA_IPiEEiN6hipcub16HIPCUB_304000_NS3MaxENSH_8EqualityEiEE10hipError_tPvRmT2_T3_T4_T5_mT6_T7_P12ihipStream_tbENKUlT_T0_E_clISt17integral_constantIbLb1EES10_EEDaSV_SW_EUlSV_E_NS1_11comp_targetILNS1_3genE3ELNS1_11target_archE908ELNS1_3gpuE7ELNS1_3repE0EEENS1_30default_config_static_selectorELNS0_4arch9wavefront6targetE1EEEvT1_
                                        ; -- End function
	.section	.AMDGPU.csdata,"",@progbits
; Kernel info:
; codeLenInByte = 0
; NumSgprs: 6
; NumVgprs: 0
; NumAgprs: 0
; TotalNumVgprs: 0
; ScratchSize: 0
; MemoryBound: 0
; FloatMode: 240
; IeeeMode: 1
; LDSByteSize: 0 bytes/workgroup (compile time only)
; SGPRBlocks: 0
; VGPRBlocks: 0
; NumSGPRsForWavesPerEU: 6
; NumVGPRsForWavesPerEU: 1
; AccumOffset: 4
; Occupancy: 8
; WaveLimiterHint : 0
; COMPUTE_PGM_RSRC2:SCRATCH_EN: 0
; COMPUTE_PGM_RSRC2:USER_SGPR: 2
; COMPUTE_PGM_RSRC2:TRAP_HANDLER: 0
; COMPUTE_PGM_RSRC2:TGID_X_EN: 1
; COMPUTE_PGM_RSRC2:TGID_Y_EN: 0
; COMPUTE_PGM_RSRC2:TGID_Z_EN: 0
; COMPUTE_PGM_RSRC2:TIDIG_COMP_CNT: 0
; COMPUTE_PGM_RSRC3_GFX90A:ACCUM_OFFSET: 0
; COMPUTE_PGM_RSRC3_GFX90A:TG_SPLIT: 0
	.section	.text._ZN7rocprim17ROCPRIM_400000_NS6detail17trampoline_kernelINS0_14default_configENS1_27scan_by_key_config_selectorIiiEEZZNS1_16scan_by_key_implILNS1_25lookback_scan_determinismE0ELb0ES3_N6thrust23THRUST_200600_302600_NS16reverse_iteratorIPKiEESD_NSA_IPiEEiN6hipcub16HIPCUB_304000_NS3MaxENSH_8EqualityEiEE10hipError_tPvRmT2_T3_T4_T5_mT6_T7_P12ihipStream_tbENKUlT_T0_E_clISt17integral_constantIbLb1EES10_EEDaSV_SW_EUlSV_E_NS1_11comp_targetILNS1_3genE2ELNS1_11target_archE906ELNS1_3gpuE6ELNS1_3repE0EEENS1_30default_config_static_selectorELNS0_4arch9wavefront6targetE1EEEvT1_,"axG",@progbits,_ZN7rocprim17ROCPRIM_400000_NS6detail17trampoline_kernelINS0_14default_configENS1_27scan_by_key_config_selectorIiiEEZZNS1_16scan_by_key_implILNS1_25lookback_scan_determinismE0ELb0ES3_N6thrust23THRUST_200600_302600_NS16reverse_iteratorIPKiEESD_NSA_IPiEEiN6hipcub16HIPCUB_304000_NS3MaxENSH_8EqualityEiEE10hipError_tPvRmT2_T3_T4_T5_mT6_T7_P12ihipStream_tbENKUlT_T0_E_clISt17integral_constantIbLb1EES10_EEDaSV_SW_EUlSV_E_NS1_11comp_targetILNS1_3genE2ELNS1_11target_archE906ELNS1_3gpuE6ELNS1_3repE0EEENS1_30default_config_static_selectorELNS0_4arch9wavefront6targetE1EEEvT1_,comdat
	.protected	_ZN7rocprim17ROCPRIM_400000_NS6detail17trampoline_kernelINS0_14default_configENS1_27scan_by_key_config_selectorIiiEEZZNS1_16scan_by_key_implILNS1_25lookback_scan_determinismE0ELb0ES3_N6thrust23THRUST_200600_302600_NS16reverse_iteratorIPKiEESD_NSA_IPiEEiN6hipcub16HIPCUB_304000_NS3MaxENSH_8EqualityEiEE10hipError_tPvRmT2_T3_T4_T5_mT6_T7_P12ihipStream_tbENKUlT_T0_E_clISt17integral_constantIbLb1EES10_EEDaSV_SW_EUlSV_E_NS1_11comp_targetILNS1_3genE2ELNS1_11target_archE906ELNS1_3gpuE6ELNS1_3repE0EEENS1_30default_config_static_selectorELNS0_4arch9wavefront6targetE1EEEvT1_ ; -- Begin function _ZN7rocprim17ROCPRIM_400000_NS6detail17trampoline_kernelINS0_14default_configENS1_27scan_by_key_config_selectorIiiEEZZNS1_16scan_by_key_implILNS1_25lookback_scan_determinismE0ELb0ES3_N6thrust23THRUST_200600_302600_NS16reverse_iteratorIPKiEESD_NSA_IPiEEiN6hipcub16HIPCUB_304000_NS3MaxENSH_8EqualityEiEE10hipError_tPvRmT2_T3_T4_T5_mT6_T7_P12ihipStream_tbENKUlT_T0_E_clISt17integral_constantIbLb1EES10_EEDaSV_SW_EUlSV_E_NS1_11comp_targetILNS1_3genE2ELNS1_11target_archE906ELNS1_3gpuE6ELNS1_3repE0EEENS1_30default_config_static_selectorELNS0_4arch9wavefront6targetE1EEEvT1_
	.globl	_ZN7rocprim17ROCPRIM_400000_NS6detail17trampoline_kernelINS0_14default_configENS1_27scan_by_key_config_selectorIiiEEZZNS1_16scan_by_key_implILNS1_25lookback_scan_determinismE0ELb0ES3_N6thrust23THRUST_200600_302600_NS16reverse_iteratorIPKiEESD_NSA_IPiEEiN6hipcub16HIPCUB_304000_NS3MaxENSH_8EqualityEiEE10hipError_tPvRmT2_T3_T4_T5_mT6_T7_P12ihipStream_tbENKUlT_T0_E_clISt17integral_constantIbLb1EES10_EEDaSV_SW_EUlSV_E_NS1_11comp_targetILNS1_3genE2ELNS1_11target_archE906ELNS1_3gpuE6ELNS1_3repE0EEENS1_30default_config_static_selectorELNS0_4arch9wavefront6targetE1EEEvT1_
	.p2align	8
	.type	_ZN7rocprim17ROCPRIM_400000_NS6detail17trampoline_kernelINS0_14default_configENS1_27scan_by_key_config_selectorIiiEEZZNS1_16scan_by_key_implILNS1_25lookback_scan_determinismE0ELb0ES3_N6thrust23THRUST_200600_302600_NS16reverse_iteratorIPKiEESD_NSA_IPiEEiN6hipcub16HIPCUB_304000_NS3MaxENSH_8EqualityEiEE10hipError_tPvRmT2_T3_T4_T5_mT6_T7_P12ihipStream_tbENKUlT_T0_E_clISt17integral_constantIbLb1EES10_EEDaSV_SW_EUlSV_E_NS1_11comp_targetILNS1_3genE2ELNS1_11target_archE906ELNS1_3gpuE6ELNS1_3repE0EEENS1_30default_config_static_selectorELNS0_4arch9wavefront6targetE1EEEvT1_,@function
_ZN7rocprim17ROCPRIM_400000_NS6detail17trampoline_kernelINS0_14default_configENS1_27scan_by_key_config_selectorIiiEEZZNS1_16scan_by_key_implILNS1_25lookback_scan_determinismE0ELb0ES3_N6thrust23THRUST_200600_302600_NS16reverse_iteratorIPKiEESD_NSA_IPiEEiN6hipcub16HIPCUB_304000_NS3MaxENSH_8EqualityEiEE10hipError_tPvRmT2_T3_T4_T5_mT6_T7_P12ihipStream_tbENKUlT_T0_E_clISt17integral_constantIbLb1EES10_EEDaSV_SW_EUlSV_E_NS1_11comp_targetILNS1_3genE2ELNS1_11target_archE906ELNS1_3gpuE6ELNS1_3repE0EEENS1_30default_config_static_selectorELNS0_4arch9wavefront6targetE1EEEvT1_: ; @_ZN7rocprim17ROCPRIM_400000_NS6detail17trampoline_kernelINS0_14default_configENS1_27scan_by_key_config_selectorIiiEEZZNS1_16scan_by_key_implILNS1_25lookback_scan_determinismE0ELb0ES3_N6thrust23THRUST_200600_302600_NS16reverse_iteratorIPKiEESD_NSA_IPiEEiN6hipcub16HIPCUB_304000_NS3MaxENSH_8EqualityEiEE10hipError_tPvRmT2_T3_T4_T5_mT6_T7_P12ihipStream_tbENKUlT_T0_E_clISt17integral_constantIbLb1EES10_EEDaSV_SW_EUlSV_E_NS1_11comp_targetILNS1_3genE2ELNS1_11target_archE906ELNS1_3gpuE6ELNS1_3repE0EEENS1_30default_config_static_selectorELNS0_4arch9wavefront6targetE1EEEvT1_
; %bb.0:
	.section	.rodata,"a",@progbits
	.p2align	6, 0x0
	.amdhsa_kernel _ZN7rocprim17ROCPRIM_400000_NS6detail17trampoline_kernelINS0_14default_configENS1_27scan_by_key_config_selectorIiiEEZZNS1_16scan_by_key_implILNS1_25lookback_scan_determinismE0ELb0ES3_N6thrust23THRUST_200600_302600_NS16reverse_iteratorIPKiEESD_NSA_IPiEEiN6hipcub16HIPCUB_304000_NS3MaxENSH_8EqualityEiEE10hipError_tPvRmT2_T3_T4_T5_mT6_T7_P12ihipStream_tbENKUlT_T0_E_clISt17integral_constantIbLb1EES10_EEDaSV_SW_EUlSV_E_NS1_11comp_targetILNS1_3genE2ELNS1_11target_archE906ELNS1_3gpuE6ELNS1_3repE0EEENS1_30default_config_static_selectorELNS0_4arch9wavefront6targetE1EEEvT1_
		.amdhsa_group_segment_fixed_size 0
		.amdhsa_private_segment_fixed_size 0
		.amdhsa_kernarg_size 112
		.amdhsa_user_sgpr_count 2
		.amdhsa_user_sgpr_dispatch_ptr 0
		.amdhsa_user_sgpr_queue_ptr 0
		.amdhsa_user_sgpr_kernarg_segment_ptr 1
		.amdhsa_user_sgpr_dispatch_id 0
		.amdhsa_user_sgpr_kernarg_preload_length 0
		.amdhsa_user_sgpr_kernarg_preload_offset 0
		.amdhsa_user_sgpr_private_segment_size 0
		.amdhsa_uses_dynamic_stack 0
		.amdhsa_enable_private_segment 0
		.amdhsa_system_sgpr_workgroup_id_x 1
		.amdhsa_system_sgpr_workgroup_id_y 0
		.amdhsa_system_sgpr_workgroup_id_z 0
		.amdhsa_system_sgpr_workgroup_info 0
		.amdhsa_system_vgpr_workitem_id 0
		.amdhsa_next_free_vgpr 1
		.amdhsa_next_free_sgpr 0
		.amdhsa_accum_offset 4
		.amdhsa_reserve_vcc 0
		.amdhsa_float_round_mode_32 0
		.amdhsa_float_round_mode_16_64 0
		.amdhsa_float_denorm_mode_32 3
		.amdhsa_float_denorm_mode_16_64 3
		.amdhsa_dx10_clamp 1
		.amdhsa_ieee_mode 1
		.amdhsa_fp16_overflow 0
		.amdhsa_tg_split 0
		.amdhsa_exception_fp_ieee_invalid_op 0
		.amdhsa_exception_fp_denorm_src 0
		.amdhsa_exception_fp_ieee_div_zero 0
		.amdhsa_exception_fp_ieee_overflow 0
		.amdhsa_exception_fp_ieee_underflow 0
		.amdhsa_exception_fp_ieee_inexact 0
		.amdhsa_exception_int_div_zero 0
	.end_amdhsa_kernel
	.section	.text._ZN7rocprim17ROCPRIM_400000_NS6detail17trampoline_kernelINS0_14default_configENS1_27scan_by_key_config_selectorIiiEEZZNS1_16scan_by_key_implILNS1_25lookback_scan_determinismE0ELb0ES3_N6thrust23THRUST_200600_302600_NS16reverse_iteratorIPKiEESD_NSA_IPiEEiN6hipcub16HIPCUB_304000_NS3MaxENSH_8EqualityEiEE10hipError_tPvRmT2_T3_T4_T5_mT6_T7_P12ihipStream_tbENKUlT_T0_E_clISt17integral_constantIbLb1EES10_EEDaSV_SW_EUlSV_E_NS1_11comp_targetILNS1_3genE2ELNS1_11target_archE906ELNS1_3gpuE6ELNS1_3repE0EEENS1_30default_config_static_selectorELNS0_4arch9wavefront6targetE1EEEvT1_,"axG",@progbits,_ZN7rocprim17ROCPRIM_400000_NS6detail17trampoline_kernelINS0_14default_configENS1_27scan_by_key_config_selectorIiiEEZZNS1_16scan_by_key_implILNS1_25lookback_scan_determinismE0ELb0ES3_N6thrust23THRUST_200600_302600_NS16reverse_iteratorIPKiEESD_NSA_IPiEEiN6hipcub16HIPCUB_304000_NS3MaxENSH_8EqualityEiEE10hipError_tPvRmT2_T3_T4_T5_mT6_T7_P12ihipStream_tbENKUlT_T0_E_clISt17integral_constantIbLb1EES10_EEDaSV_SW_EUlSV_E_NS1_11comp_targetILNS1_3genE2ELNS1_11target_archE906ELNS1_3gpuE6ELNS1_3repE0EEENS1_30default_config_static_selectorELNS0_4arch9wavefront6targetE1EEEvT1_,comdat
.Lfunc_end68:
	.size	_ZN7rocprim17ROCPRIM_400000_NS6detail17trampoline_kernelINS0_14default_configENS1_27scan_by_key_config_selectorIiiEEZZNS1_16scan_by_key_implILNS1_25lookback_scan_determinismE0ELb0ES3_N6thrust23THRUST_200600_302600_NS16reverse_iteratorIPKiEESD_NSA_IPiEEiN6hipcub16HIPCUB_304000_NS3MaxENSH_8EqualityEiEE10hipError_tPvRmT2_T3_T4_T5_mT6_T7_P12ihipStream_tbENKUlT_T0_E_clISt17integral_constantIbLb1EES10_EEDaSV_SW_EUlSV_E_NS1_11comp_targetILNS1_3genE2ELNS1_11target_archE906ELNS1_3gpuE6ELNS1_3repE0EEENS1_30default_config_static_selectorELNS0_4arch9wavefront6targetE1EEEvT1_, .Lfunc_end68-_ZN7rocprim17ROCPRIM_400000_NS6detail17trampoline_kernelINS0_14default_configENS1_27scan_by_key_config_selectorIiiEEZZNS1_16scan_by_key_implILNS1_25lookback_scan_determinismE0ELb0ES3_N6thrust23THRUST_200600_302600_NS16reverse_iteratorIPKiEESD_NSA_IPiEEiN6hipcub16HIPCUB_304000_NS3MaxENSH_8EqualityEiEE10hipError_tPvRmT2_T3_T4_T5_mT6_T7_P12ihipStream_tbENKUlT_T0_E_clISt17integral_constantIbLb1EES10_EEDaSV_SW_EUlSV_E_NS1_11comp_targetILNS1_3genE2ELNS1_11target_archE906ELNS1_3gpuE6ELNS1_3repE0EEENS1_30default_config_static_selectorELNS0_4arch9wavefront6targetE1EEEvT1_
                                        ; -- End function
	.section	.AMDGPU.csdata,"",@progbits
; Kernel info:
; codeLenInByte = 0
; NumSgprs: 6
; NumVgprs: 0
; NumAgprs: 0
; TotalNumVgprs: 0
; ScratchSize: 0
; MemoryBound: 0
; FloatMode: 240
; IeeeMode: 1
; LDSByteSize: 0 bytes/workgroup (compile time only)
; SGPRBlocks: 0
; VGPRBlocks: 0
; NumSGPRsForWavesPerEU: 6
; NumVGPRsForWavesPerEU: 1
; AccumOffset: 4
; Occupancy: 8
; WaveLimiterHint : 0
; COMPUTE_PGM_RSRC2:SCRATCH_EN: 0
; COMPUTE_PGM_RSRC2:USER_SGPR: 2
; COMPUTE_PGM_RSRC2:TRAP_HANDLER: 0
; COMPUTE_PGM_RSRC2:TGID_X_EN: 1
; COMPUTE_PGM_RSRC2:TGID_Y_EN: 0
; COMPUTE_PGM_RSRC2:TGID_Z_EN: 0
; COMPUTE_PGM_RSRC2:TIDIG_COMP_CNT: 0
; COMPUTE_PGM_RSRC3_GFX90A:ACCUM_OFFSET: 0
; COMPUTE_PGM_RSRC3_GFX90A:TG_SPLIT: 0
	.section	.text._ZN7rocprim17ROCPRIM_400000_NS6detail17trampoline_kernelINS0_14default_configENS1_27scan_by_key_config_selectorIiiEEZZNS1_16scan_by_key_implILNS1_25lookback_scan_determinismE0ELb0ES3_N6thrust23THRUST_200600_302600_NS16reverse_iteratorIPKiEESD_NSA_IPiEEiN6hipcub16HIPCUB_304000_NS3MaxENSH_8EqualityEiEE10hipError_tPvRmT2_T3_T4_T5_mT6_T7_P12ihipStream_tbENKUlT_T0_E_clISt17integral_constantIbLb1EES10_EEDaSV_SW_EUlSV_E_NS1_11comp_targetILNS1_3genE10ELNS1_11target_archE1200ELNS1_3gpuE4ELNS1_3repE0EEENS1_30default_config_static_selectorELNS0_4arch9wavefront6targetE1EEEvT1_,"axG",@progbits,_ZN7rocprim17ROCPRIM_400000_NS6detail17trampoline_kernelINS0_14default_configENS1_27scan_by_key_config_selectorIiiEEZZNS1_16scan_by_key_implILNS1_25lookback_scan_determinismE0ELb0ES3_N6thrust23THRUST_200600_302600_NS16reverse_iteratorIPKiEESD_NSA_IPiEEiN6hipcub16HIPCUB_304000_NS3MaxENSH_8EqualityEiEE10hipError_tPvRmT2_T3_T4_T5_mT6_T7_P12ihipStream_tbENKUlT_T0_E_clISt17integral_constantIbLb1EES10_EEDaSV_SW_EUlSV_E_NS1_11comp_targetILNS1_3genE10ELNS1_11target_archE1200ELNS1_3gpuE4ELNS1_3repE0EEENS1_30default_config_static_selectorELNS0_4arch9wavefront6targetE1EEEvT1_,comdat
	.protected	_ZN7rocprim17ROCPRIM_400000_NS6detail17trampoline_kernelINS0_14default_configENS1_27scan_by_key_config_selectorIiiEEZZNS1_16scan_by_key_implILNS1_25lookback_scan_determinismE0ELb0ES3_N6thrust23THRUST_200600_302600_NS16reverse_iteratorIPKiEESD_NSA_IPiEEiN6hipcub16HIPCUB_304000_NS3MaxENSH_8EqualityEiEE10hipError_tPvRmT2_T3_T4_T5_mT6_T7_P12ihipStream_tbENKUlT_T0_E_clISt17integral_constantIbLb1EES10_EEDaSV_SW_EUlSV_E_NS1_11comp_targetILNS1_3genE10ELNS1_11target_archE1200ELNS1_3gpuE4ELNS1_3repE0EEENS1_30default_config_static_selectorELNS0_4arch9wavefront6targetE1EEEvT1_ ; -- Begin function _ZN7rocprim17ROCPRIM_400000_NS6detail17trampoline_kernelINS0_14default_configENS1_27scan_by_key_config_selectorIiiEEZZNS1_16scan_by_key_implILNS1_25lookback_scan_determinismE0ELb0ES3_N6thrust23THRUST_200600_302600_NS16reverse_iteratorIPKiEESD_NSA_IPiEEiN6hipcub16HIPCUB_304000_NS3MaxENSH_8EqualityEiEE10hipError_tPvRmT2_T3_T4_T5_mT6_T7_P12ihipStream_tbENKUlT_T0_E_clISt17integral_constantIbLb1EES10_EEDaSV_SW_EUlSV_E_NS1_11comp_targetILNS1_3genE10ELNS1_11target_archE1200ELNS1_3gpuE4ELNS1_3repE0EEENS1_30default_config_static_selectorELNS0_4arch9wavefront6targetE1EEEvT1_
	.globl	_ZN7rocprim17ROCPRIM_400000_NS6detail17trampoline_kernelINS0_14default_configENS1_27scan_by_key_config_selectorIiiEEZZNS1_16scan_by_key_implILNS1_25lookback_scan_determinismE0ELb0ES3_N6thrust23THRUST_200600_302600_NS16reverse_iteratorIPKiEESD_NSA_IPiEEiN6hipcub16HIPCUB_304000_NS3MaxENSH_8EqualityEiEE10hipError_tPvRmT2_T3_T4_T5_mT6_T7_P12ihipStream_tbENKUlT_T0_E_clISt17integral_constantIbLb1EES10_EEDaSV_SW_EUlSV_E_NS1_11comp_targetILNS1_3genE10ELNS1_11target_archE1200ELNS1_3gpuE4ELNS1_3repE0EEENS1_30default_config_static_selectorELNS0_4arch9wavefront6targetE1EEEvT1_
	.p2align	8
	.type	_ZN7rocprim17ROCPRIM_400000_NS6detail17trampoline_kernelINS0_14default_configENS1_27scan_by_key_config_selectorIiiEEZZNS1_16scan_by_key_implILNS1_25lookback_scan_determinismE0ELb0ES3_N6thrust23THRUST_200600_302600_NS16reverse_iteratorIPKiEESD_NSA_IPiEEiN6hipcub16HIPCUB_304000_NS3MaxENSH_8EqualityEiEE10hipError_tPvRmT2_T3_T4_T5_mT6_T7_P12ihipStream_tbENKUlT_T0_E_clISt17integral_constantIbLb1EES10_EEDaSV_SW_EUlSV_E_NS1_11comp_targetILNS1_3genE10ELNS1_11target_archE1200ELNS1_3gpuE4ELNS1_3repE0EEENS1_30default_config_static_selectorELNS0_4arch9wavefront6targetE1EEEvT1_,@function
_ZN7rocprim17ROCPRIM_400000_NS6detail17trampoline_kernelINS0_14default_configENS1_27scan_by_key_config_selectorIiiEEZZNS1_16scan_by_key_implILNS1_25lookback_scan_determinismE0ELb0ES3_N6thrust23THRUST_200600_302600_NS16reverse_iteratorIPKiEESD_NSA_IPiEEiN6hipcub16HIPCUB_304000_NS3MaxENSH_8EqualityEiEE10hipError_tPvRmT2_T3_T4_T5_mT6_T7_P12ihipStream_tbENKUlT_T0_E_clISt17integral_constantIbLb1EES10_EEDaSV_SW_EUlSV_E_NS1_11comp_targetILNS1_3genE10ELNS1_11target_archE1200ELNS1_3gpuE4ELNS1_3repE0EEENS1_30default_config_static_selectorELNS0_4arch9wavefront6targetE1EEEvT1_: ; @_ZN7rocprim17ROCPRIM_400000_NS6detail17trampoline_kernelINS0_14default_configENS1_27scan_by_key_config_selectorIiiEEZZNS1_16scan_by_key_implILNS1_25lookback_scan_determinismE0ELb0ES3_N6thrust23THRUST_200600_302600_NS16reverse_iteratorIPKiEESD_NSA_IPiEEiN6hipcub16HIPCUB_304000_NS3MaxENSH_8EqualityEiEE10hipError_tPvRmT2_T3_T4_T5_mT6_T7_P12ihipStream_tbENKUlT_T0_E_clISt17integral_constantIbLb1EES10_EEDaSV_SW_EUlSV_E_NS1_11comp_targetILNS1_3genE10ELNS1_11target_archE1200ELNS1_3gpuE4ELNS1_3repE0EEENS1_30default_config_static_selectorELNS0_4arch9wavefront6targetE1EEEvT1_
; %bb.0:
	.section	.rodata,"a",@progbits
	.p2align	6, 0x0
	.amdhsa_kernel _ZN7rocprim17ROCPRIM_400000_NS6detail17trampoline_kernelINS0_14default_configENS1_27scan_by_key_config_selectorIiiEEZZNS1_16scan_by_key_implILNS1_25lookback_scan_determinismE0ELb0ES3_N6thrust23THRUST_200600_302600_NS16reverse_iteratorIPKiEESD_NSA_IPiEEiN6hipcub16HIPCUB_304000_NS3MaxENSH_8EqualityEiEE10hipError_tPvRmT2_T3_T4_T5_mT6_T7_P12ihipStream_tbENKUlT_T0_E_clISt17integral_constantIbLb1EES10_EEDaSV_SW_EUlSV_E_NS1_11comp_targetILNS1_3genE10ELNS1_11target_archE1200ELNS1_3gpuE4ELNS1_3repE0EEENS1_30default_config_static_selectorELNS0_4arch9wavefront6targetE1EEEvT1_
		.amdhsa_group_segment_fixed_size 0
		.amdhsa_private_segment_fixed_size 0
		.amdhsa_kernarg_size 112
		.amdhsa_user_sgpr_count 2
		.amdhsa_user_sgpr_dispatch_ptr 0
		.amdhsa_user_sgpr_queue_ptr 0
		.amdhsa_user_sgpr_kernarg_segment_ptr 1
		.amdhsa_user_sgpr_dispatch_id 0
		.amdhsa_user_sgpr_kernarg_preload_length 0
		.amdhsa_user_sgpr_kernarg_preload_offset 0
		.amdhsa_user_sgpr_private_segment_size 0
		.amdhsa_uses_dynamic_stack 0
		.amdhsa_enable_private_segment 0
		.amdhsa_system_sgpr_workgroup_id_x 1
		.amdhsa_system_sgpr_workgroup_id_y 0
		.amdhsa_system_sgpr_workgroup_id_z 0
		.amdhsa_system_sgpr_workgroup_info 0
		.amdhsa_system_vgpr_workitem_id 0
		.amdhsa_next_free_vgpr 1
		.amdhsa_next_free_sgpr 0
		.amdhsa_accum_offset 4
		.amdhsa_reserve_vcc 0
		.amdhsa_float_round_mode_32 0
		.amdhsa_float_round_mode_16_64 0
		.amdhsa_float_denorm_mode_32 3
		.amdhsa_float_denorm_mode_16_64 3
		.amdhsa_dx10_clamp 1
		.amdhsa_ieee_mode 1
		.amdhsa_fp16_overflow 0
		.amdhsa_tg_split 0
		.amdhsa_exception_fp_ieee_invalid_op 0
		.amdhsa_exception_fp_denorm_src 0
		.amdhsa_exception_fp_ieee_div_zero 0
		.amdhsa_exception_fp_ieee_overflow 0
		.amdhsa_exception_fp_ieee_underflow 0
		.amdhsa_exception_fp_ieee_inexact 0
		.amdhsa_exception_int_div_zero 0
	.end_amdhsa_kernel
	.section	.text._ZN7rocprim17ROCPRIM_400000_NS6detail17trampoline_kernelINS0_14default_configENS1_27scan_by_key_config_selectorIiiEEZZNS1_16scan_by_key_implILNS1_25lookback_scan_determinismE0ELb0ES3_N6thrust23THRUST_200600_302600_NS16reverse_iteratorIPKiEESD_NSA_IPiEEiN6hipcub16HIPCUB_304000_NS3MaxENSH_8EqualityEiEE10hipError_tPvRmT2_T3_T4_T5_mT6_T7_P12ihipStream_tbENKUlT_T0_E_clISt17integral_constantIbLb1EES10_EEDaSV_SW_EUlSV_E_NS1_11comp_targetILNS1_3genE10ELNS1_11target_archE1200ELNS1_3gpuE4ELNS1_3repE0EEENS1_30default_config_static_selectorELNS0_4arch9wavefront6targetE1EEEvT1_,"axG",@progbits,_ZN7rocprim17ROCPRIM_400000_NS6detail17trampoline_kernelINS0_14default_configENS1_27scan_by_key_config_selectorIiiEEZZNS1_16scan_by_key_implILNS1_25lookback_scan_determinismE0ELb0ES3_N6thrust23THRUST_200600_302600_NS16reverse_iteratorIPKiEESD_NSA_IPiEEiN6hipcub16HIPCUB_304000_NS3MaxENSH_8EqualityEiEE10hipError_tPvRmT2_T3_T4_T5_mT6_T7_P12ihipStream_tbENKUlT_T0_E_clISt17integral_constantIbLb1EES10_EEDaSV_SW_EUlSV_E_NS1_11comp_targetILNS1_3genE10ELNS1_11target_archE1200ELNS1_3gpuE4ELNS1_3repE0EEENS1_30default_config_static_selectorELNS0_4arch9wavefront6targetE1EEEvT1_,comdat
.Lfunc_end69:
	.size	_ZN7rocprim17ROCPRIM_400000_NS6detail17trampoline_kernelINS0_14default_configENS1_27scan_by_key_config_selectorIiiEEZZNS1_16scan_by_key_implILNS1_25lookback_scan_determinismE0ELb0ES3_N6thrust23THRUST_200600_302600_NS16reverse_iteratorIPKiEESD_NSA_IPiEEiN6hipcub16HIPCUB_304000_NS3MaxENSH_8EqualityEiEE10hipError_tPvRmT2_T3_T4_T5_mT6_T7_P12ihipStream_tbENKUlT_T0_E_clISt17integral_constantIbLb1EES10_EEDaSV_SW_EUlSV_E_NS1_11comp_targetILNS1_3genE10ELNS1_11target_archE1200ELNS1_3gpuE4ELNS1_3repE0EEENS1_30default_config_static_selectorELNS0_4arch9wavefront6targetE1EEEvT1_, .Lfunc_end69-_ZN7rocprim17ROCPRIM_400000_NS6detail17trampoline_kernelINS0_14default_configENS1_27scan_by_key_config_selectorIiiEEZZNS1_16scan_by_key_implILNS1_25lookback_scan_determinismE0ELb0ES3_N6thrust23THRUST_200600_302600_NS16reverse_iteratorIPKiEESD_NSA_IPiEEiN6hipcub16HIPCUB_304000_NS3MaxENSH_8EqualityEiEE10hipError_tPvRmT2_T3_T4_T5_mT6_T7_P12ihipStream_tbENKUlT_T0_E_clISt17integral_constantIbLb1EES10_EEDaSV_SW_EUlSV_E_NS1_11comp_targetILNS1_3genE10ELNS1_11target_archE1200ELNS1_3gpuE4ELNS1_3repE0EEENS1_30default_config_static_selectorELNS0_4arch9wavefront6targetE1EEEvT1_
                                        ; -- End function
	.section	.AMDGPU.csdata,"",@progbits
; Kernel info:
; codeLenInByte = 0
; NumSgprs: 6
; NumVgprs: 0
; NumAgprs: 0
; TotalNumVgprs: 0
; ScratchSize: 0
; MemoryBound: 0
; FloatMode: 240
; IeeeMode: 1
; LDSByteSize: 0 bytes/workgroup (compile time only)
; SGPRBlocks: 0
; VGPRBlocks: 0
; NumSGPRsForWavesPerEU: 6
; NumVGPRsForWavesPerEU: 1
; AccumOffset: 4
; Occupancy: 8
; WaveLimiterHint : 0
; COMPUTE_PGM_RSRC2:SCRATCH_EN: 0
; COMPUTE_PGM_RSRC2:USER_SGPR: 2
; COMPUTE_PGM_RSRC2:TRAP_HANDLER: 0
; COMPUTE_PGM_RSRC2:TGID_X_EN: 1
; COMPUTE_PGM_RSRC2:TGID_Y_EN: 0
; COMPUTE_PGM_RSRC2:TGID_Z_EN: 0
; COMPUTE_PGM_RSRC2:TIDIG_COMP_CNT: 0
; COMPUTE_PGM_RSRC3_GFX90A:ACCUM_OFFSET: 0
; COMPUTE_PGM_RSRC3_GFX90A:TG_SPLIT: 0
	.section	.text._ZN7rocprim17ROCPRIM_400000_NS6detail17trampoline_kernelINS0_14default_configENS1_27scan_by_key_config_selectorIiiEEZZNS1_16scan_by_key_implILNS1_25lookback_scan_determinismE0ELb0ES3_N6thrust23THRUST_200600_302600_NS16reverse_iteratorIPKiEESD_NSA_IPiEEiN6hipcub16HIPCUB_304000_NS3MaxENSH_8EqualityEiEE10hipError_tPvRmT2_T3_T4_T5_mT6_T7_P12ihipStream_tbENKUlT_T0_E_clISt17integral_constantIbLb1EES10_EEDaSV_SW_EUlSV_E_NS1_11comp_targetILNS1_3genE9ELNS1_11target_archE1100ELNS1_3gpuE3ELNS1_3repE0EEENS1_30default_config_static_selectorELNS0_4arch9wavefront6targetE1EEEvT1_,"axG",@progbits,_ZN7rocprim17ROCPRIM_400000_NS6detail17trampoline_kernelINS0_14default_configENS1_27scan_by_key_config_selectorIiiEEZZNS1_16scan_by_key_implILNS1_25lookback_scan_determinismE0ELb0ES3_N6thrust23THRUST_200600_302600_NS16reverse_iteratorIPKiEESD_NSA_IPiEEiN6hipcub16HIPCUB_304000_NS3MaxENSH_8EqualityEiEE10hipError_tPvRmT2_T3_T4_T5_mT6_T7_P12ihipStream_tbENKUlT_T0_E_clISt17integral_constantIbLb1EES10_EEDaSV_SW_EUlSV_E_NS1_11comp_targetILNS1_3genE9ELNS1_11target_archE1100ELNS1_3gpuE3ELNS1_3repE0EEENS1_30default_config_static_selectorELNS0_4arch9wavefront6targetE1EEEvT1_,comdat
	.protected	_ZN7rocprim17ROCPRIM_400000_NS6detail17trampoline_kernelINS0_14default_configENS1_27scan_by_key_config_selectorIiiEEZZNS1_16scan_by_key_implILNS1_25lookback_scan_determinismE0ELb0ES3_N6thrust23THRUST_200600_302600_NS16reverse_iteratorIPKiEESD_NSA_IPiEEiN6hipcub16HIPCUB_304000_NS3MaxENSH_8EqualityEiEE10hipError_tPvRmT2_T3_T4_T5_mT6_T7_P12ihipStream_tbENKUlT_T0_E_clISt17integral_constantIbLb1EES10_EEDaSV_SW_EUlSV_E_NS1_11comp_targetILNS1_3genE9ELNS1_11target_archE1100ELNS1_3gpuE3ELNS1_3repE0EEENS1_30default_config_static_selectorELNS0_4arch9wavefront6targetE1EEEvT1_ ; -- Begin function _ZN7rocprim17ROCPRIM_400000_NS6detail17trampoline_kernelINS0_14default_configENS1_27scan_by_key_config_selectorIiiEEZZNS1_16scan_by_key_implILNS1_25lookback_scan_determinismE0ELb0ES3_N6thrust23THRUST_200600_302600_NS16reverse_iteratorIPKiEESD_NSA_IPiEEiN6hipcub16HIPCUB_304000_NS3MaxENSH_8EqualityEiEE10hipError_tPvRmT2_T3_T4_T5_mT6_T7_P12ihipStream_tbENKUlT_T0_E_clISt17integral_constantIbLb1EES10_EEDaSV_SW_EUlSV_E_NS1_11comp_targetILNS1_3genE9ELNS1_11target_archE1100ELNS1_3gpuE3ELNS1_3repE0EEENS1_30default_config_static_selectorELNS0_4arch9wavefront6targetE1EEEvT1_
	.globl	_ZN7rocprim17ROCPRIM_400000_NS6detail17trampoline_kernelINS0_14default_configENS1_27scan_by_key_config_selectorIiiEEZZNS1_16scan_by_key_implILNS1_25lookback_scan_determinismE0ELb0ES3_N6thrust23THRUST_200600_302600_NS16reverse_iteratorIPKiEESD_NSA_IPiEEiN6hipcub16HIPCUB_304000_NS3MaxENSH_8EqualityEiEE10hipError_tPvRmT2_T3_T4_T5_mT6_T7_P12ihipStream_tbENKUlT_T0_E_clISt17integral_constantIbLb1EES10_EEDaSV_SW_EUlSV_E_NS1_11comp_targetILNS1_3genE9ELNS1_11target_archE1100ELNS1_3gpuE3ELNS1_3repE0EEENS1_30default_config_static_selectorELNS0_4arch9wavefront6targetE1EEEvT1_
	.p2align	8
	.type	_ZN7rocprim17ROCPRIM_400000_NS6detail17trampoline_kernelINS0_14default_configENS1_27scan_by_key_config_selectorIiiEEZZNS1_16scan_by_key_implILNS1_25lookback_scan_determinismE0ELb0ES3_N6thrust23THRUST_200600_302600_NS16reverse_iteratorIPKiEESD_NSA_IPiEEiN6hipcub16HIPCUB_304000_NS3MaxENSH_8EqualityEiEE10hipError_tPvRmT2_T3_T4_T5_mT6_T7_P12ihipStream_tbENKUlT_T0_E_clISt17integral_constantIbLb1EES10_EEDaSV_SW_EUlSV_E_NS1_11comp_targetILNS1_3genE9ELNS1_11target_archE1100ELNS1_3gpuE3ELNS1_3repE0EEENS1_30default_config_static_selectorELNS0_4arch9wavefront6targetE1EEEvT1_,@function
_ZN7rocprim17ROCPRIM_400000_NS6detail17trampoline_kernelINS0_14default_configENS1_27scan_by_key_config_selectorIiiEEZZNS1_16scan_by_key_implILNS1_25lookback_scan_determinismE0ELb0ES3_N6thrust23THRUST_200600_302600_NS16reverse_iteratorIPKiEESD_NSA_IPiEEiN6hipcub16HIPCUB_304000_NS3MaxENSH_8EqualityEiEE10hipError_tPvRmT2_T3_T4_T5_mT6_T7_P12ihipStream_tbENKUlT_T0_E_clISt17integral_constantIbLb1EES10_EEDaSV_SW_EUlSV_E_NS1_11comp_targetILNS1_3genE9ELNS1_11target_archE1100ELNS1_3gpuE3ELNS1_3repE0EEENS1_30default_config_static_selectorELNS0_4arch9wavefront6targetE1EEEvT1_: ; @_ZN7rocprim17ROCPRIM_400000_NS6detail17trampoline_kernelINS0_14default_configENS1_27scan_by_key_config_selectorIiiEEZZNS1_16scan_by_key_implILNS1_25lookback_scan_determinismE0ELb0ES3_N6thrust23THRUST_200600_302600_NS16reverse_iteratorIPKiEESD_NSA_IPiEEiN6hipcub16HIPCUB_304000_NS3MaxENSH_8EqualityEiEE10hipError_tPvRmT2_T3_T4_T5_mT6_T7_P12ihipStream_tbENKUlT_T0_E_clISt17integral_constantIbLb1EES10_EEDaSV_SW_EUlSV_E_NS1_11comp_targetILNS1_3genE9ELNS1_11target_archE1100ELNS1_3gpuE3ELNS1_3repE0EEENS1_30default_config_static_selectorELNS0_4arch9wavefront6targetE1EEEvT1_
; %bb.0:
	.section	.rodata,"a",@progbits
	.p2align	6, 0x0
	.amdhsa_kernel _ZN7rocprim17ROCPRIM_400000_NS6detail17trampoline_kernelINS0_14default_configENS1_27scan_by_key_config_selectorIiiEEZZNS1_16scan_by_key_implILNS1_25lookback_scan_determinismE0ELb0ES3_N6thrust23THRUST_200600_302600_NS16reverse_iteratorIPKiEESD_NSA_IPiEEiN6hipcub16HIPCUB_304000_NS3MaxENSH_8EqualityEiEE10hipError_tPvRmT2_T3_T4_T5_mT6_T7_P12ihipStream_tbENKUlT_T0_E_clISt17integral_constantIbLb1EES10_EEDaSV_SW_EUlSV_E_NS1_11comp_targetILNS1_3genE9ELNS1_11target_archE1100ELNS1_3gpuE3ELNS1_3repE0EEENS1_30default_config_static_selectorELNS0_4arch9wavefront6targetE1EEEvT1_
		.amdhsa_group_segment_fixed_size 0
		.amdhsa_private_segment_fixed_size 0
		.amdhsa_kernarg_size 112
		.amdhsa_user_sgpr_count 2
		.amdhsa_user_sgpr_dispatch_ptr 0
		.amdhsa_user_sgpr_queue_ptr 0
		.amdhsa_user_sgpr_kernarg_segment_ptr 1
		.amdhsa_user_sgpr_dispatch_id 0
		.amdhsa_user_sgpr_kernarg_preload_length 0
		.amdhsa_user_sgpr_kernarg_preload_offset 0
		.amdhsa_user_sgpr_private_segment_size 0
		.amdhsa_uses_dynamic_stack 0
		.amdhsa_enable_private_segment 0
		.amdhsa_system_sgpr_workgroup_id_x 1
		.amdhsa_system_sgpr_workgroup_id_y 0
		.amdhsa_system_sgpr_workgroup_id_z 0
		.amdhsa_system_sgpr_workgroup_info 0
		.amdhsa_system_vgpr_workitem_id 0
		.amdhsa_next_free_vgpr 1
		.amdhsa_next_free_sgpr 0
		.amdhsa_accum_offset 4
		.amdhsa_reserve_vcc 0
		.amdhsa_float_round_mode_32 0
		.amdhsa_float_round_mode_16_64 0
		.amdhsa_float_denorm_mode_32 3
		.amdhsa_float_denorm_mode_16_64 3
		.amdhsa_dx10_clamp 1
		.amdhsa_ieee_mode 1
		.amdhsa_fp16_overflow 0
		.amdhsa_tg_split 0
		.amdhsa_exception_fp_ieee_invalid_op 0
		.amdhsa_exception_fp_denorm_src 0
		.amdhsa_exception_fp_ieee_div_zero 0
		.amdhsa_exception_fp_ieee_overflow 0
		.amdhsa_exception_fp_ieee_underflow 0
		.amdhsa_exception_fp_ieee_inexact 0
		.amdhsa_exception_int_div_zero 0
	.end_amdhsa_kernel
	.section	.text._ZN7rocprim17ROCPRIM_400000_NS6detail17trampoline_kernelINS0_14default_configENS1_27scan_by_key_config_selectorIiiEEZZNS1_16scan_by_key_implILNS1_25lookback_scan_determinismE0ELb0ES3_N6thrust23THRUST_200600_302600_NS16reverse_iteratorIPKiEESD_NSA_IPiEEiN6hipcub16HIPCUB_304000_NS3MaxENSH_8EqualityEiEE10hipError_tPvRmT2_T3_T4_T5_mT6_T7_P12ihipStream_tbENKUlT_T0_E_clISt17integral_constantIbLb1EES10_EEDaSV_SW_EUlSV_E_NS1_11comp_targetILNS1_3genE9ELNS1_11target_archE1100ELNS1_3gpuE3ELNS1_3repE0EEENS1_30default_config_static_selectorELNS0_4arch9wavefront6targetE1EEEvT1_,"axG",@progbits,_ZN7rocprim17ROCPRIM_400000_NS6detail17trampoline_kernelINS0_14default_configENS1_27scan_by_key_config_selectorIiiEEZZNS1_16scan_by_key_implILNS1_25lookback_scan_determinismE0ELb0ES3_N6thrust23THRUST_200600_302600_NS16reverse_iteratorIPKiEESD_NSA_IPiEEiN6hipcub16HIPCUB_304000_NS3MaxENSH_8EqualityEiEE10hipError_tPvRmT2_T3_T4_T5_mT6_T7_P12ihipStream_tbENKUlT_T0_E_clISt17integral_constantIbLb1EES10_EEDaSV_SW_EUlSV_E_NS1_11comp_targetILNS1_3genE9ELNS1_11target_archE1100ELNS1_3gpuE3ELNS1_3repE0EEENS1_30default_config_static_selectorELNS0_4arch9wavefront6targetE1EEEvT1_,comdat
.Lfunc_end70:
	.size	_ZN7rocprim17ROCPRIM_400000_NS6detail17trampoline_kernelINS0_14default_configENS1_27scan_by_key_config_selectorIiiEEZZNS1_16scan_by_key_implILNS1_25lookback_scan_determinismE0ELb0ES3_N6thrust23THRUST_200600_302600_NS16reverse_iteratorIPKiEESD_NSA_IPiEEiN6hipcub16HIPCUB_304000_NS3MaxENSH_8EqualityEiEE10hipError_tPvRmT2_T3_T4_T5_mT6_T7_P12ihipStream_tbENKUlT_T0_E_clISt17integral_constantIbLb1EES10_EEDaSV_SW_EUlSV_E_NS1_11comp_targetILNS1_3genE9ELNS1_11target_archE1100ELNS1_3gpuE3ELNS1_3repE0EEENS1_30default_config_static_selectorELNS0_4arch9wavefront6targetE1EEEvT1_, .Lfunc_end70-_ZN7rocprim17ROCPRIM_400000_NS6detail17trampoline_kernelINS0_14default_configENS1_27scan_by_key_config_selectorIiiEEZZNS1_16scan_by_key_implILNS1_25lookback_scan_determinismE0ELb0ES3_N6thrust23THRUST_200600_302600_NS16reverse_iteratorIPKiEESD_NSA_IPiEEiN6hipcub16HIPCUB_304000_NS3MaxENSH_8EqualityEiEE10hipError_tPvRmT2_T3_T4_T5_mT6_T7_P12ihipStream_tbENKUlT_T0_E_clISt17integral_constantIbLb1EES10_EEDaSV_SW_EUlSV_E_NS1_11comp_targetILNS1_3genE9ELNS1_11target_archE1100ELNS1_3gpuE3ELNS1_3repE0EEENS1_30default_config_static_selectorELNS0_4arch9wavefront6targetE1EEEvT1_
                                        ; -- End function
	.section	.AMDGPU.csdata,"",@progbits
; Kernel info:
; codeLenInByte = 0
; NumSgprs: 6
; NumVgprs: 0
; NumAgprs: 0
; TotalNumVgprs: 0
; ScratchSize: 0
; MemoryBound: 0
; FloatMode: 240
; IeeeMode: 1
; LDSByteSize: 0 bytes/workgroup (compile time only)
; SGPRBlocks: 0
; VGPRBlocks: 0
; NumSGPRsForWavesPerEU: 6
; NumVGPRsForWavesPerEU: 1
; AccumOffset: 4
; Occupancy: 8
; WaveLimiterHint : 0
; COMPUTE_PGM_RSRC2:SCRATCH_EN: 0
; COMPUTE_PGM_RSRC2:USER_SGPR: 2
; COMPUTE_PGM_RSRC2:TRAP_HANDLER: 0
; COMPUTE_PGM_RSRC2:TGID_X_EN: 1
; COMPUTE_PGM_RSRC2:TGID_Y_EN: 0
; COMPUTE_PGM_RSRC2:TGID_Z_EN: 0
; COMPUTE_PGM_RSRC2:TIDIG_COMP_CNT: 0
; COMPUTE_PGM_RSRC3_GFX90A:ACCUM_OFFSET: 0
; COMPUTE_PGM_RSRC3_GFX90A:TG_SPLIT: 0
	.section	.text._ZN7rocprim17ROCPRIM_400000_NS6detail17trampoline_kernelINS0_14default_configENS1_27scan_by_key_config_selectorIiiEEZZNS1_16scan_by_key_implILNS1_25lookback_scan_determinismE0ELb0ES3_N6thrust23THRUST_200600_302600_NS16reverse_iteratorIPKiEESD_NSA_IPiEEiN6hipcub16HIPCUB_304000_NS3MaxENSH_8EqualityEiEE10hipError_tPvRmT2_T3_T4_T5_mT6_T7_P12ihipStream_tbENKUlT_T0_E_clISt17integral_constantIbLb1EES10_EEDaSV_SW_EUlSV_E_NS1_11comp_targetILNS1_3genE8ELNS1_11target_archE1030ELNS1_3gpuE2ELNS1_3repE0EEENS1_30default_config_static_selectorELNS0_4arch9wavefront6targetE1EEEvT1_,"axG",@progbits,_ZN7rocprim17ROCPRIM_400000_NS6detail17trampoline_kernelINS0_14default_configENS1_27scan_by_key_config_selectorIiiEEZZNS1_16scan_by_key_implILNS1_25lookback_scan_determinismE0ELb0ES3_N6thrust23THRUST_200600_302600_NS16reverse_iteratorIPKiEESD_NSA_IPiEEiN6hipcub16HIPCUB_304000_NS3MaxENSH_8EqualityEiEE10hipError_tPvRmT2_T3_T4_T5_mT6_T7_P12ihipStream_tbENKUlT_T0_E_clISt17integral_constantIbLb1EES10_EEDaSV_SW_EUlSV_E_NS1_11comp_targetILNS1_3genE8ELNS1_11target_archE1030ELNS1_3gpuE2ELNS1_3repE0EEENS1_30default_config_static_selectorELNS0_4arch9wavefront6targetE1EEEvT1_,comdat
	.protected	_ZN7rocprim17ROCPRIM_400000_NS6detail17trampoline_kernelINS0_14default_configENS1_27scan_by_key_config_selectorIiiEEZZNS1_16scan_by_key_implILNS1_25lookback_scan_determinismE0ELb0ES3_N6thrust23THRUST_200600_302600_NS16reverse_iteratorIPKiEESD_NSA_IPiEEiN6hipcub16HIPCUB_304000_NS3MaxENSH_8EqualityEiEE10hipError_tPvRmT2_T3_T4_T5_mT6_T7_P12ihipStream_tbENKUlT_T0_E_clISt17integral_constantIbLb1EES10_EEDaSV_SW_EUlSV_E_NS1_11comp_targetILNS1_3genE8ELNS1_11target_archE1030ELNS1_3gpuE2ELNS1_3repE0EEENS1_30default_config_static_selectorELNS0_4arch9wavefront6targetE1EEEvT1_ ; -- Begin function _ZN7rocprim17ROCPRIM_400000_NS6detail17trampoline_kernelINS0_14default_configENS1_27scan_by_key_config_selectorIiiEEZZNS1_16scan_by_key_implILNS1_25lookback_scan_determinismE0ELb0ES3_N6thrust23THRUST_200600_302600_NS16reverse_iteratorIPKiEESD_NSA_IPiEEiN6hipcub16HIPCUB_304000_NS3MaxENSH_8EqualityEiEE10hipError_tPvRmT2_T3_T4_T5_mT6_T7_P12ihipStream_tbENKUlT_T0_E_clISt17integral_constantIbLb1EES10_EEDaSV_SW_EUlSV_E_NS1_11comp_targetILNS1_3genE8ELNS1_11target_archE1030ELNS1_3gpuE2ELNS1_3repE0EEENS1_30default_config_static_selectorELNS0_4arch9wavefront6targetE1EEEvT1_
	.globl	_ZN7rocprim17ROCPRIM_400000_NS6detail17trampoline_kernelINS0_14default_configENS1_27scan_by_key_config_selectorIiiEEZZNS1_16scan_by_key_implILNS1_25lookback_scan_determinismE0ELb0ES3_N6thrust23THRUST_200600_302600_NS16reverse_iteratorIPKiEESD_NSA_IPiEEiN6hipcub16HIPCUB_304000_NS3MaxENSH_8EqualityEiEE10hipError_tPvRmT2_T3_T4_T5_mT6_T7_P12ihipStream_tbENKUlT_T0_E_clISt17integral_constantIbLb1EES10_EEDaSV_SW_EUlSV_E_NS1_11comp_targetILNS1_3genE8ELNS1_11target_archE1030ELNS1_3gpuE2ELNS1_3repE0EEENS1_30default_config_static_selectorELNS0_4arch9wavefront6targetE1EEEvT1_
	.p2align	8
	.type	_ZN7rocprim17ROCPRIM_400000_NS6detail17trampoline_kernelINS0_14default_configENS1_27scan_by_key_config_selectorIiiEEZZNS1_16scan_by_key_implILNS1_25lookback_scan_determinismE0ELb0ES3_N6thrust23THRUST_200600_302600_NS16reverse_iteratorIPKiEESD_NSA_IPiEEiN6hipcub16HIPCUB_304000_NS3MaxENSH_8EqualityEiEE10hipError_tPvRmT2_T3_T4_T5_mT6_T7_P12ihipStream_tbENKUlT_T0_E_clISt17integral_constantIbLb1EES10_EEDaSV_SW_EUlSV_E_NS1_11comp_targetILNS1_3genE8ELNS1_11target_archE1030ELNS1_3gpuE2ELNS1_3repE0EEENS1_30default_config_static_selectorELNS0_4arch9wavefront6targetE1EEEvT1_,@function
_ZN7rocprim17ROCPRIM_400000_NS6detail17trampoline_kernelINS0_14default_configENS1_27scan_by_key_config_selectorIiiEEZZNS1_16scan_by_key_implILNS1_25lookback_scan_determinismE0ELb0ES3_N6thrust23THRUST_200600_302600_NS16reverse_iteratorIPKiEESD_NSA_IPiEEiN6hipcub16HIPCUB_304000_NS3MaxENSH_8EqualityEiEE10hipError_tPvRmT2_T3_T4_T5_mT6_T7_P12ihipStream_tbENKUlT_T0_E_clISt17integral_constantIbLb1EES10_EEDaSV_SW_EUlSV_E_NS1_11comp_targetILNS1_3genE8ELNS1_11target_archE1030ELNS1_3gpuE2ELNS1_3repE0EEENS1_30default_config_static_selectorELNS0_4arch9wavefront6targetE1EEEvT1_: ; @_ZN7rocprim17ROCPRIM_400000_NS6detail17trampoline_kernelINS0_14default_configENS1_27scan_by_key_config_selectorIiiEEZZNS1_16scan_by_key_implILNS1_25lookback_scan_determinismE0ELb0ES3_N6thrust23THRUST_200600_302600_NS16reverse_iteratorIPKiEESD_NSA_IPiEEiN6hipcub16HIPCUB_304000_NS3MaxENSH_8EqualityEiEE10hipError_tPvRmT2_T3_T4_T5_mT6_T7_P12ihipStream_tbENKUlT_T0_E_clISt17integral_constantIbLb1EES10_EEDaSV_SW_EUlSV_E_NS1_11comp_targetILNS1_3genE8ELNS1_11target_archE1030ELNS1_3gpuE2ELNS1_3repE0EEENS1_30default_config_static_selectorELNS0_4arch9wavefront6targetE1EEEvT1_
; %bb.0:
	.section	.rodata,"a",@progbits
	.p2align	6, 0x0
	.amdhsa_kernel _ZN7rocprim17ROCPRIM_400000_NS6detail17trampoline_kernelINS0_14default_configENS1_27scan_by_key_config_selectorIiiEEZZNS1_16scan_by_key_implILNS1_25lookback_scan_determinismE0ELb0ES3_N6thrust23THRUST_200600_302600_NS16reverse_iteratorIPKiEESD_NSA_IPiEEiN6hipcub16HIPCUB_304000_NS3MaxENSH_8EqualityEiEE10hipError_tPvRmT2_T3_T4_T5_mT6_T7_P12ihipStream_tbENKUlT_T0_E_clISt17integral_constantIbLb1EES10_EEDaSV_SW_EUlSV_E_NS1_11comp_targetILNS1_3genE8ELNS1_11target_archE1030ELNS1_3gpuE2ELNS1_3repE0EEENS1_30default_config_static_selectorELNS0_4arch9wavefront6targetE1EEEvT1_
		.amdhsa_group_segment_fixed_size 0
		.amdhsa_private_segment_fixed_size 0
		.amdhsa_kernarg_size 112
		.amdhsa_user_sgpr_count 2
		.amdhsa_user_sgpr_dispatch_ptr 0
		.amdhsa_user_sgpr_queue_ptr 0
		.amdhsa_user_sgpr_kernarg_segment_ptr 1
		.amdhsa_user_sgpr_dispatch_id 0
		.amdhsa_user_sgpr_kernarg_preload_length 0
		.amdhsa_user_sgpr_kernarg_preload_offset 0
		.amdhsa_user_sgpr_private_segment_size 0
		.amdhsa_uses_dynamic_stack 0
		.amdhsa_enable_private_segment 0
		.amdhsa_system_sgpr_workgroup_id_x 1
		.amdhsa_system_sgpr_workgroup_id_y 0
		.amdhsa_system_sgpr_workgroup_id_z 0
		.amdhsa_system_sgpr_workgroup_info 0
		.amdhsa_system_vgpr_workitem_id 0
		.amdhsa_next_free_vgpr 1
		.amdhsa_next_free_sgpr 0
		.amdhsa_accum_offset 4
		.amdhsa_reserve_vcc 0
		.amdhsa_float_round_mode_32 0
		.amdhsa_float_round_mode_16_64 0
		.amdhsa_float_denorm_mode_32 3
		.amdhsa_float_denorm_mode_16_64 3
		.amdhsa_dx10_clamp 1
		.amdhsa_ieee_mode 1
		.amdhsa_fp16_overflow 0
		.amdhsa_tg_split 0
		.amdhsa_exception_fp_ieee_invalid_op 0
		.amdhsa_exception_fp_denorm_src 0
		.amdhsa_exception_fp_ieee_div_zero 0
		.amdhsa_exception_fp_ieee_overflow 0
		.amdhsa_exception_fp_ieee_underflow 0
		.amdhsa_exception_fp_ieee_inexact 0
		.amdhsa_exception_int_div_zero 0
	.end_amdhsa_kernel
	.section	.text._ZN7rocprim17ROCPRIM_400000_NS6detail17trampoline_kernelINS0_14default_configENS1_27scan_by_key_config_selectorIiiEEZZNS1_16scan_by_key_implILNS1_25lookback_scan_determinismE0ELb0ES3_N6thrust23THRUST_200600_302600_NS16reverse_iteratorIPKiEESD_NSA_IPiEEiN6hipcub16HIPCUB_304000_NS3MaxENSH_8EqualityEiEE10hipError_tPvRmT2_T3_T4_T5_mT6_T7_P12ihipStream_tbENKUlT_T0_E_clISt17integral_constantIbLb1EES10_EEDaSV_SW_EUlSV_E_NS1_11comp_targetILNS1_3genE8ELNS1_11target_archE1030ELNS1_3gpuE2ELNS1_3repE0EEENS1_30default_config_static_selectorELNS0_4arch9wavefront6targetE1EEEvT1_,"axG",@progbits,_ZN7rocprim17ROCPRIM_400000_NS6detail17trampoline_kernelINS0_14default_configENS1_27scan_by_key_config_selectorIiiEEZZNS1_16scan_by_key_implILNS1_25lookback_scan_determinismE0ELb0ES3_N6thrust23THRUST_200600_302600_NS16reverse_iteratorIPKiEESD_NSA_IPiEEiN6hipcub16HIPCUB_304000_NS3MaxENSH_8EqualityEiEE10hipError_tPvRmT2_T3_T4_T5_mT6_T7_P12ihipStream_tbENKUlT_T0_E_clISt17integral_constantIbLb1EES10_EEDaSV_SW_EUlSV_E_NS1_11comp_targetILNS1_3genE8ELNS1_11target_archE1030ELNS1_3gpuE2ELNS1_3repE0EEENS1_30default_config_static_selectorELNS0_4arch9wavefront6targetE1EEEvT1_,comdat
.Lfunc_end71:
	.size	_ZN7rocprim17ROCPRIM_400000_NS6detail17trampoline_kernelINS0_14default_configENS1_27scan_by_key_config_selectorIiiEEZZNS1_16scan_by_key_implILNS1_25lookback_scan_determinismE0ELb0ES3_N6thrust23THRUST_200600_302600_NS16reverse_iteratorIPKiEESD_NSA_IPiEEiN6hipcub16HIPCUB_304000_NS3MaxENSH_8EqualityEiEE10hipError_tPvRmT2_T3_T4_T5_mT6_T7_P12ihipStream_tbENKUlT_T0_E_clISt17integral_constantIbLb1EES10_EEDaSV_SW_EUlSV_E_NS1_11comp_targetILNS1_3genE8ELNS1_11target_archE1030ELNS1_3gpuE2ELNS1_3repE0EEENS1_30default_config_static_selectorELNS0_4arch9wavefront6targetE1EEEvT1_, .Lfunc_end71-_ZN7rocprim17ROCPRIM_400000_NS6detail17trampoline_kernelINS0_14default_configENS1_27scan_by_key_config_selectorIiiEEZZNS1_16scan_by_key_implILNS1_25lookback_scan_determinismE0ELb0ES3_N6thrust23THRUST_200600_302600_NS16reverse_iteratorIPKiEESD_NSA_IPiEEiN6hipcub16HIPCUB_304000_NS3MaxENSH_8EqualityEiEE10hipError_tPvRmT2_T3_T4_T5_mT6_T7_P12ihipStream_tbENKUlT_T0_E_clISt17integral_constantIbLb1EES10_EEDaSV_SW_EUlSV_E_NS1_11comp_targetILNS1_3genE8ELNS1_11target_archE1030ELNS1_3gpuE2ELNS1_3repE0EEENS1_30default_config_static_selectorELNS0_4arch9wavefront6targetE1EEEvT1_
                                        ; -- End function
	.section	.AMDGPU.csdata,"",@progbits
; Kernel info:
; codeLenInByte = 0
; NumSgprs: 6
; NumVgprs: 0
; NumAgprs: 0
; TotalNumVgprs: 0
; ScratchSize: 0
; MemoryBound: 0
; FloatMode: 240
; IeeeMode: 1
; LDSByteSize: 0 bytes/workgroup (compile time only)
; SGPRBlocks: 0
; VGPRBlocks: 0
; NumSGPRsForWavesPerEU: 6
; NumVGPRsForWavesPerEU: 1
; AccumOffset: 4
; Occupancy: 8
; WaveLimiterHint : 0
; COMPUTE_PGM_RSRC2:SCRATCH_EN: 0
; COMPUTE_PGM_RSRC2:USER_SGPR: 2
; COMPUTE_PGM_RSRC2:TRAP_HANDLER: 0
; COMPUTE_PGM_RSRC2:TGID_X_EN: 1
; COMPUTE_PGM_RSRC2:TGID_Y_EN: 0
; COMPUTE_PGM_RSRC2:TGID_Z_EN: 0
; COMPUTE_PGM_RSRC2:TIDIG_COMP_CNT: 0
; COMPUTE_PGM_RSRC3_GFX90A:ACCUM_OFFSET: 0
; COMPUTE_PGM_RSRC3_GFX90A:TG_SPLIT: 0
	.section	.text._ZN7rocprim17ROCPRIM_400000_NS6detail30init_device_scan_by_key_kernelINS1_19lookback_scan_stateINS0_5tupleIJibEEELb1ELb1EEEN6thrust23THRUST_200600_302600_NS16reverse_iteratorIPKiEEjNS1_16block_id_wrapperIjLb0EEEEEvT_jjPNSF_10value_typeET0_PNSt15iterator_traitsISI_E10value_typeEmT1_T2_,"axG",@progbits,_ZN7rocprim17ROCPRIM_400000_NS6detail30init_device_scan_by_key_kernelINS1_19lookback_scan_stateINS0_5tupleIJibEEELb1ELb1EEEN6thrust23THRUST_200600_302600_NS16reverse_iteratorIPKiEEjNS1_16block_id_wrapperIjLb0EEEEEvT_jjPNSF_10value_typeET0_PNSt15iterator_traitsISI_E10value_typeEmT1_T2_,comdat
	.protected	_ZN7rocprim17ROCPRIM_400000_NS6detail30init_device_scan_by_key_kernelINS1_19lookback_scan_stateINS0_5tupleIJibEEELb1ELb1EEEN6thrust23THRUST_200600_302600_NS16reverse_iteratorIPKiEEjNS1_16block_id_wrapperIjLb0EEEEEvT_jjPNSF_10value_typeET0_PNSt15iterator_traitsISI_E10value_typeEmT1_T2_ ; -- Begin function _ZN7rocprim17ROCPRIM_400000_NS6detail30init_device_scan_by_key_kernelINS1_19lookback_scan_stateINS0_5tupleIJibEEELb1ELb1EEEN6thrust23THRUST_200600_302600_NS16reverse_iteratorIPKiEEjNS1_16block_id_wrapperIjLb0EEEEEvT_jjPNSF_10value_typeET0_PNSt15iterator_traitsISI_E10value_typeEmT1_T2_
	.globl	_ZN7rocprim17ROCPRIM_400000_NS6detail30init_device_scan_by_key_kernelINS1_19lookback_scan_stateINS0_5tupleIJibEEELb1ELb1EEEN6thrust23THRUST_200600_302600_NS16reverse_iteratorIPKiEEjNS1_16block_id_wrapperIjLb0EEEEEvT_jjPNSF_10value_typeET0_PNSt15iterator_traitsISI_E10value_typeEmT1_T2_
	.p2align	8
	.type	_ZN7rocprim17ROCPRIM_400000_NS6detail30init_device_scan_by_key_kernelINS1_19lookback_scan_stateINS0_5tupleIJibEEELb1ELb1EEEN6thrust23THRUST_200600_302600_NS16reverse_iteratorIPKiEEjNS1_16block_id_wrapperIjLb0EEEEEvT_jjPNSF_10value_typeET0_PNSt15iterator_traitsISI_E10value_typeEmT1_T2_,@function
_ZN7rocprim17ROCPRIM_400000_NS6detail30init_device_scan_by_key_kernelINS1_19lookback_scan_stateINS0_5tupleIJibEEELb1ELb1EEEN6thrust23THRUST_200600_302600_NS16reverse_iteratorIPKiEEjNS1_16block_id_wrapperIjLb0EEEEEvT_jjPNSF_10value_typeET0_PNSt15iterator_traitsISI_E10value_typeEmT1_T2_: ; @_ZN7rocprim17ROCPRIM_400000_NS6detail30init_device_scan_by_key_kernelINS1_19lookback_scan_stateINS0_5tupleIJibEEELb1ELb1EEEN6thrust23THRUST_200600_302600_NS16reverse_iteratorIPKiEEjNS1_16block_id_wrapperIjLb0EEEEEvT_jjPNSF_10value_typeET0_PNSt15iterator_traitsISI_E10value_typeEmT1_T2_
; %bb.0:
	s_load_dword s3, s[0:1], 0x44
	s_load_dwordx8 s[4:11], s[0:1], 0x0
	s_load_dword s18, s[0:1], 0x38
	s_waitcnt lgkmcnt(0)
	s_and_b32 s19, s3, 0xffff
	s_mul_i32 s2, s2, s19
	s_cmp_eq_u64 s[8:9], 0
	v_add_u32_e32 v4, s2, v0
	s_cbranch_scc1 .LBB72_10
; %bb.1:
	s_cmp_lt_u32 s7, s6
	s_cselect_b32 s2, s7, 0
	s_mov_b32 s13, 0
	v_cmp_eq_u32_e32 vcc, s2, v4
	s_and_saveexec_b64 s[2:3], vcc
	s_cbranch_execz .LBB72_9
; %bb.2:
	s_add_i32 s12, s7, 64
	s_lshl_b64 s[12:13], s[12:13], 4
	s_add_u32 s16, s4, s12
	s_addc_u32 s17, s5, s13
	v_mov_b64_e32 v[0:1], s[16:17]
	;;#ASMSTART
	global_load_dwordx4 v[0:3], v[0:1] off sc1	
s_waitcnt vmcnt(0)
	;;#ASMEND
	v_mov_b32_e32 v7, 0
	v_and_b32_e32 v6, 0xff, v2
	s_mov_b64 s[14:15], 0
	v_cmp_eq_u64_e32 vcc, 0, v[6:7]
	s_and_saveexec_b64 s[12:13], vcc
	s_cbranch_execz .LBB72_8
; %bb.3:
	s_mov_b32 s7, 1
	v_mov_b64_e32 v[8:9], s[16:17]
.LBB72_4:                               ; =>This Loop Header: Depth=1
                                        ;     Child Loop BB72_5 Depth 2
	s_max_u32 s16, s7, 1
.LBB72_5:                               ;   Parent Loop BB72_4 Depth=1
                                        ; =>  This Inner Loop Header: Depth=2
	s_add_i32 s16, s16, -1
	s_cmp_eq_u32 s16, 0
	s_sleep 1
	s_cbranch_scc0 .LBB72_5
; %bb.6:                                ;   in Loop: Header=BB72_4 Depth=1
	s_cmp_lt_u32 s7, 32
	s_cselect_b64 s[16:17], -1, 0
	s_cmp_lg_u64 s[16:17], 0
	;;#ASMSTART
	global_load_dwordx4 v[0:3], v[8:9] off sc1	
s_waitcnt vmcnt(0)
	;;#ASMEND
	s_addc_u32 s7, s7, 0
	v_and_b32_e32 v6, 0xff, v2
	v_cmp_ne_u64_e32 vcc, 0, v[6:7]
	s_or_b64 s[14:15], vcc, s[14:15]
	s_andn2_b64 exec, exec, s[14:15]
	s_cbranch_execnz .LBB72_4
; %bb.7:
	s_or_b64 exec, exec, s[14:15]
.LBB72_8:
	s_or_b64 exec, exec, s[12:13]
	v_mov_b32_e32 v2, 0
	global_store_dword v2, v0, s[8:9]
	global_store_byte v2, v1, s[8:9] offset:4
.LBB72_9:
	s_or_b64 exec, exec, s[2:3]
.LBB72_10:
	v_cmp_gt_u32_e32 vcc, s6, v4
	s_and_saveexec_b64 s[2:3], vcc
	s_cbranch_execz .LBB72_12
; %bb.11:
	v_add_u32_e32 v0, 64, v4
	v_mov_b32_e32 v1, 0
	v_lshl_add_u64 v[6:7], v[0:1], 4, s[4:5]
	v_mov_b32_e32 v0, v1
	v_mov_b32_e32 v2, v1
	;; [unrolled: 1-line block ×3, first 2 shown]
	global_store_dwordx4 v[6:7], v[0:3], off
.LBB72_12:
	s_or_b64 exec, exec, s[2:3]
	v_cmp_gt_u32_e32 vcc, 64, v4
	v_mov_b32_e32 v5, 0
	s_and_saveexec_b64 s[2:3], vcc
	s_cbranch_execz .LBB72_14
; %bb.13:
	v_lshl_add_u64 v[6:7], v[4:5], 4, s[4:5]
	v_mov_b32_e32 v2, 0xff
	v_mov_b32_e32 v0, v5
	;; [unrolled: 1-line block ×4, first 2 shown]
	global_store_dwordx4 v[6:7], v[0:3], off
.LBB72_14:
	s_or_b64 exec, exec, s[2:3]
	s_load_dwordx2 s[2:3], s[0:1], 0x28
	s_waitcnt lgkmcnt(0)
	v_cmp_gt_u64_e32 vcc, s[2:3], v[4:5]
	s_and_saveexec_b64 s[4:5], vcc
	s_cbranch_execz .LBB72_17
; %bb.15:
	s_load_dword s6, s[0:1], 0x30
	s_load_dwordx2 s[8:9], s[0:1], 0x20
	v_mov_b32_e32 v1, 0
	s_mul_i32 s0, s18, s19
	v_mov_b32_e32 v2, s11
	s_waitcnt lgkmcnt(0)
	s_add_i32 s4, s6, -1
	v_mov_b32_e32 v0, s4
	v_mad_u64_u32 v[0:1], s[4:5], s6, v4, v[0:1]
	v_lshlrev_b64 v[0:1], 2, v[0:1]
	s_mul_hi_u32 s5, s6, s0
	s_mul_i32 s4, s6, s0
	v_sub_co_u32_e32 v0, vcc, s10, v0
	s_lshl_b64 s[6:7], s[4:5], 2
	s_mov_b32 s1, 0
	v_subb_co_u32_e32 v1, vcc, v2, v1, vcc
	s_sub_u32 s6, 0, s6
	v_lshl_add_u64 v[0:1], v[0:1], 0, -4
	s_mov_b64 s[4:5], 0
	s_subb_u32 s7, 0, s7
	v_lshl_add_u64 v[2:3], v[4:5], 2, s[8:9]
	s_lshl_b64 s[8:9], s[0:1], 2
.LBB72_16:                              ; =>This Inner Loop Header: Depth=1
	global_load_dword v6, v[0:1], off
	v_lshl_add_u64 v[4:5], v[4:5], 0, s[0:1]
	v_cmp_le_u64_e32 vcc, s[2:3], v[4:5]
	v_lshl_add_u64 v[0:1], v[0:1], 0, s[6:7]
	s_or_b64 s[4:5], vcc, s[4:5]
	s_waitcnt vmcnt(0)
	global_store_dword v[2:3], v6, off
	v_lshl_add_u64 v[2:3], v[2:3], 0, s[8:9]
	s_andn2_b64 exec, exec, s[4:5]
	s_cbranch_execnz .LBB72_16
.LBB72_17:
	s_endpgm
	.section	.rodata,"a",@progbits
	.p2align	6, 0x0
	.amdhsa_kernel _ZN7rocprim17ROCPRIM_400000_NS6detail30init_device_scan_by_key_kernelINS1_19lookback_scan_stateINS0_5tupleIJibEEELb1ELb1EEEN6thrust23THRUST_200600_302600_NS16reverse_iteratorIPKiEEjNS1_16block_id_wrapperIjLb0EEEEEvT_jjPNSF_10value_typeET0_PNSt15iterator_traitsISI_E10value_typeEmT1_T2_
		.amdhsa_group_segment_fixed_size 0
		.amdhsa_private_segment_fixed_size 0
		.amdhsa_kernarg_size 312
		.amdhsa_user_sgpr_count 2
		.amdhsa_user_sgpr_dispatch_ptr 0
		.amdhsa_user_sgpr_queue_ptr 0
		.amdhsa_user_sgpr_kernarg_segment_ptr 1
		.amdhsa_user_sgpr_dispatch_id 0
		.amdhsa_user_sgpr_kernarg_preload_length 0
		.amdhsa_user_sgpr_kernarg_preload_offset 0
		.amdhsa_user_sgpr_private_segment_size 0
		.amdhsa_uses_dynamic_stack 0
		.amdhsa_enable_private_segment 0
		.amdhsa_system_sgpr_workgroup_id_x 1
		.amdhsa_system_sgpr_workgroup_id_y 0
		.amdhsa_system_sgpr_workgroup_id_z 0
		.amdhsa_system_sgpr_workgroup_info 0
		.amdhsa_system_vgpr_workitem_id 0
		.amdhsa_next_free_vgpr 10
		.amdhsa_next_free_sgpr 20
		.amdhsa_accum_offset 12
		.amdhsa_reserve_vcc 1
		.amdhsa_float_round_mode_32 0
		.amdhsa_float_round_mode_16_64 0
		.amdhsa_float_denorm_mode_32 3
		.amdhsa_float_denorm_mode_16_64 3
		.amdhsa_dx10_clamp 1
		.amdhsa_ieee_mode 1
		.amdhsa_fp16_overflow 0
		.amdhsa_tg_split 0
		.amdhsa_exception_fp_ieee_invalid_op 0
		.amdhsa_exception_fp_denorm_src 0
		.amdhsa_exception_fp_ieee_div_zero 0
		.amdhsa_exception_fp_ieee_overflow 0
		.amdhsa_exception_fp_ieee_underflow 0
		.amdhsa_exception_fp_ieee_inexact 0
		.amdhsa_exception_int_div_zero 0
	.end_amdhsa_kernel
	.section	.text._ZN7rocprim17ROCPRIM_400000_NS6detail30init_device_scan_by_key_kernelINS1_19lookback_scan_stateINS0_5tupleIJibEEELb1ELb1EEEN6thrust23THRUST_200600_302600_NS16reverse_iteratorIPKiEEjNS1_16block_id_wrapperIjLb0EEEEEvT_jjPNSF_10value_typeET0_PNSt15iterator_traitsISI_E10value_typeEmT1_T2_,"axG",@progbits,_ZN7rocprim17ROCPRIM_400000_NS6detail30init_device_scan_by_key_kernelINS1_19lookback_scan_stateINS0_5tupleIJibEEELb1ELb1EEEN6thrust23THRUST_200600_302600_NS16reverse_iteratorIPKiEEjNS1_16block_id_wrapperIjLb0EEEEEvT_jjPNSF_10value_typeET0_PNSt15iterator_traitsISI_E10value_typeEmT1_T2_,comdat
.Lfunc_end72:
	.size	_ZN7rocprim17ROCPRIM_400000_NS6detail30init_device_scan_by_key_kernelINS1_19lookback_scan_stateINS0_5tupleIJibEEELb1ELb1EEEN6thrust23THRUST_200600_302600_NS16reverse_iteratorIPKiEEjNS1_16block_id_wrapperIjLb0EEEEEvT_jjPNSF_10value_typeET0_PNSt15iterator_traitsISI_E10value_typeEmT1_T2_, .Lfunc_end72-_ZN7rocprim17ROCPRIM_400000_NS6detail30init_device_scan_by_key_kernelINS1_19lookback_scan_stateINS0_5tupleIJibEEELb1ELb1EEEN6thrust23THRUST_200600_302600_NS16reverse_iteratorIPKiEEjNS1_16block_id_wrapperIjLb0EEEEEvT_jjPNSF_10value_typeET0_PNSt15iterator_traitsISI_E10value_typeEmT1_T2_
                                        ; -- End function
	.section	.AMDGPU.csdata,"",@progbits
; Kernel info:
; codeLenInByte = 564
; NumSgprs: 26
; NumVgprs: 10
; NumAgprs: 0
; TotalNumVgprs: 10
; ScratchSize: 0
; MemoryBound: 0
; FloatMode: 240
; IeeeMode: 1
; LDSByteSize: 0 bytes/workgroup (compile time only)
; SGPRBlocks: 3
; VGPRBlocks: 1
; NumSGPRsForWavesPerEU: 26
; NumVGPRsForWavesPerEU: 10
; AccumOffset: 12
; Occupancy: 8
; WaveLimiterHint : 0
; COMPUTE_PGM_RSRC2:SCRATCH_EN: 0
; COMPUTE_PGM_RSRC2:USER_SGPR: 2
; COMPUTE_PGM_RSRC2:TRAP_HANDLER: 0
; COMPUTE_PGM_RSRC2:TGID_X_EN: 1
; COMPUTE_PGM_RSRC2:TGID_Y_EN: 0
; COMPUTE_PGM_RSRC2:TGID_Z_EN: 0
; COMPUTE_PGM_RSRC2:TIDIG_COMP_CNT: 0
; COMPUTE_PGM_RSRC3_GFX90A:ACCUM_OFFSET: 2
; COMPUTE_PGM_RSRC3_GFX90A:TG_SPLIT: 0
	.section	.text._ZN7rocprim17ROCPRIM_400000_NS6detail17trampoline_kernelINS0_14default_configENS1_27scan_by_key_config_selectorIiiEEZZNS1_16scan_by_key_implILNS1_25lookback_scan_determinismE0ELb0ES3_N6thrust23THRUST_200600_302600_NS16reverse_iteratorIPKiEESD_NSA_IPiEEiN6hipcub16HIPCUB_304000_NS3MaxENSH_8EqualityEiEE10hipError_tPvRmT2_T3_T4_T5_mT6_T7_P12ihipStream_tbENKUlT_T0_E_clISt17integral_constantIbLb1EESZ_IbLb0EEEEDaSV_SW_EUlSV_E_NS1_11comp_targetILNS1_3genE0ELNS1_11target_archE4294967295ELNS1_3gpuE0ELNS1_3repE0EEENS1_30default_config_static_selectorELNS0_4arch9wavefront6targetE1EEEvT1_,"axG",@progbits,_ZN7rocprim17ROCPRIM_400000_NS6detail17trampoline_kernelINS0_14default_configENS1_27scan_by_key_config_selectorIiiEEZZNS1_16scan_by_key_implILNS1_25lookback_scan_determinismE0ELb0ES3_N6thrust23THRUST_200600_302600_NS16reverse_iteratorIPKiEESD_NSA_IPiEEiN6hipcub16HIPCUB_304000_NS3MaxENSH_8EqualityEiEE10hipError_tPvRmT2_T3_T4_T5_mT6_T7_P12ihipStream_tbENKUlT_T0_E_clISt17integral_constantIbLb1EESZ_IbLb0EEEEDaSV_SW_EUlSV_E_NS1_11comp_targetILNS1_3genE0ELNS1_11target_archE4294967295ELNS1_3gpuE0ELNS1_3repE0EEENS1_30default_config_static_selectorELNS0_4arch9wavefront6targetE1EEEvT1_,comdat
	.protected	_ZN7rocprim17ROCPRIM_400000_NS6detail17trampoline_kernelINS0_14default_configENS1_27scan_by_key_config_selectorIiiEEZZNS1_16scan_by_key_implILNS1_25lookback_scan_determinismE0ELb0ES3_N6thrust23THRUST_200600_302600_NS16reverse_iteratorIPKiEESD_NSA_IPiEEiN6hipcub16HIPCUB_304000_NS3MaxENSH_8EqualityEiEE10hipError_tPvRmT2_T3_T4_T5_mT6_T7_P12ihipStream_tbENKUlT_T0_E_clISt17integral_constantIbLb1EESZ_IbLb0EEEEDaSV_SW_EUlSV_E_NS1_11comp_targetILNS1_3genE0ELNS1_11target_archE4294967295ELNS1_3gpuE0ELNS1_3repE0EEENS1_30default_config_static_selectorELNS0_4arch9wavefront6targetE1EEEvT1_ ; -- Begin function _ZN7rocprim17ROCPRIM_400000_NS6detail17trampoline_kernelINS0_14default_configENS1_27scan_by_key_config_selectorIiiEEZZNS1_16scan_by_key_implILNS1_25lookback_scan_determinismE0ELb0ES3_N6thrust23THRUST_200600_302600_NS16reverse_iteratorIPKiEESD_NSA_IPiEEiN6hipcub16HIPCUB_304000_NS3MaxENSH_8EqualityEiEE10hipError_tPvRmT2_T3_T4_T5_mT6_T7_P12ihipStream_tbENKUlT_T0_E_clISt17integral_constantIbLb1EESZ_IbLb0EEEEDaSV_SW_EUlSV_E_NS1_11comp_targetILNS1_3genE0ELNS1_11target_archE4294967295ELNS1_3gpuE0ELNS1_3repE0EEENS1_30default_config_static_selectorELNS0_4arch9wavefront6targetE1EEEvT1_
	.globl	_ZN7rocprim17ROCPRIM_400000_NS6detail17trampoline_kernelINS0_14default_configENS1_27scan_by_key_config_selectorIiiEEZZNS1_16scan_by_key_implILNS1_25lookback_scan_determinismE0ELb0ES3_N6thrust23THRUST_200600_302600_NS16reverse_iteratorIPKiEESD_NSA_IPiEEiN6hipcub16HIPCUB_304000_NS3MaxENSH_8EqualityEiEE10hipError_tPvRmT2_T3_T4_T5_mT6_T7_P12ihipStream_tbENKUlT_T0_E_clISt17integral_constantIbLb1EESZ_IbLb0EEEEDaSV_SW_EUlSV_E_NS1_11comp_targetILNS1_3genE0ELNS1_11target_archE4294967295ELNS1_3gpuE0ELNS1_3repE0EEENS1_30default_config_static_selectorELNS0_4arch9wavefront6targetE1EEEvT1_
	.p2align	8
	.type	_ZN7rocprim17ROCPRIM_400000_NS6detail17trampoline_kernelINS0_14default_configENS1_27scan_by_key_config_selectorIiiEEZZNS1_16scan_by_key_implILNS1_25lookback_scan_determinismE0ELb0ES3_N6thrust23THRUST_200600_302600_NS16reverse_iteratorIPKiEESD_NSA_IPiEEiN6hipcub16HIPCUB_304000_NS3MaxENSH_8EqualityEiEE10hipError_tPvRmT2_T3_T4_T5_mT6_T7_P12ihipStream_tbENKUlT_T0_E_clISt17integral_constantIbLb1EESZ_IbLb0EEEEDaSV_SW_EUlSV_E_NS1_11comp_targetILNS1_3genE0ELNS1_11target_archE4294967295ELNS1_3gpuE0ELNS1_3repE0EEENS1_30default_config_static_selectorELNS0_4arch9wavefront6targetE1EEEvT1_,@function
_ZN7rocprim17ROCPRIM_400000_NS6detail17trampoline_kernelINS0_14default_configENS1_27scan_by_key_config_selectorIiiEEZZNS1_16scan_by_key_implILNS1_25lookback_scan_determinismE0ELb0ES3_N6thrust23THRUST_200600_302600_NS16reverse_iteratorIPKiEESD_NSA_IPiEEiN6hipcub16HIPCUB_304000_NS3MaxENSH_8EqualityEiEE10hipError_tPvRmT2_T3_T4_T5_mT6_T7_P12ihipStream_tbENKUlT_T0_E_clISt17integral_constantIbLb1EESZ_IbLb0EEEEDaSV_SW_EUlSV_E_NS1_11comp_targetILNS1_3genE0ELNS1_11target_archE4294967295ELNS1_3gpuE0ELNS1_3repE0EEENS1_30default_config_static_selectorELNS0_4arch9wavefront6targetE1EEEvT1_: ; @_ZN7rocprim17ROCPRIM_400000_NS6detail17trampoline_kernelINS0_14default_configENS1_27scan_by_key_config_selectorIiiEEZZNS1_16scan_by_key_implILNS1_25lookback_scan_determinismE0ELb0ES3_N6thrust23THRUST_200600_302600_NS16reverse_iteratorIPKiEESD_NSA_IPiEEiN6hipcub16HIPCUB_304000_NS3MaxENSH_8EqualityEiEE10hipError_tPvRmT2_T3_T4_T5_mT6_T7_P12ihipStream_tbENKUlT_T0_E_clISt17integral_constantIbLb1EESZ_IbLb0EEEEDaSV_SW_EUlSV_E_NS1_11comp_targetILNS1_3genE0ELNS1_11target_archE4294967295ELNS1_3gpuE0ELNS1_3repE0EEENS1_30default_config_static_selectorELNS0_4arch9wavefront6targetE1EEEvT1_
; %bb.0:
	.section	.rodata,"a",@progbits
	.p2align	6, 0x0
	.amdhsa_kernel _ZN7rocprim17ROCPRIM_400000_NS6detail17trampoline_kernelINS0_14default_configENS1_27scan_by_key_config_selectorIiiEEZZNS1_16scan_by_key_implILNS1_25lookback_scan_determinismE0ELb0ES3_N6thrust23THRUST_200600_302600_NS16reverse_iteratorIPKiEESD_NSA_IPiEEiN6hipcub16HIPCUB_304000_NS3MaxENSH_8EqualityEiEE10hipError_tPvRmT2_T3_T4_T5_mT6_T7_P12ihipStream_tbENKUlT_T0_E_clISt17integral_constantIbLb1EESZ_IbLb0EEEEDaSV_SW_EUlSV_E_NS1_11comp_targetILNS1_3genE0ELNS1_11target_archE4294967295ELNS1_3gpuE0ELNS1_3repE0EEENS1_30default_config_static_selectorELNS0_4arch9wavefront6targetE1EEEvT1_
		.amdhsa_group_segment_fixed_size 0
		.amdhsa_private_segment_fixed_size 0
		.amdhsa_kernarg_size 112
		.amdhsa_user_sgpr_count 2
		.amdhsa_user_sgpr_dispatch_ptr 0
		.amdhsa_user_sgpr_queue_ptr 0
		.amdhsa_user_sgpr_kernarg_segment_ptr 1
		.amdhsa_user_sgpr_dispatch_id 0
		.amdhsa_user_sgpr_kernarg_preload_length 0
		.amdhsa_user_sgpr_kernarg_preload_offset 0
		.amdhsa_user_sgpr_private_segment_size 0
		.amdhsa_uses_dynamic_stack 0
		.amdhsa_enable_private_segment 0
		.amdhsa_system_sgpr_workgroup_id_x 1
		.amdhsa_system_sgpr_workgroup_id_y 0
		.amdhsa_system_sgpr_workgroup_id_z 0
		.amdhsa_system_sgpr_workgroup_info 0
		.amdhsa_system_vgpr_workitem_id 0
		.amdhsa_next_free_vgpr 1
		.amdhsa_next_free_sgpr 0
		.amdhsa_accum_offset 4
		.amdhsa_reserve_vcc 0
		.amdhsa_float_round_mode_32 0
		.amdhsa_float_round_mode_16_64 0
		.amdhsa_float_denorm_mode_32 3
		.amdhsa_float_denorm_mode_16_64 3
		.amdhsa_dx10_clamp 1
		.amdhsa_ieee_mode 1
		.amdhsa_fp16_overflow 0
		.amdhsa_tg_split 0
		.amdhsa_exception_fp_ieee_invalid_op 0
		.amdhsa_exception_fp_denorm_src 0
		.amdhsa_exception_fp_ieee_div_zero 0
		.amdhsa_exception_fp_ieee_overflow 0
		.amdhsa_exception_fp_ieee_underflow 0
		.amdhsa_exception_fp_ieee_inexact 0
		.amdhsa_exception_int_div_zero 0
	.end_amdhsa_kernel
	.section	.text._ZN7rocprim17ROCPRIM_400000_NS6detail17trampoline_kernelINS0_14default_configENS1_27scan_by_key_config_selectorIiiEEZZNS1_16scan_by_key_implILNS1_25lookback_scan_determinismE0ELb0ES3_N6thrust23THRUST_200600_302600_NS16reverse_iteratorIPKiEESD_NSA_IPiEEiN6hipcub16HIPCUB_304000_NS3MaxENSH_8EqualityEiEE10hipError_tPvRmT2_T3_T4_T5_mT6_T7_P12ihipStream_tbENKUlT_T0_E_clISt17integral_constantIbLb1EESZ_IbLb0EEEEDaSV_SW_EUlSV_E_NS1_11comp_targetILNS1_3genE0ELNS1_11target_archE4294967295ELNS1_3gpuE0ELNS1_3repE0EEENS1_30default_config_static_selectorELNS0_4arch9wavefront6targetE1EEEvT1_,"axG",@progbits,_ZN7rocprim17ROCPRIM_400000_NS6detail17trampoline_kernelINS0_14default_configENS1_27scan_by_key_config_selectorIiiEEZZNS1_16scan_by_key_implILNS1_25lookback_scan_determinismE0ELb0ES3_N6thrust23THRUST_200600_302600_NS16reverse_iteratorIPKiEESD_NSA_IPiEEiN6hipcub16HIPCUB_304000_NS3MaxENSH_8EqualityEiEE10hipError_tPvRmT2_T3_T4_T5_mT6_T7_P12ihipStream_tbENKUlT_T0_E_clISt17integral_constantIbLb1EESZ_IbLb0EEEEDaSV_SW_EUlSV_E_NS1_11comp_targetILNS1_3genE0ELNS1_11target_archE4294967295ELNS1_3gpuE0ELNS1_3repE0EEENS1_30default_config_static_selectorELNS0_4arch9wavefront6targetE1EEEvT1_,comdat
.Lfunc_end73:
	.size	_ZN7rocprim17ROCPRIM_400000_NS6detail17trampoline_kernelINS0_14default_configENS1_27scan_by_key_config_selectorIiiEEZZNS1_16scan_by_key_implILNS1_25lookback_scan_determinismE0ELb0ES3_N6thrust23THRUST_200600_302600_NS16reverse_iteratorIPKiEESD_NSA_IPiEEiN6hipcub16HIPCUB_304000_NS3MaxENSH_8EqualityEiEE10hipError_tPvRmT2_T3_T4_T5_mT6_T7_P12ihipStream_tbENKUlT_T0_E_clISt17integral_constantIbLb1EESZ_IbLb0EEEEDaSV_SW_EUlSV_E_NS1_11comp_targetILNS1_3genE0ELNS1_11target_archE4294967295ELNS1_3gpuE0ELNS1_3repE0EEENS1_30default_config_static_selectorELNS0_4arch9wavefront6targetE1EEEvT1_, .Lfunc_end73-_ZN7rocprim17ROCPRIM_400000_NS6detail17trampoline_kernelINS0_14default_configENS1_27scan_by_key_config_selectorIiiEEZZNS1_16scan_by_key_implILNS1_25lookback_scan_determinismE0ELb0ES3_N6thrust23THRUST_200600_302600_NS16reverse_iteratorIPKiEESD_NSA_IPiEEiN6hipcub16HIPCUB_304000_NS3MaxENSH_8EqualityEiEE10hipError_tPvRmT2_T3_T4_T5_mT6_T7_P12ihipStream_tbENKUlT_T0_E_clISt17integral_constantIbLb1EESZ_IbLb0EEEEDaSV_SW_EUlSV_E_NS1_11comp_targetILNS1_3genE0ELNS1_11target_archE4294967295ELNS1_3gpuE0ELNS1_3repE0EEENS1_30default_config_static_selectorELNS0_4arch9wavefront6targetE1EEEvT1_
                                        ; -- End function
	.section	.AMDGPU.csdata,"",@progbits
; Kernel info:
; codeLenInByte = 0
; NumSgprs: 6
; NumVgprs: 0
; NumAgprs: 0
; TotalNumVgprs: 0
; ScratchSize: 0
; MemoryBound: 0
; FloatMode: 240
; IeeeMode: 1
; LDSByteSize: 0 bytes/workgroup (compile time only)
; SGPRBlocks: 0
; VGPRBlocks: 0
; NumSGPRsForWavesPerEU: 6
; NumVGPRsForWavesPerEU: 1
; AccumOffset: 4
; Occupancy: 8
; WaveLimiterHint : 0
; COMPUTE_PGM_RSRC2:SCRATCH_EN: 0
; COMPUTE_PGM_RSRC2:USER_SGPR: 2
; COMPUTE_PGM_RSRC2:TRAP_HANDLER: 0
; COMPUTE_PGM_RSRC2:TGID_X_EN: 1
; COMPUTE_PGM_RSRC2:TGID_Y_EN: 0
; COMPUTE_PGM_RSRC2:TGID_Z_EN: 0
; COMPUTE_PGM_RSRC2:TIDIG_COMP_CNT: 0
; COMPUTE_PGM_RSRC3_GFX90A:ACCUM_OFFSET: 0
; COMPUTE_PGM_RSRC3_GFX90A:TG_SPLIT: 0
	.section	.text._ZN7rocprim17ROCPRIM_400000_NS6detail17trampoline_kernelINS0_14default_configENS1_27scan_by_key_config_selectorIiiEEZZNS1_16scan_by_key_implILNS1_25lookback_scan_determinismE0ELb0ES3_N6thrust23THRUST_200600_302600_NS16reverse_iteratorIPKiEESD_NSA_IPiEEiN6hipcub16HIPCUB_304000_NS3MaxENSH_8EqualityEiEE10hipError_tPvRmT2_T3_T4_T5_mT6_T7_P12ihipStream_tbENKUlT_T0_E_clISt17integral_constantIbLb1EESZ_IbLb0EEEEDaSV_SW_EUlSV_E_NS1_11comp_targetILNS1_3genE10ELNS1_11target_archE1201ELNS1_3gpuE5ELNS1_3repE0EEENS1_30default_config_static_selectorELNS0_4arch9wavefront6targetE1EEEvT1_,"axG",@progbits,_ZN7rocprim17ROCPRIM_400000_NS6detail17trampoline_kernelINS0_14default_configENS1_27scan_by_key_config_selectorIiiEEZZNS1_16scan_by_key_implILNS1_25lookback_scan_determinismE0ELb0ES3_N6thrust23THRUST_200600_302600_NS16reverse_iteratorIPKiEESD_NSA_IPiEEiN6hipcub16HIPCUB_304000_NS3MaxENSH_8EqualityEiEE10hipError_tPvRmT2_T3_T4_T5_mT6_T7_P12ihipStream_tbENKUlT_T0_E_clISt17integral_constantIbLb1EESZ_IbLb0EEEEDaSV_SW_EUlSV_E_NS1_11comp_targetILNS1_3genE10ELNS1_11target_archE1201ELNS1_3gpuE5ELNS1_3repE0EEENS1_30default_config_static_selectorELNS0_4arch9wavefront6targetE1EEEvT1_,comdat
	.protected	_ZN7rocprim17ROCPRIM_400000_NS6detail17trampoline_kernelINS0_14default_configENS1_27scan_by_key_config_selectorIiiEEZZNS1_16scan_by_key_implILNS1_25lookback_scan_determinismE0ELb0ES3_N6thrust23THRUST_200600_302600_NS16reverse_iteratorIPKiEESD_NSA_IPiEEiN6hipcub16HIPCUB_304000_NS3MaxENSH_8EqualityEiEE10hipError_tPvRmT2_T3_T4_T5_mT6_T7_P12ihipStream_tbENKUlT_T0_E_clISt17integral_constantIbLb1EESZ_IbLb0EEEEDaSV_SW_EUlSV_E_NS1_11comp_targetILNS1_3genE10ELNS1_11target_archE1201ELNS1_3gpuE5ELNS1_3repE0EEENS1_30default_config_static_selectorELNS0_4arch9wavefront6targetE1EEEvT1_ ; -- Begin function _ZN7rocprim17ROCPRIM_400000_NS6detail17trampoline_kernelINS0_14default_configENS1_27scan_by_key_config_selectorIiiEEZZNS1_16scan_by_key_implILNS1_25lookback_scan_determinismE0ELb0ES3_N6thrust23THRUST_200600_302600_NS16reverse_iteratorIPKiEESD_NSA_IPiEEiN6hipcub16HIPCUB_304000_NS3MaxENSH_8EqualityEiEE10hipError_tPvRmT2_T3_T4_T5_mT6_T7_P12ihipStream_tbENKUlT_T0_E_clISt17integral_constantIbLb1EESZ_IbLb0EEEEDaSV_SW_EUlSV_E_NS1_11comp_targetILNS1_3genE10ELNS1_11target_archE1201ELNS1_3gpuE5ELNS1_3repE0EEENS1_30default_config_static_selectorELNS0_4arch9wavefront6targetE1EEEvT1_
	.globl	_ZN7rocprim17ROCPRIM_400000_NS6detail17trampoline_kernelINS0_14default_configENS1_27scan_by_key_config_selectorIiiEEZZNS1_16scan_by_key_implILNS1_25lookback_scan_determinismE0ELb0ES3_N6thrust23THRUST_200600_302600_NS16reverse_iteratorIPKiEESD_NSA_IPiEEiN6hipcub16HIPCUB_304000_NS3MaxENSH_8EqualityEiEE10hipError_tPvRmT2_T3_T4_T5_mT6_T7_P12ihipStream_tbENKUlT_T0_E_clISt17integral_constantIbLb1EESZ_IbLb0EEEEDaSV_SW_EUlSV_E_NS1_11comp_targetILNS1_3genE10ELNS1_11target_archE1201ELNS1_3gpuE5ELNS1_3repE0EEENS1_30default_config_static_selectorELNS0_4arch9wavefront6targetE1EEEvT1_
	.p2align	8
	.type	_ZN7rocprim17ROCPRIM_400000_NS6detail17trampoline_kernelINS0_14default_configENS1_27scan_by_key_config_selectorIiiEEZZNS1_16scan_by_key_implILNS1_25lookback_scan_determinismE0ELb0ES3_N6thrust23THRUST_200600_302600_NS16reverse_iteratorIPKiEESD_NSA_IPiEEiN6hipcub16HIPCUB_304000_NS3MaxENSH_8EqualityEiEE10hipError_tPvRmT2_T3_T4_T5_mT6_T7_P12ihipStream_tbENKUlT_T0_E_clISt17integral_constantIbLb1EESZ_IbLb0EEEEDaSV_SW_EUlSV_E_NS1_11comp_targetILNS1_3genE10ELNS1_11target_archE1201ELNS1_3gpuE5ELNS1_3repE0EEENS1_30default_config_static_selectorELNS0_4arch9wavefront6targetE1EEEvT1_,@function
_ZN7rocprim17ROCPRIM_400000_NS6detail17trampoline_kernelINS0_14default_configENS1_27scan_by_key_config_selectorIiiEEZZNS1_16scan_by_key_implILNS1_25lookback_scan_determinismE0ELb0ES3_N6thrust23THRUST_200600_302600_NS16reverse_iteratorIPKiEESD_NSA_IPiEEiN6hipcub16HIPCUB_304000_NS3MaxENSH_8EqualityEiEE10hipError_tPvRmT2_T3_T4_T5_mT6_T7_P12ihipStream_tbENKUlT_T0_E_clISt17integral_constantIbLb1EESZ_IbLb0EEEEDaSV_SW_EUlSV_E_NS1_11comp_targetILNS1_3genE10ELNS1_11target_archE1201ELNS1_3gpuE5ELNS1_3repE0EEENS1_30default_config_static_selectorELNS0_4arch9wavefront6targetE1EEEvT1_: ; @_ZN7rocprim17ROCPRIM_400000_NS6detail17trampoline_kernelINS0_14default_configENS1_27scan_by_key_config_selectorIiiEEZZNS1_16scan_by_key_implILNS1_25lookback_scan_determinismE0ELb0ES3_N6thrust23THRUST_200600_302600_NS16reverse_iteratorIPKiEESD_NSA_IPiEEiN6hipcub16HIPCUB_304000_NS3MaxENSH_8EqualityEiEE10hipError_tPvRmT2_T3_T4_T5_mT6_T7_P12ihipStream_tbENKUlT_T0_E_clISt17integral_constantIbLb1EESZ_IbLb0EEEEDaSV_SW_EUlSV_E_NS1_11comp_targetILNS1_3genE10ELNS1_11target_archE1201ELNS1_3gpuE5ELNS1_3repE0EEENS1_30default_config_static_selectorELNS0_4arch9wavefront6targetE1EEEvT1_
; %bb.0:
	.section	.rodata,"a",@progbits
	.p2align	6, 0x0
	.amdhsa_kernel _ZN7rocprim17ROCPRIM_400000_NS6detail17trampoline_kernelINS0_14default_configENS1_27scan_by_key_config_selectorIiiEEZZNS1_16scan_by_key_implILNS1_25lookback_scan_determinismE0ELb0ES3_N6thrust23THRUST_200600_302600_NS16reverse_iteratorIPKiEESD_NSA_IPiEEiN6hipcub16HIPCUB_304000_NS3MaxENSH_8EqualityEiEE10hipError_tPvRmT2_T3_T4_T5_mT6_T7_P12ihipStream_tbENKUlT_T0_E_clISt17integral_constantIbLb1EESZ_IbLb0EEEEDaSV_SW_EUlSV_E_NS1_11comp_targetILNS1_3genE10ELNS1_11target_archE1201ELNS1_3gpuE5ELNS1_3repE0EEENS1_30default_config_static_selectorELNS0_4arch9wavefront6targetE1EEEvT1_
		.amdhsa_group_segment_fixed_size 0
		.amdhsa_private_segment_fixed_size 0
		.amdhsa_kernarg_size 112
		.amdhsa_user_sgpr_count 2
		.amdhsa_user_sgpr_dispatch_ptr 0
		.amdhsa_user_sgpr_queue_ptr 0
		.amdhsa_user_sgpr_kernarg_segment_ptr 1
		.amdhsa_user_sgpr_dispatch_id 0
		.amdhsa_user_sgpr_kernarg_preload_length 0
		.amdhsa_user_sgpr_kernarg_preload_offset 0
		.amdhsa_user_sgpr_private_segment_size 0
		.amdhsa_uses_dynamic_stack 0
		.amdhsa_enable_private_segment 0
		.amdhsa_system_sgpr_workgroup_id_x 1
		.amdhsa_system_sgpr_workgroup_id_y 0
		.amdhsa_system_sgpr_workgroup_id_z 0
		.amdhsa_system_sgpr_workgroup_info 0
		.amdhsa_system_vgpr_workitem_id 0
		.amdhsa_next_free_vgpr 1
		.amdhsa_next_free_sgpr 0
		.amdhsa_accum_offset 4
		.amdhsa_reserve_vcc 0
		.amdhsa_float_round_mode_32 0
		.amdhsa_float_round_mode_16_64 0
		.amdhsa_float_denorm_mode_32 3
		.amdhsa_float_denorm_mode_16_64 3
		.amdhsa_dx10_clamp 1
		.amdhsa_ieee_mode 1
		.amdhsa_fp16_overflow 0
		.amdhsa_tg_split 0
		.amdhsa_exception_fp_ieee_invalid_op 0
		.amdhsa_exception_fp_denorm_src 0
		.amdhsa_exception_fp_ieee_div_zero 0
		.amdhsa_exception_fp_ieee_overflow 0
		.amdhsa_exception_fp_ieee_underflow 0
		.amdhsa_exception_fp_ieee_inexact 0
		.amdhsa_exception_int_div_zero 0
	.end_amdhsa_kernel
	.section	.text._ZN7rocprim17ROCPRIM_400000_NS6detail17trampoline_kernelINS0_14default_configENS1_27scan_by_key_config_selectorIiiEEZZNS1_16scan_by_key_implILNS1_25lookback_scan_determinismE0ELb0ES3_N6thrust23THRUST_200600_302600_NS16reverse_iteratorIPKiEESD_NSA_IPiEEiN6hipcub16HIPCUB_304000_NS3MaxENSH_8EqualityEiEE10hipError_tPvRmT2_T3_T4_T5_mT6_T7_P12ihipStream_tbENKUlT_T0_E_clISt17integral_constantIbLb1EESZ_IbLb0EEEEDaSV_SW_EUlSV_E_NS1_11comp_targetILNS1_3genE10ELNS1_11target_archE1201ELNS1_3gpuE5ELNS1_3repE0EEENS1_30default_config_static_selectorELNS0_4arch9wavefront6targetE1EEEvT1_,"axG",@progbits,_ZN7rocprim17ROCPRIM_400000_NS6detail17trampoline_kernelINS0_14default_configENS1_27scan_by_key_config_selectorIiiEEZZNS1_16scan_by_key_implILNS1_25lookback_scan_determinismE0ELb0ES3_N6thrust23THRUST_200600_302600_NS16reverse_iteratorIPKiEESD_NSA_IPiEEiN6hipcub16HIPCUB_304000_NS3MaxENSH_8EqualityEiEE10hipError_tPvRmT2_T3_T4_T5_mT6_T7_P12ihipStream_tbENKUlT_T0_E_clISt17integral_constantIbLb1EESZ_IbLb0EEEEDaSV_SW_EUlSV_E_NS1_11comp_targetILNS1_3genE10ELNS1_11target_archE1201ELNS1_3gpuE5ELNS1_3repE0EEENS1_30default_config_static_selectorELNS0_4arch9wavefront6targetE1EEEvT1_,comdat
.Lfunc_end74:
	.size	_ZN7rocprim17ROCPRIM_400000_NS6detail17trampoline_kernelINS0_14default_configENS1_27scan_by_key_config_selectorIiiEEZZNS1_16scan_by_key_implILNS1_25lookback_scan_determinismE0ELb0ES3_N6thrust23THRUST_200600_302600_NS16reverse_iteratorIPKiEESD_NSA_IPiEEiN6hipcub16HIPCUB_304000_NS3MaxENSH_8EqualityEiEE10hipError_tPvRmT2_T3_T4_T5_mT6_T7_P12ihipStream_tbENKUlT_T0_E_clISt17integral_constantIbLb1EESZ_IbLb0EEEEDaSV_SW_EUlSV_E_NS1_11comp_targetILNS1_3genE10ELNS1_11target_archE1201ELNS1_3gpuE5ELNS1_3repE0EEENS1_30default_config_static_selectorELNS0_4arch9wavefront6targetE1EEEvT1_, .Lfunc_end74-_ZN7rocprim17ROCPRIM_400000_NS6detail17trampoline_kernelINS0_14default_configENS1_27scan_by_key_config_selectorIiiEEZZNS1_16scan_by_key_implILNS1_25lookback_scan_determinismE0ELb0ES3_N6thrust23THRUST_200600_302600_NS16reverse_iteratorIPKiEESD_NSA_IPiEEiN6hipcub16HIPCUB_304000_NS3MaxENSH_8EqualityEiEE10hipError_tPvRmT2_T3_T4_T5_mT6_T7_P12ihipStream_tbENKUlT_T0_E_clISt17integral_constantIbLb1EESZ_IbLb0EEEEDaSV_SW_EUlSV_E_NS1_11comp_targetILNS1_3genE10ELNS1_11target_archE1201ELNS1_3gpuE5ELNS1_3repE0EEENS1_30default_config_static_selectorELNS0_4arch9wavefront6targetE1EEEvT1_
                                        ; -- End function
	.section	.AMDGPU.csdata,"",@progbits
; Kernel info:
; codeLenInByte = 0
; NumSgprs: 6
; NumVgprs: 0
; NumAgprs: 0
; TotalNumVgprs: 0
; ScratchSize: 0
; MemoryBound: 0
; FloatMode: 240
; IeeeMode: 1
; LDSByteSize: 0 bytes/workgroup (compile time only)
; SGPRBlocks: 0
; VGPRBlocks: 0
; NumSGPRsForWavesPerEU: 6
; NumVGPRsForWavesPerEU: 1
; AccumOffset: 4
; Occupancy: 8
; WaveLimiterHint : 0
; COMPUTE_PGM_RSRC2:SCRATCH_EN: 0
; COMPUTE_PGM_RSRC2:USER_SGPR: 2
; COMPUTE_PGM_RSRC2:TRAP_HANDLER: 0
; COMPUTE_PGM_RSRC2:TGID_X_EN: 1
; COMPUTE_PGM_RSRC2:TGID_Y_EN: 0
; COMPUTE_PGM_RSRC2:TGID_Z_EN: 0
; COMPUTE_PGM_RSRC2:TIDIG_COMP_CNT: 0
; COMPUTE_PGM_RSRC3_GFX90A:ACCUM_OFFSET: 0
; COMPUTE_PGM_RSRC3_GFX90A:TG_SPLIT: 0
	.section	.text._ZN7rocprim17ROCPRIM_400000_NS6detail17trampoline_kernelINS0_14default_configENS1_27scan_by_key_config_selectorIiiEEZZNS1_16scan_by_key_implILNS1_25lookback_scan_determinismE0ELb0ES3_N6thrust23THRUST_200600_302600_NS16reverse_iteratorIPKiEESD_NSA_IPiEEiN6hipcub16HIPCUB_304000_NS3MaxENSH_8EqualityEiEE10hipError_tPvRmT2_T3_T4_T5_mT6_T7_P12ihipStream_tbENKUlT_T0_E_clISt17integral_constantIbLb1EESZ_IbLb0EEEEDaSV_SW_EUlSV_E_NS1_11comp_targetILNS1_3genE5ELNS1_11target_archE942ELNS1_3gpuE9ELNS1_3repE0EEENS1_30default_config_static_selectorELNS0_4arch9wavefront6targetE1EEEvT1_,"axG",@progbits,_ZN7rocprim17ROCPRIM_400000_NS6detail17trampoline_kernelINS0_14default_configENS1_27scan_by_key_config_selectorIiiEEZZNS1_16scan_by_key_implILNS1_25lookback_scan_determinismE0ELb0ES3_N6thrust23THRUST_200600_302600_NS16reverse_iteratorIPKiEESD_NSA_IPiEEiN6hipcub16HIPCUB_304000_NS3MaxENSH_8EqualityEiEE10hipError_tPvRmT2_T3_T4_T5_mT6_T7_P12ihipStream_tbENKUlT_T0_E_clISt17integral_constantIbLb1EESZ_IbLb0EEEEDaSV_SW_EUlSV_E_NS1_11comp_targetILNS1_3genE5ELNS1_11target_archE942ELNS1_3gpuE9ELNS1_3repE0EEENS1_30default_config_static_selectorELNS0_4arch9wavefront6targetE1EEEvT1_,comdat
	.protected	_ZN7rocprim17ROCPRIM_400000_NS6detail17trampoline_kernelINS0_14default_configENS1_27scan_by_key_config_selectorIiiEEZZNS1_16scan_by_key_implILNS1_25lookback_scan_determinismE0ELb0ES3_N6thrust23THRUST_200600_302600_NS16reverse_iteratorIPKiEESD_NSA_IPiEEiN6hipcub16HIPCUB_304000_NS3MaxENSH_8EqualityEiEE10hipError_tPvRmT2_T3_T4_T5_mT6_T7_P12ihipStream_tbENKUlT_T0_E_clISt17integral_constantIbLb1EESZ_IbLb0EEEEDaSV_SW_EUlSV_E_NS1_11comp_targetILNS1_3genE5ELNS1_11target_archE942ELNS1_3gpuE9ELNS1_3repE0EEENS1_30default_config_static_selectorELNS0_4arch9wavefront6targetE1EEEvT1_ ; -- Begin function _ZN7rocprim17ROCPRIM_400000_NS6detail17trampoline_kernelINS0_14default_configENS1_27scan_by_key_config_selectorIiiEEZZNS1_16scan_by_key_implILNS1_25lookback_scan_determinismE0ELb0ES3_N6thrust23THRUST_200600_302600_NS16reverse_iteratorIPKiEESD_NSA_IPiEEiN6hipcub16HIPCUB_304000_NS3MaxENSH_8EqualityEiEE10hipError_tPvRmT2_T3_T4_T5_mT6_T7_P12ihipStream_tbENKUlT_T0_E_clISt17integral_constantIbLb1EESZ_IbLb0EEEEDaSV_SW_EUlSV_E_NS1_11comp_targetILNS1_3genE5ELNS1_11target_archE942ELNS1_3gpuE9ELNS1_3repE0EEENS1_30default_config_static_selectorELNS0_4arch9wavefront6targetE1EEEvT1_
	.globl	_ZN7rocprim17ROCPRIM_400000_NS6detail17trampoline_kernelINS0_14default_configENS1_27scan_by_key_config_selectorIiiEEZZNS1_16scan_by_key_implILNS1_25lookback_scan_determinismE0ELb0ES3_N6thrust23THRUST_200600_302600_NS16reverse_iteratorIPKiEESD_NSA_IPiEEiN6hipcub16HIPCUB_304000_NS3MaxENSH_8EqualityEiEE10hipError_tPvRmT2_T3_T4_T5_mT6_T7_P12ihipStream_tbENKUlT_T0_E_clISt17integral_constantIbLb1EESZ_IbLb0EEEEDaSV_SW_EUlSV_E_NS1_11comp_targetILNS1_3genE5ELNS1_11target_archE942ELNS1_3gpuE9ELNS1_3repE0EEENS1_30default_config_static_selectorELNS0_4arch9wavefront6targetE1EEEvT1_
	.p2align	8
	.type	_ZN7rocprim17ROCPRIM_400000_NS6detail17trampoline_kernelINS0_14default_configENS1_27scan_by_key_config_selectorIiiEEZZNS1_16scan_by_key_implILNS1_25lookback_scan_determinismE0ELb0ES3_N6thrust23THRUST_200600_302600_NS16reverse_iteratorIPKiEESD_NSA_IPiEEiN6hipcub16HIPCUB_304000_NS3MaxENSH_8EqualityEiEE10hipError_tPvRmT2_T3_T4_T5_mT6_T7_P12ihipStream_tbENKUlT_T0_E_clISt17integral_constantIbLb1EESZ_IbLb0EEEEDaSV_SW_EUlSV_E_NS1_11comp_targetILNS1_3genE5ELNS1_11target_archE942ELNS1_3gpuE9ELNS1_3repE0EEENS1_30default_config_static_selectorELNS0_4arch9wavefront6targetE1EEEvT1_,@function
_ZN7rocprim17ROCPRIM_400000_NS6detail17trampoline_kernelINS0_14default_configENS1_27scan_by_key_config_selectorIiiEEZZNS1_16scan_by_key_implILNS1_25lookback_scan_determinismE0ELb0ES3_N6thrust23THRUST_200600_302600_NS16reverse_iteratorIPKiEESD_NSA_IPiEEiN6hipcub16HIPCUB_304000_NS3MaxENSH_8EqualityEiEE10hipError_tPvRmT2_T3_T4_T5_mT6_T7_P12ihipStream_tbENKUlT_T0_E_clISt17integral_constantIbLb1EESZ_IbLb0EEEEDaSV_SW_EUlSV_E_NS1_11comp_targetILNS1_3genE5ELNS1_11target_archE942ELNS1_3gpuE9ELNS1_3repE0EEENS1_30default_config_static_selectorELNS0_4arch9wavefront6targetE1EEEvT1_: ; @_ZN7rocprim17ROCPRIM_400000_NS6detail17trampoline_kernelINS0_14default_configENS1_27scan_by_key_config_selectorIiiEEZZNS1_16scan_by_key_implILNS1_25lookback_scan_determinismE0ELb0ES3_N6thrust23THRUST_200600_302600_NS16reverse_iteratorIPKiEESD_NSA_IPiEEiN6hipcub16HIPCUB_304000_NS3MaxENSH_8EqualityEiEE10hipError_tPvRmT2_T3_T4_T5_mT6_T7_P12ihipStream_tbENKUlT_T0_E_clISt17integral_constantIbLb1EESZ_IbLb0EEEEDaSV_SW_EUlSV_E_NS1_11comp_targetILNS1_3genE5ELNS1_11target_archE942ELNS1_3gpuE9ELNS1_3repE0EEENS1_30default_config_static_selectorELNS0_4arch9wavefront6targetE1EEEvT1_
; %bb.0:
	s_load_dwordx8 s[48:55], s[0:1], 0x0
	s_load_dwordx4 s[64:67], s[0:1], 0x28
	s_load_dwordx2 s[70:71], s[0:1], 0x38
	s_load_dword s3, s[0:1], 0x40
	s_load_dwordx8 s[56:63], s[0:1], 0x48
	s_waitcnt lgkmcnt(0)
	s_sub_u32 s68, 0, s50
	s_subb_u32 s69, 0, s51
	s_lshl_b64 s[0:1], s[50:51], 2
	s_sub_u32 s4, s48, s0
	s_subb_u32 s5, s49, s1
	s_sub_u32 s6, s52, s0
	s_subb_u32 s7, s53, s1
	s_mul_i32 s0, s71, s3
	s_mul_hi_u32 s1, s70, s3
	s_add_i32 s8, s1, s0
	s_cmp_eq_u64 s[60:61], 0
	s_mul_i32 s0, s2, 0x1700
	s_cselect_b64 s[72:73], -1, 0
	s_mov_b32 s1, 0
	s_sub_u32 s60, 0, s0
	s_subb_u32 s61, 0, 0
	s_lshl_b64 s[0:1], s[0:1], 2
	s_mul_i32 s9, s70, s3
	s_sub_u32 s3, s4, s0
	s_subb_u32 s67, s5, s1
	s_sub_u32 s52, s6, s0
	s_subb_u32 s53, s7, s1
	s_add_u32 s74, s9, s2
	s_addc_u32 s75, s8, 0
	s_add_u32 s4, s56, -1
	s_addc_u32 s5, s57, -1
	v_mov_b64_e32 v[2:3], s[4:5]
	v_cmp_ge_u64_e64 s[0:1], s[74:75], v[2:3]
	s_mov_b64 s[12:13], 0
	s_mov_b64 s[6:7], -1
	s_and_b64 vcc, exec, s[0:1]
	s_mul_i32 s33, s4, 0xffffe900
	s_barrier
	s_cbranch_vccz .LBB75_71
; %bb.1:
	v_mov_b32_e32 v1, s67
	v_add_co_u32_e64 v2, vcc, -4, s3
	s_add_i32 s80, s33, s66
	s_nop 0
	v_addc_co_u32_e32 v3, vcc, -1, v1, vcc
	flat_load_dword v1, v[2:3]
	s_add_u32 s76, s3, -4
	s_addc_u32 s77, s67, -1
	v_cmp_gt_u32_e32 vcc, s80, v0
	s_waitcnt vmcnt(0) lgkmcnt(0)
	v_mov_b32_e32 v4, v1
	s_and_saveexec_b64 s[6:7], vcc
	s_cbranch_execz .LBB75_3
; %bb.2:
	v_lshlrev_b32_e32 v2, 2, v0
	v_mov_b32_e32 v3, s77
	v_sub_co_u32_e64 v2, s[4:5], s76, v2
	s_nop 1
	v_subbrev_co_u32_e64 v3, s[4:5], 0, v3, s[4:5]
	flat_load_dword v4, v[2:3]
.LBB75_3:
	s_or_b64 exec, exec, s[6:7]
	v_or_b32_e32 v2, 0x100, v0
	v_cmp_gt_u32_e64 s[48:49], s80, v2
	v_mov_b32_e32 v5, v1
	s_and_saveexec_b64 s[6:7], s[48:49]
	s_cbranch_execz .LBB75_5
; %bb.4:
	v_lshlrev_b32_e32 v3, 2, v2
	v_mov_b32_e32 v5, s77
	v_sub_co_u32_e64 v6, s[4:5], s76, v3
	s_nop 1
	v_subbrev_co_u32_e64 v7, s[4:5], 0, v5, s[4:5]
	flat_load_dword v5, v[6:7]
.LBB75_5:
	s_or_b64 exec, exec, s[6:7]
	v_or_b32_e32 v3, 0x200, v0
	v_cmp_gt_u32_e64 s[4:5], s80, v3
	v_mov_b32_e32 v6, v1
	s_and_saveexec_b64 s[8:9], s[4:5]
	;; [unrolled: 14-line block ×21, first 2 shown]
	s_cbranch_execz .LBB75_45
; %bb.44:
	v_lshlrev_b32_e32 v28, 2, v29
	v_mov_b32_e32 v30, s77
	v_sub_co_u32_e64 v46, s[46:47], s76, v28
	s_nop 1
	v_subbrev_co_u32_e64 v47, s[46:47], 0, v30, s[46:47]
	flat_load_dword v46, v[46:47]
.LBB75_45:
	s_or_b64 exec, exec, s[50:51]
	v_or_b32_e32 v30, 0x1600, v0
	v_cmp_gt_u32_e64 s[46:47], s80, v30
	s_and_saveexec_b64 s[56:57], s[46:47]
	s_cbranch_execz .LBB75_47
; %bb.46:
	v_lshlrev_b32_e32 v1, 2, v30
	v_mov_b32_e32 v28, s77
	v_sub_co_u32_e64 v48, s[50:51], s76, v1
	s_nop 1
	v_subbrev_co_u32_e64 v49, s[50:51], 0, v28, s[50:51]
	flat_load_dword v1, v[48:49]
.LBB75_47:
	s_or_b64 exec, exec, s[56:57]
	s_lshl_b64 s[50:51], s[74:75], 2
	s_add_u32 s50, s62, s50
	s_addc_u32 s51, s63, s51
	s_add_u32 s56, s50, -4
	s_addc_u32 s57, s51, -1
	s_and_b64 s[50:51], s[72:73], exec
	s_cselect_b32 s50, s3, s56
	s_cselect_b32 s51, s67, s57
	s_cmp_eq_u64 s[74:75], 0
	v_lshlrev_b32_e32 v28, 2, v0
	s_cselect_b32 s51, s77, s51
	s_cselect_b32 s50, s76, s50
	s_waitcnt vmcnt(0) lgkmcnt(0)
	ds_write2st64_b32 v28, v4, v5 offset1:4
	ds_write2st64_b32 v28, v6, v7 offset0:8 offset1:12
	ds_write2st64_b32 v28, v8, v9 offset0:16 offset1:20
	ds_write2st64_b32 v28, v31, v32 offset0:24 offset1:28
	ds_write2st64_b32 v28, v33, v34 offset0:32 offset1:36
	ds_write2st64_b32 v28, v35, v36 offset0:40 offset1:44
	ds_write2st64_b32 v28, v37, v38 offset0:48 offset1:52
	ds_write2st64_b32 v28, v39, v40 offset0:56 offset1:60
	ds_write2st64_b32 v28, v41, v42 offset0:64 offset1:68
	ds_write2st64_b32 v28, v43, v44 offset0:72 offset1:76
	ds_write2st64_b32 v28, v45, v46 offset0:80 offset1:84
	ds_write_b32 v28, v1 offset:22528
	v_mov_b32_e32 v4, s50
	v_mov_b32_e32 v5, s51
	s_waitcnt lgkmcnt(0)
	s_barrier
	flat_load_dword v70, v[4:5]
	s_movk_i32 s50, 0x58
	v_mad_u32_u24 v1, v0, s50, v28
	s_movk_i32 s50, 0xffa8
	ds_read2_b32 v[68:69], v1 offset1:1
	ds_read2_b32 v[66:67], v1 offset0:2 offset1:3
	ds_read2_b32 v[64:65], v1 offset0:4 offset1:5
	;; [unrolled: 1-line block ×6, first 2 shown]
	ds_read_b32 v72, v1 offset:88
	ds_read2_b32 v[60:61], v1 offset0:8 offset1:9
	ds_read2_b32 v[58:59], v1 offset0:10 offset1:11
	;; [unrolled: 1-line block ×4, first 2 shown]
	v_mad_i32_i24 v31, v0, s50, v1
	v_cmp_ne_u32_e64 s[50:51], 0, v0
	s_waitcnt lgkmcnt(0)
	ds_write_b32 v31, v72 offset:23552
	s_waitcnt lgkmcnt(0)
	s_barrier
	s_and_saveexec_b64 s[56:57], s[50:51]
	s_cbranch_execz .LBB75_49
; %bb.48:
	v_mul_i32_i24_e32 v31, 0xffffffa8, v0
	v_add_u32_e32 v31, v1, v31
	s_waitcnt vmcnt(0)
	ds_read_b32 v70, v31 offset:23548
.LBB75_49:
	s_or_b64 exec, exec, s[56:57]
	s_add_u32 s56, s52, -4
	s_addc_u32 s57, s53, -1
	s_waitcnt lgkmcnt(0)
	s_barrier
	s_waitcnt lgkmcnt(0)
                                        ; implicit-def: $vgpr31
	s_and_saveexec_b64 s[50:51], vcc
	s_cbranch_execz .LBB75_72
; %bb.50:
	v_mov_b32_e32 v31, s57
	v_sub_co_u32_e32 v32, vcc, s56, v28
	s_nop 1
	v_subbrev_co_u32_e32 v33, vcc, 0, v31, vcc
	flat_load_dword v31, v[32:33]
	s_or_b64 exec, exec, s[50:51]
                                        ; implicit-def: $vgpr32
	s_and_saveexec_b64 s[50:51], s[48:49]
	s_cbranch_execnz .LBB75_73
.LBB75_51:
	s_or_b64 exec, exec, s[50:51]
                                        ; implicit-def: $vgpr2
	s_and_saveexec_b64 s[48:49], s[4:5]
	s_cbranch_execz .LBB75_74
.LBB75_52:
	v_lshlrev_b32_e32 v2, 2, v3
	v_mov_b32_e32 v3, s57
	v_sub_co_u32_e32 v2, vcc, s56, v2
	s_nop 1
	v_subbrev_co_u32_e32 v3, vcc, 0, v3, vcc
	flat_load_dword v2, v[2:3]
	s_or_b64 exec, exec, s[48:49]
                                        ; implicit-def: $vgpr3
	s_and_saveexec_b64 s[4:5], s[6:7]
	s_cbranch_execnz .LBB75_75
.LBB75_53:
	s_or_b64 exec, exec, s[4:5]
                                        ; implicit-def: $vgpr10
	s_and_saveexec_b64 s[4:5], s[8:9]
	s_cbranch_execz .LBB75_76
.LBB75_54:
	v_lshlrev_b32_e32 v10, 2, v11
	v_mov_b32_e32 v11, s57
	v_sub_co_u32_e32 v10, vcc, s56, v10
	s_nop 1
	v_subbrev_co_u32_e32 v11, vcc, 0, v11, vcc
	flat_load_dword v10, v[10:11]
	s_or_b64 exec, exec, s[4:5]
                                        ; implicit-def: $vgpr11
	s_and_saveexec_b64 s[4:5], s[10:11]
	s_cbranch_execnz .LBB75_77
.LBB75_55:
	s_or_b64 exec, exec, s[4:5]
                                        ; implicit-def: $vgpr12
	s_and_saveexec_b64 s[4:5], s[12:13]
	s_cbranch_execz .LBB75_78
.LBB75_56:
	v_lshlrev_b32_e32 v12, 2, v13
	v_mov_b32_e32 v13, s57
	v_sub_co_u32_e32 v12, vcc, s56, v12
	s_nop 1
	v_subbrev_co_u32_e32 v13, vcc, 0, v13, vcc
	flat_load_dword v12, v[12:13]
	s_or_b64 exec, exec, s[4:5]
                                        ; implicit-def: $vgpr13
	s_and_saveexec_b64 s[4:5], s[14:15]
	s_cbranch_execnz .LBB75_79
.LBB75_57:
	s_or_b64 exec, exec, s[4:5]
                                        ; implicit-def: $vgpr14
	s_and_saveexec_b64 s[4:5], s[16:17]
	s_cbranch_execz .LBB75_80
.LBB75_58:
	v_lshlrev_b32_e32 v14, 2, v15
	v_mov_b32_e32 v15, s57
	v_sub_co_u32_e32 v14, vcc, s56, v14
	s_nop 1
	v_subbrev_co_u32_e32 v15, vcc, 0, v15, vcc
	flat_load_dword v14, v[14:15]
	s_or_b64 exec, exec, s[4:5]
                                        ; implicit-def: $vgpr15
	s_and_saveexec_b64 s[4:5], s[18:19]
	s_cbranch_execnz .LBB75_81
.LBB75_59:
	s_or_b64 exec, exec, s[4:5]
                                        ; implicit-def: $vgpr16
	s_and_saveexec_b64 s[4:5], s[20:21]
	s_cbranch_execz .LBB75_82
.LBB75_60:
	v_lshlrev_b32_e32 v16, 2, v17
	v_mov_b32_e32 v17, s57
	v_sub_co_u32_e32 v16, vcc, s56, v16
	s_nop 1
	v_subbrev_co_u32_e32 v17, vcc, 0, v17, vcc
	flat_load_dword v16, v[16:17]
	s_or_b64 exec, exec, s[4:5]
                                        ; implicit-def: $vgpr17
	s_and_saveexec_b64 s[4:5], s[22:23]
	s_cbranch_execnz .LBB75_83
.LBB75_61:
	s_or_b64 exec, exec, s[4:5]
                                        ; implicit-def: $vgpr18
	s_and_saveexec_b64 s[4:5], s[24:25]
	s_cbranch_execz .LBB75_84
.LBB75_62:
	v_lshlrev_b32_e32 v18, 2, v19
	v_mov_b32_e32 v19, s57
	v_sub_co_u32_e32 v18, vcc, s56, v18
	s_nop 1
	v_subbrev_co_u32_e32 v19, vcc, 0, v19, vcc
	flat_load_dword v18, v[18:19]
	s_or_b64 exec, exec, s[4:5]
                                        ; implicit-def: $vgpr19
	s_and_saveexec_b64 s[4:5], s[26:27]
	s_cbranch_execnz .LBB75_85
.LBB75_63:
	s_or_b64 exec, exec, s[4:5]
                                        ; implicit-def: $vgpr20
	s_and_saveexec_b64 s[4:5], s[28:29]
	s_cbranch_execz .LBB75_86
.LBB75_64:
	v_lshlrev_b32_e32 v20, 2, v21
	v_mov_b32_e32 v21, s57
	v_sub_co_u32_e32 v20, vcc, s56, v20
	s_nop 1
	v_subbrev_co_u32_e32 v21, vcc, 0, v21, vcc
	flat_load_dword v20, v[20:21]
	s_or_b64 exec, exec, s[4:5]
                                        ; implicit-def: $vgpr21
	s_and_saveexec_b64 s[4:5], s[30:31]
	s_cbranch_execnz .LBB75_87
.LBB75_65:
	s_or_b64 exec, exec, s[4:5]
                                        ; implicit-def: $vgpr22
	s_and_saveexec_b64 s[4:5], s[34:35]
	s_cbranch_execz .LBB75_88
.LBB75_66:
	v_lshlrev_b32_e32 v22, 2, v23
	v_mov_b32_e32 v23, s57
	v_sub_co_u32_e32 v22, vcc, s56, v22
	s_nop 1
	v_subbrev_co_u32_e32 v23, vcc, 0, v23, vcc
	flat_load_dword v22, v[22:23]
	s_or_b64 exec, exec, s[4:5]
                                        ; implicit-def: $vgpr23
	s_and_saveexec_b64 s[4:5], s[36:37]
	s_cbranch_execnz .LBB75_89
.LBB75_67:
	s_or_b64 exec, exec, s[4:5]
                                        ; implicit-def: $vgpr24
	s_and_saveexec_b64 s[4:5], s[38:39]
	s_cbranch_execz .LBB75_90
.LBB75_68:
	v_lshlrev_b32_e32 v24, 2, v25
	v_mov_b32_e32 v25, s57
	v_sub_co_u32_e32 v24, vcc, s56, v24
	s_nop 1
	v_subbrev_co_u32_e32 v25, vcc, 0, v25, vcc
	flat_load_dword v24, v[24:25]
	s_or_b64 exec, exec, s[4:5]
                                        ; implicit-def: $vgpr25
	s_and_saveexec_b64 s[4:5], s[40:41]
	s_cbranch_execnz .LBB75_91
.LBB75_69:
	s_or_b64 exec, exec, s[4:5]
                                        ; implicit-def: $vgpr26
	s_and_saveexec_b64 s[4:5], s[42:43]
	s_cbranch_execz .LBB75_92
.LBB75_70:
	v_lshlrev_b32_e32 v26, 2, v27
	v_mov_b32_e32 v27, s57
	v_sub_co_u32_e32 v26, vcc, s56, v26
	s_nop 1
	v_subbrev_co_u32_e32 v27, vcc, 0, v27, vcc
	flat_load_dword v26, v[26:27]
	s_or_b64 exec, exec, s[4:5]
                                        ; implicit-def: $vgpr27
	s_and_saveexec_b64 s[4:5], s[44:45]
	s_cbranch_execz .LBB75_94
	s_branch .LBB75_93
.LBB75_71:
                                        ; implicit-def: $sgpr10_sgpr11
                                        ; implicit-def: $vgpr3
                                        ; implicit-def: $vgpr10_vgpr11
                                        ; implicit-def: $vgpr12_vgpr13
                                        ; implicit-def: $vgpr14_vgpr15
                                        ; implicit-def: $vgpr16_vgpr17
                                        ; implicit-def: $vgpr18_vgpr19
                                        ; implicit-def: $vgpr20_vgpr21
                                        ; implicit-def: $vgpr22_vgpr23
                                        ; implicit-def: $vgpr24_vgpr25
                                        ; implicit-def: $vgpr26_vgpr27
                                        ; implicit-def: $vgpr28_vgpr29
                                        ; implicit-def: $vgpr30_vgpr31
                                        ; implicit-def: $vgpr32_vgpr33
                                        ; implicit-def: $vgpr34_vgpr35
                                        ; implicit-def: $vgpr36_vgpr37
                                        ; implicit-def: $vgpr38_vgpr39
                                        ; implicit-def: $vgpr40_vgpr41
                                        ; implicit-def: $vgpr42_vgpr43
                                        ; implicit-def: $vgpr44_vgpr45
                                        ; implicit-def: $vgpr46_vgpr47
                                        ; implicit-def: $vgpr48_vgpr49
                                        ; implicit-def: $vgpr50_vgpr51
                                        ; implicit-def: $vgpr52_vgpr53
                                        ; implicit-def: $sgpr8_sgpr9
	s_and_b64 vcc, exec, s[6:7]
	v_lshlrev_b32_e32 v1, 2, v0
	v_cmp_ne_u32_e64 s[4:5], 0, v0
	s_cbranch_vccz .LBB75_144
	s_branch .LBB75_141
.LBB75_72:
	s_or_b64 exec, exec, s[50:51]
                                        ; implicit-def: $vgpr32
	s_and_saveexec_b64 s[50:51], s[48:49]
	s_cbranch_execz .LBB75_51
.LBB75_73:
	v_lshlrev_b32_e32 v2, 2, v2
	v_mov_b32_e32 v33, s57
	v_sub_co_u32_e32 v32, vcc, s56, v2
	s_nop 1
	v_subbrev_co_u32_e32 v33, vcc, 0, v33, vcc
	flat_load_dword v32, v[32:33]
	s_or_b64 exec, exec, s[50:51]
                                        ; implicit-def: $vgpr2
	s_and_saveexec_b64 s[48:49], s[4:5]
	s_cbranch_execnz .LBB75_52
.LBB75_74:
	s_or_b64 exec, exec, s[48:49]
                                        ; implicit-def: $vgpr3
	s_and_saveexec_b64 s[4:5], s[6:7]
	s_cbranch_execz .LBB75_53
.LBB75_75:
	v_lshlrev_b32_e32 v3, 2, v10
	v_mov_b32_e32 v10, s57
	v_sub_co_u32_e32 v34, vcc, s56, v3
	s_nop 1
	v_subbrev_co_u32_e32 v35, vcc, 0, v10, vcc
	flat_load_dword v3, v[34:35]
	s_or_b64 exec, exec, s[4:5]
                                        ; implicit-def: $vgpr10
	s_and_saveexec_b64 s[4:5], s[8:9]
	s_cbranch_execnz .LBB75_54
.LBB75_76:
	s_or_b64 exec, exec, s[4:5]
                                        ; implicit-def: $vgpr11
	s_and_saveexec_b64 s[4:5], s[10:11]
	s_cbranch_execz .LBB75_55
.LBB75_77:
	v_lshlrev_b32_e32 v11, 2, v12
	v_mov_b32_e32 v12, s57
	v_sub_co_u32_e32 v34, vcc, s56, v11
	s_nop 1
	v_subbrev_co_u32_e32 v35, vcc, 0, v12, vcc
	flat_load_dword v11, v[34:35]
	s_or_b64 exec, exec, s[4:5]
                                        ; implicit-def: $vgpr12
	s_and_saveexec_b64 s[4:5], s[12:13]
	s_cbranch_execnz .LBB75_56
.LBB75_78:
	s_or_b64 exec, exec, s[4:5]
                                        ; implicit-def: $vgpr13
	s_and_saveexec_b64 s[4:5], s[14:15]
	s_cbranch_execz .LBB75_57
.LBB75_79:
	v_lshlrev_b32_e32 v13, 2, v14
	v_mov_b32_e32 v14, s57
	v_sub_co_u32_e32 v34, vcc, s56, v13
	s_nop 1
	v_subbrev_co_u32_e32 v35, vcc, 0, v14, vcc
	flat_load_dword v13, v[34:35]
	s_or_b64 exec, exec, s[4:5]
                                        ; implicit-def: $vgpr14
	s_and_saveexec_b64 s[4:5], s[16:17]
	s_cbranch_execnz .LBB75_58
.LBB75_80:
	s_or_b64 exec, exec, s[4:5]
                                        ; implicit-def: $vgpr15
	s_and_saveexec_b64 s[4:5], s[18:19]
	s_cbranch_execz .LBB75_59
.LBB75_81:
	v_lshlrev_b32_e32 v15, 2, v16
	v_mov_b32_e32 v16, s57
	v_sub_co_u32_e32 v34, vcc, s56, v15
	s_nop 1
	v_subbrev_co_u32_e32 v35, vcc, 0, v16, vcc
	flat_load_dword v15, v[34:35]
	s_or_b64 exec, exec, s[4:5]
                                        ; implicit-def: $vgpr16
	s_and_saveexec_b64 s[4:5], s[20:21]
	s_cbranch_execnz .LBB75_60
.LBB75_82:
	s_or_b64 exec, exec, s[4:5]
                                        ; implicit-def: $vgpr17
	s_and_saveexec_b64 s[4:5], s[22:23]
	s_cbranch_execz .LBB75_61
.LBB75_83:
	v_lshlrev_b32_e32 v17, 2, v18
	v_mov_b32_e32 v18, s57
	v_sub_co_u32_e32 v34, vcc, s56, v17
	s_nop 1
	v_subbrev_co_u32_e32 v35, vcc, 0, v18, vcc
	flat_load_dword v17, v[34:35]
	s_or_b64 exec, exec, s[4:5]
                                        ; implicit-def: $vgpr18
	s_and_saveexec_b64 s[4:5], s[24:25]
	s_cbranch_execnz .LBB75_62
.LBB75_84:
	s_or_b64 exec, exec, s[4:5]
                                        ; implicit-def: $vgpr19
	s_and_saveexec_b64 s[4:5], s[26:27]
	s_cbranch_execz .LBB75_63
.LBB75_85:
	v_lshlrev_b32_e32 v19, 2, v20
	v_mov_b32_e32 v20, s57
	v_sub_co_u32_e32 v34, vcc, s56, v19
	s_nop 1
	v_subbrev_co_u32_e32 v35, vcc, 0, v20, vcc
	flat_load_dword v19, v[34:35]
	s_or_b64 exec, exec, s[4:5]
                                        ; implicit-def: $vgpr20
	s_and_saveexec_b64 s[4:5], s[28:29]
	s_cbranch_execnz .LBB75_64
.LBB75_86:
	s_or_b64 exec, exec, s[4:5]
                                        ; implicit-def: $vgpr21
	s_and_saveexec_b64 s[4:5], s[30:31]
	s_cbranch_execz .LBB75_65
.LBB75_87:
	v_lshlrev_b32_e32 v21, 2, v22
	v_mov_b32_e32 v22, s57
	v_sub_co_u32_e32 v34, vcc, s56, v21
	s_nop 1
	v_subbrev_co_u32_e32 v35, vcc, 0, v22, vcc
	flat_load_dword v21, v[34:35]
	s_or_b64 exec, exec, s[4:5]
                                        ; implicit-def: $vgpr22
	s_and_saveexec_b64 s[4:5], s[34:35]
	s_cbranch_execnz .LBB75_66
.LBB75_88:
	s_or_b64 exec, exec, s[4:5]
                                        ; implicit-def: $vgpr23
	s_and_saveexec_b64 s[4:5], s[36:37]
	s_cbranch_execz .LBB75_67
.LBB75_89:
	v_lshlrev_b32_e32 v23, 2, v24
	v_mov_b32_e32 v24, s57
	v_sub_co_u32_e32 v34, vcc, s56, v23
	s_nop 1
	v_subbrev_co_u32_e32 v35, vcc, 0, v24, vcc
	flat_load_dword v23, v[34:35]
	s_or_b64 exec, exec, s[4:5]
                                        ; implicit-def: $vgpr24
	s_and_saveexec_b64 s[4:5], s[38:39]
	s_cbranch_execnz .LBB75_68
.LBB75_90:
	s_or_b64 exec, exec, s[4:5]
                                        ; implicit-def: $vgpr25
	s_and_saveexec_b64 s[4:5], s[40:41]
	s_cbranch_execz .LBB75_69
.LBB75_91:
	v_lshlrev_b32_e32 v25, 2, v26
	v_mov_b32_e32 v26, s57
	v_sub_co_u32_e32 v34, vcc, s56, v25
	s_nop 1
	v_subbrev_co_u32_e32 v35, vcc, 0, v26, vcc
	flat_load_dword v25, v[34:35]
	s_or_b64 exec, exec, s[4:5]
                                        ; implicit-def: $vgpr26
	s_and_saveexec_b64 s[4:5], s[42:43]
	s_cbranch_execnz .LBB75_70
.LBB75_92:
	s_or_b64 exec, exec, s[4:5]
                                        ; implicit-def: $vgpr27
	s_and_saveexec_b64 s[4:5], s[44:45]
	s_cbranch_execz .LBB75_94
.LBB75_93:
	v_lshlrev_b32_e32 v27, 2, v29
	v_mov_b32_e32 v29, s57
	v_sub_co_u32_e32 v34, vcc, s56, v27
	s_nop 1
	v_subbrev_co_u32_e32 v35, vcc, 0, v29, vcc
	flat_load_dword v27, v[34:35]
.LBB75_94:
	s_or_b64 exec, exec, s[4:5]
	v_mul_u32_u24_e32 v73, 23, v0
                                        ; implicit-def: $vgpr29
	s_and_saveexec_b64 s[4:5], s[46:47]
	s_cbranch_execz .LBB75_96
; %bb.95:
	v_lshlrev_b32_e32 v29, 2, v30
	v_mov_b32_e32 v30, s57
	v_sub_co_u32_e32 v34, vcc, s56, v29
	s_nop 1
	v_subbrev_co_u32_e32 v35, vcc, 0, v30, vcc
	flat_load_dword v29, v[34:35]
.LBB75_96:
	s_or_b64 exec, exec, s[4:5]
	s_waitcnt vmcnt(0) lgkmcnt(0)
	ds_write2st64_b32 v28, v31, v32 offset1:4
	ds_write2st64_b32 v28, v2, v3 offset0:8 offset1:12
	ds_write2st64_b32 v28, v10, v11 offset0:16 offset1:20
	;; [unrolled: 1-line block ×10, first 2 shown]
	ds_write_b32 v28, v29 offset:22528
	v_mov_b64_e32 v[10:11], 0
	v_cmp_gt_u32_e32 vcc, s80, v73
	s_mov_b64 s[12:13], 0
	s_mov_b64 s[6:7], 0
	v_mov_b64_e32 v[12:13], v[10:11]
	v_mov_b64_e32 v[14:15], v[10:11]
	;; [unrolled: 1-line block ×21, first 2 shown]
	s_waitcnt lgkmcnt(0)
	s_barrier
	s_waitcnt lgkmcnt(0)
                                        ; implicit-def: $sgpr10_sgpr11
                                        ; implicit-def: $vgpr3
	s_and_saveexec_b64 s[8:9], vcc
	s_cbranch_execz .LBB75_140
; %bb.97:
	ds_read_b32 v10, v1
	v_add_u32_e32 v2, 1, v73
	v_cmp_ne_u32_e32 vcc, v70, v68
	v_mov_b64_e32 v[12:13], 0
	s_mov_b64 s[4:5], 0
	v_cndmask_b32_e64 v11, 0, 1, vcc
	v_cmp_gt_u32_e32 vcc, s80, v2
	v_mov_b64_e32 v[14:15], v[12:13]
	v_mov_b64_e32 v[16:17], v[12:13]
	;; [unrolled: 1-line block ×20, first 2 shown]
                                        ; implicit-def: $sgpr14_sgpr15
                                        ; implicit-def: $vgpr3
	s_and_saveexec_b64 s[10:11], vcc
	s_cbranch_execz .LBB75_139
; %bb.98:
	ds_read2_b32 v[70:71], v1 offset0:1 offset1:2
	v_add_u32_e32 v2, 2, v73
	v_cmp_ne_u32_e32 vcc, v68, v69
	v_mov_b64_e32 v[14:15], 0
	s_mov_b64 s[16:17], 0
	v_cndmask_b32_e64 v13, 0, 1, vcc
	v_cmp_gt_u32_e32 vcc, s80, v2
	s_waitcnt lgkmcnt(0)
	v_mov_b32_e32 v12, v70
	v_mov_b64_e32 v[16:17], v[14:15]
	v_mov_b64_e32 v[18:19], v[14:15]
	v_mov_b64_e32 v[20:21], v[14:15]
	v_mov_b64_e32 v[22:23], v[14:15]
	v_mov_b64_e32 v[24:25], v[14:15]
	v_mov_b64_e32 v[26:27], v[14:15]
	v_mov_b64_e32 v[28:29], v[14:15]
	v_mov_b64_e32 v[30:31], v[14:15]
	v_mov_b64_e32 v[32:33], v[14:15]
	v_mov_b64_e32 v[34:35], v[14:15]
	v_mov_b64_e32 v[36:37], v[14:15]
	v_mov_b64_e32 v[38:39], v[14:15]
	v_mov_b64_e32 v[40:41], v[14:15]
	v_mov_b64_e32 v[42:43], v[14:15]
	v_mov_b64_e32 v[44:45], v[14:15]
	v_mov_b64_e32 v[46:47], v[14:15]
	v_mov_b64_e32 v[48:49], v[14:15]
	v_mov_b64_e32 v[50:51], v[14:15]
	v_mov_b64_e32 v[52:53], v[14:15]
                                        ; implicit-def: $sgpr14_sgpr15
                                        ; implicit-def: $vgpr3
	s_and_saveexec_b64 s[12:13], vcc
	s_cbranch_execz .LBB75_138
; %bb.99:
	v_add_u32_e32 v2, 3, v73
	v_cmp_ne_u32_e32 vcc, v69, v66
	v_mov_b64_e32 v[16:17], 0
	v_mov_b32_e32 v14, v71
	v_cndmask_b32_e64 v15, 0, 1, vcc
	v_cmp_gt_u32_e32 vcc, s80, v2
	v_mov_b64_e32 v[18:19], v[16:17]
	v_mov_b64_e32 v[20:21], v[16:17]
	;; [unrolled: 1-line block ×18, first 2 shown]
                                        ; implicit-def: $sgpr18_sgpr19
                                        ; implicit-def: $vgpr3
	s_and_saveexec_b64 s[14:15], vcc
	s_cbranch_execz .LBB75_137
; %bb.100:
	ds_read2_b32 v[68:69], v1 offset0:3 offset1:4
	v_add_u32_e32 v2, 4, v73
	v_cmp_ne_u32_e32 vcc, v66, v67
	v_mov_b64_e32 v[18:19], 0
	s_mov_b64 s[20:21], 0
	v_cndmask_b32_e64 v17, 0, 1, vcc
	v_cmp_gt_u32_e32 vcc, s80, v2
	s_waitcnt lgkmcnt(0)
	v_mov_b32_e32 v16, v68
	v_mov_b64_e32 v[20:21], v[18:19]
	v_mov_b64_e32 v[22:23], v[18:19]
	;; [unrolled: 1-line block ×17, first 2 shown]
                                        ; implicit-def: $sgpr18_sgpr19
                                        ; implicit-def: $vgpr3
	s_and_saveexec_b64 s[16:17], vcc
	s_cbranch_execz .LBB75_136
; %bb.101:
	v_add_u32_e32 v2, 5, v73
	v_cmp_ne_u32_e32 vcc, v67, v64
	v_mov_b64_e32 v[20:21], 0
	v_mov_b32_e32 v18, v69
	v_cndmask_b32_e64 v19, 0, 1, vcc
	v_cmp_gt_u32_e32 vcc, s80, v2
	v_mov_b64_e32 v[22:23], v[20:21]
	v_mov_b64_e32 v[24:25], v[20:21]
	;; [unrolled: 1-line block ×16, first 2 shown]
                                        ; implicit-def: $sgpr22_sgpr23
                                        ; implicit-def: $vgpr3
	s_and_saveexec_b64 s[18:19], vcc
	s_cbranch_execz .LBB75_135
; %bb.102:
	ds_read2_b32 v[66:67], v1 offset0:5 offset1:6
	v_add_u32_e32 v2, 6, v73
	v_cmp_ne_u32_e32 vcc, v64, v65
	v_mov_b64_e32 v[22:23], 0
	s_mov_b64 s[24:25], 0
	v_cndmask_b32_e64 v21, 0, 1, vcc
	v_cmp_gt_u32_e32 vcc, s80, v2
	s_waitcnt lgkmcnt(0)
	v_mov_b32_e32 v20, v66
	v_mov_b64_e32 v[24:25], v[22:23]
	v_mov_b64_e32 v[26:27], v[22:23]
	;; [unrolled: 1-line block ×15, first 2 shown]
                                        ; implicit-def: $sgpr22_sgpr23
                                        ; implicit-def: $vgpr3
	s_and_saveexec_b64 s[20:21], vcc
	s_cbranch_execz .LBB75_134
; %bb.103:
	v_add_u32_e32 v2, 7, v73
	v_cmp_ne_u32_e32 vcc, v65, v62
	v_mov_b64_e32 v[24:25], 0
	v_mov_b32_e32 v22, v67
	v_cndmask_b32_e64 v23, 0, 1, vcc
	v_cmp_gt_u32_e32 vcc, s80, v2
	v_mov_b64_e32 v[26:27], v[24:25]
	v_mov_b64_e32 v[28:29], v[24:25]
	;; [unrolled: 1-line block ×14, first 2 shown]
                                        ; implicit-def: $sgpr26_sgpr27
                                        ; implicit-def: $vgpr3
	s_and_saveexec_b64 s[22:23], vcc
	s_cbranch_execz .LBB75_133
; %bb.104:
	ds_read2_b32 v[64:65], v1 offset0:7 offset1:8
	v_add_u32_e32 v2, 8, v73
	v_cmp_ne_u32_e32 vcc, v62, v63
	v_mov_b64_e32 v[26:27], 0
	s_mov_b64 s[28:29], 0
	v_cndmask_b32_e64 v25, 0, 1, vcc
	v_cmp_gt_u32_e32 vcc, s80, v2
	s_waitcnt lgkmcnt(0)
	v_mov_b32_e32 v24, v64
	v_mov_b64_e32 v[28:29], v[26:27]
	v_mov_b64_e32 v[30:31], v[26:27]
	;; [unrolled: 1-line block ×13, first 2 shown]
                                        ; implicit-def: $sgpr26_sgpr27
                                        ; implicit-def: $vgpr3
	s_and_saveexec_b64 s[24:25], vcc
	s_cbranch_execz .LBB75_132
; %bb.105:
	v_add_u32_e32 v2, 9, v73
	v_cmp_ne_u32_e32 vcc, v63, v60
	v_mov_b64_e32 v[28:29], 0
	v_mov_b32_e32 v26, v65
	v_cndmask_b32_e64 v27, 0, 1, vcc
	v_cmp_gt_u32_e32 vcc, s80, v2
	v_mov_b64_e32 v[30:31], v[28:29]
	v_mov_b64_e32 v[32:33], v[28:29]
	;; [unrolled: 1-line block ×12, first 2 shown]
                                        ; implicit-def: $sgpr30_sgpr31
                                        ; implicit-def: $vgpr3
	s_and_saveexec_b64 s[26:27], vcc
	s_cbranch_execz .LBB75_131
; %bb.106:
	ds_read2_b32 v[62:63], v1 offset0:9 offset1:10
	v_add_u32_e32 v2, 10, v73
	v_cmp_ne_u32_e32 vcc, v60, v61
	v_mov_b64_e32 v[30:31], 0
	s_mov_b64 s[34:35], 0
	v_cndmask_b32_e64 v29, 0, 1, vcc
	v_cmp_gt_u32_e32 vcc, s80, v2
	s_waitcnt lgkmcnt(0)
	v_mov_b32_e32 v28, v62
	v_mov_b64_e32 v[32:33], v[30:31]
	v_mov_b64_e32 v[34:35], v[30:31]
	;; [unrolled: 1-line block ×11, first 2 shown]
                                        ; implicit-def: $sgpr30_sgpr31
                                        ; implicit-def: $vgpr3
	s_and_saveexec_b64 s[28:29], vcc
	s_cbranch_execz .LBB75_130
; %bb.107:
	v_add_u32_e32 v2, 11, v73
	v_cmp_ne_u32_e32 vcc, v61, v58
	v_mov_b64_e32 v[32:33], 0
	v_mov_b32_e32 v30, v63
	v_cndmask_b32_e64 v31, 0, 1, vcc
	v_cmp_gt_u32_e32 vcc, s80, v2
	v_mov_b64_e32 v[34:35], v[32:33]
	v_mov_b64_e32 v[36:37], v[32:33]
	v_mov_b64_e32 v[38:39], v[32:33]
	v_mov_b64_e32 v[40:41], v[32:33]
	v_mov_b64_e32 v[42:43], v[32:33]
	v_mov_b64_e32 v[44:45], v[32:33]
	v_mov_b64_e32 v[46:47], v[32:33]
	v_mov_b64_e32 v[48:49], v[32:33]
	v_mov_b64_e32 v[50:51], v[32:33]
	v_mov_b64_e32 v[52:53], v[32:33]
                                        ; implicit-def: $sgpr36_sgpr37
                                        ; implicit-def: $vgpr3
	s_and_saveexec_b64 s[30:31], vcc
	s_cbranch_execz .LBB75_129
; %bb.108:
	ds_read2_b32 v[60:61], v1 offset0:11 offset1:12
	v_add_u32_e32 v2, 12, v73
	v_cmp_ne_u32_e32 vcc, v58, v59
	v_mov_b64_e32 v[34:35], 0
	s_mov_b64 s[38:39], 0
	v_cndmask_b32_e64 v33, 0, 1, vcc
	v_cmp_gt_u32_e32 vcc, s80, v2
	s_waitcnt lgkmcnt(0)
	v_mov_b32_e32 v32, v60
	v_mov_b64_e32 v[36:37], v[34:35]
	v_mov_b64_e32 v[38:39], v[34:35]
	;; [unrolled: 1-line block ×9, first 2 shown]
                                        ; implicit-def: $sgpr36_sgpr37
                                        ; implicit-def: $vgpr3
	s_and_saveexec_b64 s[34:35], vcc
	s_cbranch_execz .LBB75_128
; %bb.109:
	v_add_u32_e32 v2, 13, v73
	v_cmp_ne_u32_e32 vcc, v59, v56
	v_mov_b64_e32 v[36:37], 0
	v_mov_b32_e32 v34, v61
	v_cndmask_b32_e64 v35, 0, 1, vcc
	v_cmp_gt_u32_e32 vcc, s80, v2
	v_mov_b64_e32 v[38:39], v[36:37]
	v_mov_b64_e32 v[40:41], v[36:37]
	;; [unrolled: 1-line block ×8, first 2 shown]
                                        ; implicit-def: $sgpr40_sgpr41
                                        ; implicit-def: $vgpr3
	s_and_saveexec_b64 s[36:37], vcc
	s_cbranch_execz .LBB75_127
; %bb.110:
	ds_read2_b32 v[58:59], v1 offset0:13 offset1:14
	v_add_u32_e32 v2, 14, v73
	v_cmp_ne_u32_e32 vcc, v56, v57
	v_mov_b64_e32 v[38:39], 0
	s_mov_b64 s[42:43], 0
	v_cndmask_b32_e64 v37, 0, 1, vcc
	v_cmp_gt_u32_e32 vcc, s80, v2
	s_waitcnt lgkmcnt(0)
	v_mov_b32_e32 v36, v58
	v_mov_b64_e32 v[40:41], v[38:39]
	v_mov_b64_e32 v[42:43], v[38:39]
	;; [unrolled: 1-line block ×7, first 2 shown]
                                        ; implicit-def: $sgpr40_sgpr41
                                        ; implicit-def: $vgpr3
	s_and_saveexec_b64 s[38:39], vcc
	s_cbranch_execz .LBB75_126
; %bb.111:
	v_add_u32_e32 v2, 15, v73
	v_cmp_ne_u32_e32 vcc, v57, v54
	v_mov_b64_e32 v[40:41], 0
	v_mov_b32_e32 v38, v59
	v_cndmask_b32_e64 v39, 0, 1, vcc
	v_cmp_gt_u32_e32 vcc, s80, v2
	v_mov_b64_e32 v[42:43], v[40:41]
	v_mov_b64_e32 v[44:45], v[40:41]
	;; [unrolled: 1-line block ×6, first 2 shown]
                                        ; implicit-def: $sgpr44_sgpr45
                                        ; implicit-def: $vgpr3
	s_and_saveexec_b64 s[40:41], vcc
	s_cbranch_execz .LBB75_125
; %bb.112:
	ds_read2_b32 v[56:57], v1 offset0:15 offset1:16
	v_add_u32_e32 v2, 16, v73
	v_cmp_ne_u32_e32 vcc, v54, v55
	v_mov_b64_e32 v[42:43], 0
	s_mov_b64 s[46:47], 0
	v_cndmask_b32_e64 v41, 0, 1, vcc
	v_cmp_gt_u32_e32 vcc, s80, v2
	s_waitcnt lgkmcnt(0)
	v_mov_b32_e32 v40, v56
	v_mov_b64_e32 v[44:45], v[42:43]
	v_mov_b64_e32 v[46:47], v[42:43]
	;; [unrolled: 1-line block ×5, first 2 shown]
                                        ; implicit-def: $sgpr44_sgpr45
                                        ; implicit-def: $vgpr3
	s_and_saveexec_b64 s[42:43], vcc
	s_cbranch_execz .LBB75_124
; %bb.113:
	v_add_u32_e32 v2, 17, v73
	v_cmp_ne_u32_e32 vcc, v55, v8
	v_mov_b64_e32 v[44:45], 0
	v_mov_b32_e32 v42, v57
	v_cndmask_b32_e64 v43, 0, 1, vcc
	v_cmp_gt_u32_e32 vcc, s80, v2
	v_mov_b64_e32 v[46:47], v[44:45]
	v_mov_b64_e32 v[48:49], v[44:45]
	;; [unrolled: 1-line block ×4, first 2 shown]
                                        ; implicit-def: $sgpr48_sgpr49
                                        ; implicit-def: $vgpr3
	s_and_saveexec_b64 s[44:45], vcc
	s_cbranch_execz .LBB75_123
; %bb.114:
	ds_read2_b32 v[54:55], v1 offset0:17 offset1:18
	v_add_u32_e32 v2, 18, v73
	v_cmp_ne_u32_e32 vcc, v8, v9
	v_mov_b64_e32 v[46:47], 0
	s_mov_b64 s[50:51], 0
	v_cndmask_b32_e64 v45, 0, 1, vcc
	v_cmp_gt_u32_e32 vcc, s80, v2
	s_waitcnt lgkmcnt(0)
	v_mov_b32_e32 v44, v54
	v_mov_b64_e32 v[48:49], v[46:47]
	v_mov_b64_e32 v[50:51], v[46:47]
	;; [unrolled: 1-line block ×3, first 2 shown]
                                        ; implicit-def: $sgpr48_sgpr49
                                        ; implicit-def: $vgpr3
	s_and_saveexec_b64 s[46:47], vcc
	s_cbranch_execz .LBB75_122
; %bb.115:
	v_add_u32_e32 v2, 19, v73
	v_cmp_ne_u32_e32 vcc, v9, v6
	v_mov_b64_e32 v[48:49], 0
	v_mov_b32_e32 v46, v55
	v_cndmask_b32_e64 v47, 0, 1, vcc
	v_cmp_gt_u32_e32 vcc, s80, v2
	v_mov_b64_e32 v[50:51], v[48:49]
	v_mov_b64_e32 v[52:53], v[48:49]
                                        ; implicit-def: $sgpr56_sgpr57
                                        ; implicit-def: $vgpr3
	s_and_saveexec_b64 s[48:49], vcc
	s_cbranch_execz .LBB75_121
; %bb.116:
	ds_read2_b32 v[8:9], v1 offset0:19 offset1:20
	v_add_u32_e32 v2, 20, v73
	v_cmp_ne_u32_e32 vcc, v6, v7
	v_mov_b64_e32 v[50:51], 0
	s_mov_b64 s[56:57], 0
	v_cndmask_b32_e64 v49, 0, 1, vcc
	v_cmp_gt_u32_e32 vcc, s80, v2
	s_waitcnt lgkmcnt(0)
	v_mov_b32_e32 v48, v8
	v_mov_b64_e32 v[52:53], v[50:51]
                                        ; implicit-def: $sgpr76_sgpr77
                                        ; implicit-def: $vgpr3
	s_and_saveexec_b64 s[50:51], vcc
	s_cbranch_execz .LBB75_120
; %bb.117:
	v_add_u32_e32 v2, 21, v73
	v_cmp_ne_u32_e32 vcc, v7, v4
	v_mov_b32_e32 v50, v9
	v_mov_b64_e32 v[52:53], 0
	v_cndmask_b32_e64 v51, 0, 1, vcc
	v_cmp_gt_u32_e32 vcc, s80, v2
                                        ; implicit-def: $sgpr76_sgpr77
                                        ; implicit-def: $vgpr3
	s_and_saveexec_b64 s[4:5], vcc
	s_xor_b64 s[78:79], exec, s[4:5]
	s_cbranch_execz .LBB75_119
; %bb.118:
	ds_read2_b32 v[2:3], v1 offset0:21 offset1:22
	v_add_u32_e32 v1, 22, v73
	v_cmp_ne_u32_e64 s[4:5], v4, v5
	v_cmp_ne_u32_e32 vcc, v5, v72
	s_and_b64 s[76:77], vcc, exec
	v_cndmask_b32_e64 v53, 0, 1, s[4:5]
	v_cmp_gt_u32_e64 s[4:5], s80, v1
	s_waitcnt lgkmcnt(0)
	v_mov_b32_e32 v52, v2
	s_and_b64 s[56:57], s[4:5], exec
.LBB75_119:
	s_or_b64 exec, exec, s[78:79]
	s_and_b64 s[76:77], s[76:77], exec
	s_and_b64 s[4:5], s[56:57], exec
.LBB75_120:
	s_or_b64 exec, exec, s[50:51]
	s_and_b64 s[56:57], s[76:77], exec
	s_and_b64 s[50:51], s[4:5], exec
.LBB75_121:
	s_or_b64 exec, exec, s[48:49]
	s_and_b64 s[48:49], s[56:57], exec
	s_and_b64 s[4:5], s[50:51], exec
.LBB75_122:
	s_or_b64 exec, exec, s[46:47]
	s_and_b64 s[48:49], s[48:49], exec
	s_and_b64 s[46:47], s[4:5], exec
.LBB75_123:
	s_or_b64 exec, exec, s[44:45]
	s_and_b64 s[44:45], s[48:49], exec
	s_and_b64 s[4:5], s[46:47], exec
.LBB75_124:
	s_or_b64 exec, exec, s[42:43]
	s_and_b64 s[44:45], s[44:45], exec
	s_and_b64 s[42:43], s[4:5], exec
.LBB75_125:
	s_or_b64 exec, exec, s[40:41]
	s_and_b64 s[40:41], s[44:45], exec
	s_and_b64 s[4:5], s[42:43], exec
.LBB75_126:
	s_or_b64 exec, exec, s[38:39]
	s_and_b64 s[40:41], s[40:41], exec
	s_and_b64 s[38:39], s[4:5], exec
.LBB75_127:
	s_or_b64 exec, exec, s[36:37]
	s_and_b64 s[36:37], s[40:41], exec
	s_and_b64 s[4:5], s[38:39], exec
.LBB75_128:
	s_or_b64 exec, exec, s[34:35]
	s_and_b64 s[36:37], s[36:37], exec
	s_and_b64 s[34:35], s[4:5], exec
.LBB75_129:
	s_or_b64 exec, exec, s[30:31]
	s_and_b64 s[30:31], s[36:37], exec
	s_and_b64 s[4:5], s[34:35], exec
.LBB75_130:
	s_or_b64 exec, exec, s[28:29]
	s_and_b64 s[30:31], s[30:31], exec
	s_and_b64 s[28:29], s[4:5], exec
.LBB75_131:
	s_or_b64 exec, exec, s[26:27]
	s_and_b64 s[26:27], s[30:31], exec
	s_and_b64 s[4:5], s[28:29], exec
.LBB75_132:
	s_or_b64 exec, exec, s[24:25]
	s_and_b64 s[26:27], s[26:27], exec
	s_and_b64 s[24:25], s[4:5], exec
.LBB75_133:
	s_or_b64 exec, exec, s[22:23]
	s_and_b64 s[22:23], s[26:27], exec
	s_and_b64 s[4:5], s[24:25], exec
.LBB75_134:
	s_or_b64 exec, exec, s[20:21]
	s_and_b64 s[22:23], s[22:23], exec
	s_and_b64 s[20:21], s[4:5], exec
.LBB75_135:
	s_or_b64 exec, exec, s[18:19]
	s_and_b64 s[18:19], s[22:23], exec
	s_and_b64 s[4:5], s[20:21], exec
.LBB75_136:
	s_or_b64 exec, exec, s[16:17]
	s_and_b64 s[18:19], s[18:19], exec
	s_and_b64 s[16:17], s[4:5], exec
.LBB75_137:
	s_or_b64 exec, exec, s[14:15]
	s_and_b64 s[14:15], s[18:19], exec
	s_and_b64 s[4:5], s[16:17], exec
.LBB75_138:
	s_or_b64 exec, exec, s[12:13]
	s_and_b64 s[14:15], s[14:15], exec
	s_and_b64 s[12:13], s[4:5], exec
.LBB75_139:
	s_or_b64 exec, exec, s[10:11]
	s_and_b64 s[10:11], s[14:15], exec
	s_and_b64 s[12:13], s[12:13], exec
.LBB75_140:
	s_or_b64 exec, exec, s[8:9]
	s_mov_b64 s[8:9], 0
	s_and_b64 vcc, exec, s[6:7]
	v_lshlrev_b32_e32 v1, 2, v0
	v_cmp_ne_u32_e64 s[4:5], 0, v0
	s_cbranch_vccz .LBB75_144
.LBB75_141:
	v_mov_b32_e32 v2, s67
	v_sub_co_u32_e32 v18, vcc, s3, v1
	s_add_u32 s8, s3, -4
	s_nop 0
	v_subbrev_co_u32_e32 v19, vcc, 0, v2, vcc
	v_add_co_u32_e32 v2, vcc, -4, v18
	s_addc_u32 s9, s67, -1
	s_nop 0
	v_addc_co_u32_e32 v3, vcc, -1, v19, vcc
	v_add_co_u32_e32 v4, vcc, 0xfffffbfc, v18
	s_lshl_b64 s[6:7], s[74:75], 2
	s_nop 0
	v_addc_co_u32_e32 v5, vcc, -1, v19, vcc
	v_add_co_u32_e32 v6, vcc, 0xfffff7fc, v18
	s_add_u32 s6, s62, s6
	s_nop 0
	v_addc_co_u32_e32 v7, vcc, -1, v19, vcc
	v_add_co_u32_e32 v8, vcc, 0xfffff3fc, v18
	s_addc_u32 s7, s63, s7
	s_nop 0
	v_addc_co_u32_e32 v9, vcc, -1, v19, vcc
	s_waitcnt lgkmcnt(0)
	v_add_co_u32_e32 v10, vcc, 0xffffeffc, v18
	s_add_u32 s10, s6, -4
	s_nop 0
	v_addc_co_u32_e32 v11, vcc, -1, v19, vcc
	v_add_co_u32_e32 v12, vcc, 0xffffebfc, v18
	s_addc_u32 s11, s7, -1
	s_nop 0
	v_addc_co_u32_e32 v13, vcc, -1, v19, vcc
	v_add_co_u32_e32 v14, vcc, 0xffffe7fc, v18
	s_and_b64 s[6:7], s[72:73], exec
	s_nop 0
	v_addc_co_u32_e32 v15, vcc, -1, v19, vcc
	v_add_co_u32_e32 v16, vcc, 0xffffe3fc, v18
	s_cselect_b32 s3, s3, s10
	s_nop 0
	v_addc_co_u32_e32 v17, vcc, -1, v19, vcc
	flat_load_dword v20, v[2:3]
	flat_load_dword v21, v[4:5]
	;; [unrolled: 1-line block ×8, first 2 shown]
	v_add_co_u32_e32 v2, vcc, 0xffffdffc, v18
	s_cselect_b32 s6, s67, s11
	s_nop 0
	v_addc_co_u32_e32 v3, vcc, -1, v19, vcc
	v_add_co_u32_e32 v4, vcc, 0xffffdbfc, v18
	s_cmp_eq_u64 s[74:75], 0
	s_nop 0
	v_addc_co_u32_e32 v5, vcc, -1, v19, vcc
	v_add_co_u32_e32 v6, vcc, 0xffffd7fc, v18
	s_cselect_b32 s6, s9, s6
	s_nop 0
	v_addc_co_u32_e32 v7, vcc, -1, v19, vcc
	v_add_co_u32_e32 v8, vcc, 0xffffd3fc, v18
	s_cselect_b32 s3, s8, s3
	s_nop 0
	v_addc_co_u32_e32 v9, vcc, -1, v19, vcc
	v_add_co_u32_e32 v10, vcc, 0xffffcffc, v18
	s_movk_i32 s12, 0xf3fc
	s_nop 0
	v_addc_co_u32_e32 v11, vcc, -1, v19, vcc
	v_add_co_u32_e32 v12, vcc, 0xffffcbfc, v18
	s_movk_i32 s11, 0xe3fc
	;; [unrolled: 4-line block ×4, first 2 shown]
	s_nop 0
	v_addc_co_u32_e32 v17, vcc, -1, v19, vcc
	flat_load_dword v28, v[2:3]
	flat_load_dword v29, v[4:5]
	;; [unrolled: 1-line block ×8, first 2 shown]
	v_add_co_u32_e32 v2, vcc, 0xffffbffc, v18
	s_movk_i32 s8, 0xb3fc
	s_nop 0
	v_addc_co_u32_e32 v3, vcc, -1, v19, vcc
	v_add_co_u32_e32 v4, vcc, 0xffffbbfc, v18
	s_nop 1
	v_addc_co_u32_e32 v5, vcc, -1, v19, vcc
	v_add_co_u32_e32 v6, vcc, 0xffffb7fc, v18
	;; [unrolled: 3-line block ×6, first 2 shown]
	s_nop 1
	v_addc_co_u32_e32 v15, vcc, -1, v19, vcc
	flat_load_dword v16, v[2:3]
	flat_load_dword v17, v[4:5]
	flat_load_dword v18, v[6:7]
	flat_load_dword v19, v[8:9]
	flat_load_dword v36, v[10:11]
	flat_load_dword v37, v[12:13]
	flat_load_dword v38, v[14:15]
	v_mov_b32_e32 v2, s3
	v_mov_b32_e32 v3, s6
	v_sub_co_u32_e32 v10, vcc, 0, v0
	s_waitcnt vmcnt(0) lgkmcnt(0)
	ds_write2st64_b32 v1, v20, v21 offset1:4
	ds_write2st64_b32 v1, v22, v23 offset0:8 offset1:12
	ds_write2st64_b32 v1, v24, v25 offset0:16 offset1:20
	;; [unrolled: 1-line block ×10, first 2 shown]
	ds_write_b32 v1, v38 offset:22528
	s_waitcnt lgkmcnt(0)
	s_barrier
	flat_load_dword v13, v[2:3]
	v_subb_co_u32_e64 v11, s[6:7], 0, 0, vcc
	s_movk_i32 s6, 0x58
	s_nop 0
	v_mad_u32_u24 v12, v0, s6, v1
	s_movk_i32 s6, 0xffa8
	s_movk_i32 s3, 0xa7fc
	ds_read2_b32 v[2:3], v12 offset1:1
	ds_read2_b32 v[18:19], v12 offset0:2 offset1:3
	ds_read2_b32 v[22:23], v12 offset0:4 offset1:5
	;; [unrolled: 1-line block ×6, first 2 shown]
	ds_read_b32 v14, v12 offset:88
	ds_read2_b32 v[30:31], v12 offset0:8 offset1:9
	ds_read2_b32 v[34:35], v12 offset0:10 offset1:11
	;; [unrolled: 1-line block ×4, first 2 shown]
	v_mad_i32_i24 v15, v0, s6, v12
	s_waitcnt lgkmcnt(0)
	ds_write_b32 v15, v14 offset:23552
	s_waitcnt lgkmcnt(0)
	s_barrier
	s_and_saveexec_b64 s[6:7], s[4:5]
	s_cbranch_execz .LBB75_143
; %bb.142:
	s_waitcnt vmcnt(0)
	v_mul_i32_i24_e32 v13, 0xffffffa8, v0
	v_add_u32_e32 v13, v12, v13
	ds_read_b32 v13, v13 offset:23548
.LBB75_143:
	s_or_b64 exec, exec, s[6:7]
	v_lshl_add_u64 v[10:11], v[10:11], 2, s[52:53]
	v_add_co_u32_e32 v16, vcc, s12, v10
	s_waitcnt lgkmcnt(0)
	s_nop 0
	v_addc_co_u32_e32 v17, vcc, -1, v11, vcc
	v_add_co_u32_e32 v20, vcc, s11, v10
	s_barrier
	s_nop 0
	v_addc_co_u32_e32 v21, vcc, -1, v11, vcc
	flat_load_dword v24, v[20:21] offset:3072
	flat_load_dword v25, v[20:21] offset:2048
	;; [unrolled: 1-line block ×3, first 2 shown]
	flat_load_dword v29, v[20:21]
	flat_load_dword v32, v[16:17] offset:3072
	flat_load_dword v33, v[16:17] offset:2048
	;; [unrolled: 1-line block ×3, first 2 shown]
	flat_load_dword v37, v[16:17]
	v_add_co_u32_e32 v16, vcc, s10, v10
	v_cmp_ne_u32_e64 s[10:11], v5, v14
	s_nop 0
	v_addc_co_u32_e32 v17, vcc, -1, v11, vcc
	v_add_co_u32_e32 v20, vcc, s9, v10
	s_mov_b64 s[12:13], -1
	s_nop 0
	v_addc_co_u32_e32 v21, vcc, -1, v11, vcc
	flat_load_dword v40, v[20:21] offset:3072
	flat_load_dword v41, v[20:21] offset:2048
	;; [unrolled: 1-line block ×3, first 2 shown]
	flat_load_dword v45, v[20:21]
	flat_load_dword v46, v[16:17] offset:3072
	flat_load_dword v47, v[16:17] offset:2048
	;; [unrolled: 1-line block ×3, first 2 shown]
	flat_load_dword v49, v[16:17]
	v_add_co_u32_e32 v16, vcc, s8, v10
                                        ; implicit-def: $sgpr8_sgpr9
	s_nop 1
	v_addc_co_u32_e32 v17, vcc, -1, v11, vcc
	v_add_co_u32_e32 v10, vcc, s3, v10
	s_nop 1
	v_addc_co_u32_e32 v11, vcc, -1, v11, vcc
	flat_load_dword v20, v[10:11]
	flat_load_dword v21, v[16:17] offset:3072
	flat_load_dword v50, v[16:17] offset:2048
	;; [unrolled: 1-line block ×3, first 2 shown]
	flat_load_dword v52, v[16:17]
	flat_load_dword v53, v[10:11] offset:2048
	flat_load_dword v54, v[10:11] offset:1024
	s_waitcnt vmcnt(0)
	v_cmp_ne_u32_e32 vcc, v13, v2
	s_waitcnt lgkmcnt(0)
	ds_write2st64_b32 v1, v32, v33 offset1:4
	ds_write2st64_b32 v1, v36, v37 offset0:8 offset1:12
	ds_write2st64_b32 v1, v24, v25 offset0:16 offset1:20
	;; [unrolled: 1-line block ×10, first 2 shown]
	ds_write_b32 v1, v20 offset:22528
	v_cndmask_b32_e64 v11, 0, 1, vcc
	v_cmp_ne_u32_e32 vcc, v2, v3
	s_waitcnt lgkmcnt(0)
	s_barrier
	v_cndmask_b32_e64 v13, 0, 1, vcc
	v_cmp_ne_u32_e32 vcc, v3, v18
	ds_read2_b32 v[16:17], v12 offset1:1
	ds_read2_b32 v[20:21], v12 offset0:2 offset1:3
	ds_read2_b32 v[24:25], v12 offset0:4 offset1:5
	;; [unrolled: 1-line block ×10, first 2 shown]
	ds_read_b32 v3, v12 offset:88
	v_cndmask_b32_e64 v15, 0, 1, vcc
	v_cmp_ne_u32_e32 vcc, v18, v19
	s_waitcnt lgkmcnt(11)
	v_mov_b32_e32 v12, v17
	v_mov_b32_e32 v10, v16
	v_cndmask_b32_e64 v17, 0, 1, vcc
	v_cmp_ne_u32_e32 vcc, v19, v22
	s_waitcnt lgkmcnt(10)
	v_mov_b32_e32 v16, v21
	v_mov_b32_e32 v14, v20
	;; [unrolled: 5-line block ×5, first 2 shown]
	v_cndmask_b32_e64 v25, 0, 1, vcc
	v_cmp_ne_u32_e32 vcc, v27, v30
	s_waitcnt lgkmcnt(6)
	v_mov_b32_e32 v32, v37
	s_waitcnt lgkmcnt(2)
	v_mov_b32_e32 v48, v51
	v_cndmask_b32_e64 v27, 0, 1, vcc
	v_cmp_ne_u32_e32 vcc, v30, v31
	v_mov_b32_e32 v30, v36
	v_mov_b32_e32 v36, v41
	v_cndmask_b32_e64 v29, 0, 1, vcc
	v_cmp_ne_u32_e32 vcc, v31, v34
	s_waitcnt lgkmcnt(1)
	v_mov_b32_e32 v52, v55
	v_cndmask_b32_e64 v31, 0, 1, vcc
	v_cmp_ne_u32_e32 vcc, v34, v35
	v_mov_b32_e32 v34, v40
	v_mov_b32_e32 v40, v45
	v_cndmask_b32_e64 v33, 0, 1, vcc
	v_cmp_ne_u32_e32 vcc, v35, v38
	s_nop 1
	v_cndmask_b32_e64 v35, 0, 1, vcc
	v_cmp_ne_u32_e32 vcc, v38, v39
	v_mov_b32_e32 v38, v44
	v_mov_b32_e32 v44, v47
	v_cndmask_b32_e64 v37, 0, 1, vcc
	v_cmp_ne_u32_e32 vcc, v39, v42
	s_nop 1
	v_cndmask_b32_e64 v39, 0, 1, vcc
	v_cmp_ne_u32_e32 vcc, v42, v43
	v_mov_b32_e32 v42, v46
	v_mov_b32_e32 v46, v50
	v_cndmask_b32_e64 v41, 0, 1, vcc
	v_cmp_ne_u32_e32 vcc, v43, v8
	v_mov_b32_e32 v50, v54
	s_nop 0
	v_cndmask_b32_e64 v43, 0, 1, vcc
	v_cmp_ne_u32_e32 vcc, v8, v9
	s_nop 1
	v_cndmask_b32_e64 v45, 0, 1, vcc
	v_cmp_ne_u32_e32 vcc, v9, v6
	;; [unrolled: 3-line block ×5, first 2 shown]
	s_nop 1
	v_cndmask_b32_e64 v53, 0, 1, vcc
.LBB75_144:
	v_mov_b64_e32 v[54:55], s[8:9]
	s_and_saveexec_b64 s[4:5], s[12:13]
	s_cbranch_execz .LBB75_146
; %bb.145:
	v_cndmask_b32_e64 v55, 0, 1, s[10:11]
	s_waitcnt lgkmcnt(0)
	v_mov_b32_e32 v54, v3
.LBB75_146:
	s_or_b64 exec, exec, s[4:5]
	s_mov_b32 s46, 0
	s_cmp_lg_u32 s2, 0
	v_or_b32_e32 v61, v55, v53
	v_lshrrev_b32_e32 v60, 5, v0
	v_cmp_gt_u32_e32 vcc, 64, v0
	s_waitcnt lgkmcnt(0)
	s_barrier
	s_cbranch_scc0 .LBB75_209
; %bb.147:
	s_mov_b32 s47, 1
	v_max_i32_e32 v2, v12, v10
	v_cmp_gt_u64_e64 s[52:53], s[46:47], v[12:13]
	v_cmp_gt_u64_e64 s[4:5], s[46:47], v[14:15]
	v_cmp_gt_u64_e64 s[6:7], s[46:47], v[16:17]
	v_cndmask_b32_e64 v2, v12, v2, s[52:53]
	v_max_i32_e32 v2, v14, v2
	v_cndmask_b32_e64 v2, v14, v2, s[4:5]
	v_max_i32_e32 v2, v16, v2
	v_cndmask_b32_e64 v2, v16, v2, s[6:7]
	v_max_i32_e32 v2, v18, v2
	v_cmp_gt_u64_e64 s[8:9], s[46:47], v[18:19]
	v_cmp_gt_u64_e64 s[10:11], s[46:47], v[20:21]
	v_cmp_gt_u64_e64 s[12:13], s[46:47], v[22:23]
	v_cndmask_b32_e64 v2, v18, v2, s[8:9]
	v_max_i32_e32 v2, v20, v2
	v_cndmask_b32_e64 v2, v20, v2, s[10:11]
	v_max_i32_e32 v2, v22, v2
	v_cndmask_b32_e64 v2, v22, v2, s[12:13]
	;; [unrolled: 9-line block ×7, first 2 shown]
	v_max_i32_e32 v2, v54, v2
	v_cmp_gt_u64_e64 s[46:47], s[46:47], v[54:55]
	s_nop 1
	v_cndmask_b32_e64 v62, v54, v2, s[46:47]
	v_or3_b32 v2, v61, v51, v49
	v_or3_b32 v2, v2, v47, v45
	;; [unrolled: 1-line block ×10, first 2 shown]
	v_and_b32_e32 v2, 1, v2
	v_cmp_eq_u32_e64 s[48:49], 1, v2
	v_add_lshl_u32 v2, v60, v0, 3
	s_nop 0
	v_cndmask_b32_e64 v63, v11, 1, s[48:49]
	ds_write_b32 v2, v62
	ds_write_b8 v2, v63 offset:4
	s_waitcnt lgkmcnt(0)
	s_barrier
	s_and_saveexec_b64 s[50:51], vcc
	s_cbranch_execz .LBB75_161
; %bb.148:
	v_lshrrev_b32_e32 v2, 3, v0
	v_add_lshl_u32 v4, v2, v1, 3
	ds_read2_b32 v[6:7], v4 offset0:2 offset1:4
	ds_read_b64 v[2:3], v4
	ds_read_u8 v8, v4 offset:12
	ds_read_u8 v9, v4 offset:20
	ds_read_b32 v56, v4 offset:24
	ds_read_u8 v57, v4 offset:28
	v_mov_b32_e32 v58, 0
	s_waitcnt lgkmcnt(4)
	v_max_i32_e32 v59, v6, v2
	s_waitcnt lgkmcnt(3)
	v_cmp_eq_u16_sdwa s[48:49], v8, v58 src0_sel:BYTE_0 src1_sel:DWORD
	v_and_b32_e32 v5, 1, v3
	s_nop 0
	v_cndmask_b32_e64 v6, v6, v59, s[48:49]
	v_max_i32_e32 v6, v7, v6
	s_waitcnt lgkmcnt(2)
	v_cmp_eq_u16_sdwa s[48:49], v9, v58 src0_sel:BYTE_0 src1_sel:DWORD
	s_nop 1
	v_cndmask_b32_e64 v6, v7, v6, s[48:49]
	s_waitcnt lgkmcnt(0)
	v_or_b32_e32 v7, v57, v9
	v_or_b32_e32 v7, v7, v8
	v_max_i32_e32 v6, v56, v6
	v_cmp_eq_u16_e64 s[48:49], 0, v57
	v_and_b32_e32 v7, 1, v7
	v_mbcnt_lo_u32_b32 v8, -1, 0
	v_cndmask_b32_e64 v6, v56, v6, s[48:49]
	v_cmp_eq_u32_e64 s[48:49], 1, v7
	v_and_b32_e32 v7, 0xffffff00, v3
	v_mbcnt_hi_u32_b32 v8, -1, v8
	v_cndmask_b32_e64 v9, v5, 1, s[48:49]
	v_and_b32_e32 v57, 15, v8
	v_or_b32_sdwa v56, v7, v9 dst_sel:DWORD dst_unused:UNUSED_PAD src0_sel:DWORD src1_sel:WORD_0
	v_mov_b32_dpp v59, v6 row_shr:1 row_mask:0xf bank_mask:0xf
	v_cmp_ne_u32_e64 s[48:49], 0, v57
	v_mov_b32_dpp v58, v56 row_shr:1 row_mask:0xf bank_mask:0xf
	s_and_saveexec_b64 s[56:57], s[48:49]
; %bb.149:
	v_max_i32_e32 v56, v6, v59
	v_cmp_eq_u16_e64 s[48:49], 0, v9
	v_and_b32_e32 v9, 1, v9
	s_nop 0
	v_cndmask_b32_e64 v6, v6, v56, s[48:49]
	v_and_b32_e32 v56, 1, v58
	v_cmp_eq_u32_e64 s[48:49], 1, v9
	s_nop 1
	v_cndmask_b32_e64 v9, v56, 1, s[48:49]
	v_or_b32_sdwa v56, v7, v9 dst_sel:DWORD dst_unused:UNUSED_PAD src0_sel:DWORD src1_sel:WORD_0
; %bb.150:
	s_or_b64 exec, exec, s[56:57]
	v_mov_b32_dpp v59, v6 row_shr:2 row_mask:0xf bank_mask:0xf
	v_mov_b32_dpp v58, v56 row_shr:2 row_mask:0xf bank_mask:0xf
	v_cmp_lt_u32_e64 s[48:49], 1, v57
	s_and_saveexec_b64 s[56:57], s[48:49]
; %bb.151:
	v_max_i32_e32 v56, v6, v59
	v_cmp_eq_u16_e64 s[48:49], 0, v9
	v_and_b32_e32 v9, 1, v9
	s_nop 0
	v_cndmask_b32_e64 v6, v6, v56, s[48:49]
	v_and_b32_e32 v56, 1, v58
	v_cmp_eq_u32_e64 s[48:49], 1, v9
	s_nop 1
	v_cndmask_b32_e64 v9, v56, 1, s[48:49]
	v_or_b32_sdwa v56, v7, v9 dst_sel:DWORD dst_unused:UNUSED_PAD src0_sel:DWORD src1_sel:WORD_0
; %bb.152:
	s_or_b64 exec, exec, s[56:57]
	v_mov_b32_dpp v59, v6 row_shr:4 row_mask:0xf bank_mask:0xf
	v_mov_b32_dpp v58, v56 row_shr:4 row_mask:0xf bank_mask:0xf
	v_cmp_lt_u32_e64 s[48:49], 3, v57
	;; [unrolled: 17-line block ×3, first 2 shown]
	s_and_saveexec_b64 s[56:57], s[48:49]
; %bb.155:
	v_max_i32_e32 v56, v6, v59
	v_cmp_eq_u16_e64 s[48:49], 0, v9
	v_and_b32_e32 v9, 1, v9
	s_nop 0
	v_cndmask_b32_e64 v6, v6, v56, s[48:49]
	v_and_b32_e32 v56, 1, v58
	v_cmp_eq_u32_e64 s[48:49], 1, v9
	s_nop 1
	v_cndmask_b32_e64 v9, v56, 1, s[48:49]
	v_or_b32_sdwa v56, v7, v9 dst_sel:DWORD dst_unused:UNUSED_PAD src0_sel:DWORD src1_sel:WORD_0
; %bb.156:
	s_or_b64 exec, exec, s[56:57]
	v_and_b32_e32 v59, 16, v8
	v_mov_b32_dpp v58, v6 row_bcast:15 row_mask:0xf bank_mask:0xf
	v_mov_b32_dpp v57, v56 row_bcast:15 row_mask:0xf bank_mask:0xf
	v_cmp_ne_u32_e64 s[48:49], 0, v59
	s_and_saveexec_b64 s[56:57], s[48:49]
; %bb.157:
	v_max_i32_e32 v56, v6, v58
	v_cmp_eq_u16_e64 s[48:49], 0, v9
	v_and_b32_e32 v9, 1, v9
	s_nop 0
	v_cndmask_b32_e64 v6, v6, v56, s[48:49]
	v_and_b32_e32 v56, 1, v57
	v_cmp_eq_u32_e64 s[48:49], 1, v9
	s_nop 1
	v_cndmask_b32_e64 v9, v56, 1, s[48:49]
	v_or_b32_sdwa v56, v7, v9 dst_sel:DWORD dst_unused:UNUSED_PAD src0_sel:DWORD src1_sel:WORD_0
; %bb.158:
	s_or_b64 exec, exec, s[56:57]
	v_mov_b32_dpp v57, v6 row_bcast:31 row_mask:0xf bank_mask:0xf
	v_mov_b32_dpp v56, v56 row_bcast:31 row_mask:0xf bank_mask:0xf
	v_cmp_lt_u32_e64 s[48:49], 31, v8
	s_and_saveexec_b64 s[56:57], s[48:49]
; %bb.159:
	v_max_i32_e32 v57, v6, v57
	v_cmp_eq_u16_e64 s[48:49], 0, v9
	v_and_b32_e32 v9, 1, v9
	v_and_b32_e32 v56, 1, v56
	v_cndmask_b32_e64 v6, v6, v57, s[48:49]
	v_cmp_eq_u32_e64 s[48:49], 1, v9
	s_nop 1
	v_cndmask_b32_e64 v9, v56, 1, s[48:49]
; %bb.160:
	s_or_b64 exec, exec, s[56:57]
	v_add_u32_e32 v56, -1, v8
	v_and_b32_e32 v57, 64, v8
	v_cmp_lt_i32_e64 s[48:49], v56, v57
	v_or_b32_sdwa v7, v7, v9 dst_sel:DWORD dst_unused:UNUSED_PAD src0_sel:DWORD src1_sel:WORD_0
	s_nop 0
	v_cndmask_b32_e64 v8, v56, v8, s[48:49]
	v_lshlrev_b32_e32 v8, 2, v8
	ds_bpermute_b32 v6, v8, v6
	ds_bpermute_b32 v7, v8, v7
	v_mov_b32_e32 v8, 0
	v_cmp_eq_u16_sdwa s[48:49], v3, v8 src0_sel:BYTE_0 src1_sel:DWORD
	; wave barrier
	s_waitcnt lgkmcnt(1)
	v_max_i32_e32 v6, v2, v6
	v_cndmask_b32_e64 v2, v2, v6, s[48:49]
	s_waitcnt lgkmcnt(0)
	v_and_b32_e32 v3, 1, v7
	v_cmp_eq_u32_e64 s[48:49], 1, v5
	s_nop 1
	v_cndmask_b32_e64 v3, v3, 1, s[48:49]
	v_cmp_eq_u32_e64 s[48:49], 0, v0
	s_nop 1
	v_cndmask_b32_e64 v5, v2, v62, s[48:49]
	v_cndmask_b32_e64 v6, v3, v63, s[48:49]
	ds_write_b32 v4, v5
	ds_write_b8 v4, v6 offset:4
	; wave barrier
	ds_read2_b32 v[2:3], v4 offset0:2 offset1:4
	ds_read_u8 v7, v4 offset:12
	ds_read_u8 v8, v4 offset:20
	ds_read_b32 v9, v4 offset:24
	ds_read_u8 v56, v4 offset:28
	s_waitcnt lgkmcnt(4)
	v_max_i32_e32 v5, v2, v5
	s_waitcnt lgkmcnt(3)
	v_cmp_eq_u16_e64 s[48:49], 0, v7
	s_nop 1
	v_cndmask_b32_e64 v2, v2, v5, s[48:49]
	v_and_b32_e32 v5, 1, v7
	v_cmp_eq_u32_e64 s[48:49], 1, v5
	s_nop 1
	v_cndmask_b32_e64 v5, v6, 1, s[48:49]
	v_max_i32_e32 v6, v3, v2
	s_waitcnt lgkmcnt(2)
	v_cmp_eq_u16_e64 s[48:49], 0, v8
	ds_write_b8 v4, v5 offset:12
	s_nop 0
	v_cndmask_b32_e64 v3, v3, v6, s[48:49]
	v_and_b32_e32 v6, 1, v8
	v_cmp_eq_u32_e64 s[48:49], 1, v6
	s_nop 1
	v_cndmask_b32_e64 v5, v5, 1, s[48:49]
	ds_write2_b32 v4, v2, v3 offset0:2 offset1:4
	ds_write_b8 v4, v5 offset:20
	s_waitcnt lgkmcnt(4)
	v_max_i32_e32 v2, v9, v3
	s_waitcnt lgkmcnt(3)
	v_cmp_eq_u16_e64 s[48:49], 0, v56
	v_and_b32_e32 v3, 1, v56
	s_nop 0
	v_cndmask_b32_e64 v2, v9, v2, s[48:49]
	v_cmp_eq_u32_e64 s[48:49], 1, v3
	s_nop 1
	v_cndmask_b32_e64 v3, v5, 1, s[48:49]
	ds_write_b32 v4, v2 offset:24
	ds_write_b8 v4, v3 offset:28
.LBB75_161:
	s_or_b64 exec, exec, s[50:51]
	v_cmp_eq_u32_e64 s[48:49], 0, v0
	v_cmp_ne_u32_e64 s[50:51], 0, v0
	s_waitcnt lgkmcnt(0)
	s_barrier
	s_and_saveexec_b64 s[56:57], s[50:51]
	s_cbranch_execz .LBB75_163
; %bb.162:
	v_add_u32_e32 v2, -1, v0
	v_lshrrev_b32_e32 v3, 5, v2
	v_add_lshl_u32 v2, v3, v2, 3
	ds_read_b32 v62, v2
	ds_read_u8 v63, v2 offset:4
.LBB75_163:
	s_or_b64 exec, exec, s[56:57]
	s_and_saveexec_b64 s[56:57], vcc
	s_cbranch_execz .LBB75_208
; %bb.164:
	v_mov_b32_e32 v5, 0
	ds_read_b64 v[2:3], v5 offset:2096
	v_mbcnt_lo_u32_b32 v4, -1, 0
	v_mbcnt_hi_u32_b32 v57, -1, v4
	s_mov_b32 s73, 0
	v_cmp_eq_u32_e64 s[50:51], 0, v57
	s_waitcnt lgkmcnt(0)
	v_readfirstlane_b32 s3, v3
	s_and_saveexec_b64 s[62:63], s[50:51]
	s_cbranch_execz .LBB75_166
; %bb.165:
	s_add_i32 s72, s2, 64
	s_lshl_b64 s[74:75], s[72:73], 4
	s_add_u32 s74, s64, s74
	s_addc_u32 s75, s65, s75
	s_and_b32 s77, s3, 0xff000000
	s_mov_b32 s76, s73
	s_and_b32 s79, s3, 0xff0000
	s_mov_b32 s78, s73
	s_or_b64 s[76:77], s[78:79], s[76:77]
	s_and_b32 s79, s3, 0xff00
	s_or_b64 s[76:77], s[76:77], s[78:79]
	s_and_b32 s79, s3, 0xff
	s_or_b64 s[72:73], s[76:77], s[78:79]
	v_mov_b32_e32 v3, s73
	v_mov_b32_e32 v4, 1
	v_mov_b64_e32 v[6:7], s[74:75]
	;;#ASMSTART
	global_store_dwordx4 v[6:7], v[2:5] off sc1	
s_waitcnt vmcnt(0)
	;;#ASMEND
.LBB75_166:
	s_or_b64 exec, exec, s[62:63]
	v_xad_u32 v56, v57, -1, s2
	v_add_u32_e32 v4, 64, v56
	v_lshl_add_u64 v[58:59], v[4:5], 4, s[64:65]
	;;#ASMSTART
	global_load_dwordx4 v[6:9], v[58:59] off sc1	
s_waitcnt vmcnt(0)
	;;#ASMEND
	s_nop 0
	v_and_b32_e32 v3, 0xff0000, v6
	v_and_b32_e32 v4, 0xff000000, v6
	;; [unrolled: 1-line block ×3, first 2 shown]
	v_or_b32_sdwa v3, v6, v3 dst_sel:DWORD dst_unused:UNUSED_PAD src0_sel:WORD_0 src1_sel:DWORD
	v_or3_b32 v7, 0, 0, v7
	v_or3_b32 v6, v3, v4, 0
	v_cmp_eq_u16_sdwa s[72:73], v8, v5 src0_sel:BYTE_0 src1_sel:DWORD
	s_and_saveexec_b64 s[62:63], s[72:73]
	s_cbranch_execz .LBB75_172
; %bb.167:
	s_mov_b32 s67, 1
	s_mov_b64 s[72:73], 0
	v_mov_b32_e32 v3, 0
.LBB75_168:                             ; =>This Loop Header: Depth=1
                                        ;     Child Loop BB75_169 Depth 2
	s_max_u32 s74, s67, 1
.LBB75_169:                             ;   Parent Loop BB75_168 Depth=1
                                        ; =>  This Inner Loop Header: Depth=2
	s_add_i32 s74, s74, -1
	s_cmp_eq_u32 s74, 0
	s_sleep 1
	s_cbranch_scc0 .LBB75_169
; %bb.170:                              ;   in Loop: Header=BB75_168 Depth=1
	s_cmp_lt_u32 s67, 32
	s_cselect_b64 s[74:75], -1, 0
	s_cmp_lg_u64 s[74:75], 0
	s_addc_u32 s67, s67, 0
	;;#ASMSTART
	global_load_dwordx4 v[6:9], v[58:59] off sc1	
s_waitcnt vmcnt(0)
	;;#ASMEND
	s_nop 0
	v_cmp_ne_u16_sdwa s[74:75], v8, v3 src0_sel:BYTE_0 src1_sel:DWORD
	s_or_b64 s[72:73], s[74:75], s[72:73]
	s_andn2_b64 exec, exec, s[72:73]
	s_cbranch_execnz .LBB75_168
; %bb.171:
	s_or_b64 exec, exec, s[72:73]
	v_and_b32_e32 v7, 0xff, v7
.LBB75_172:
	s_or_b64 exec, exec, s[62:63]
	v_mov_b32_e32 v3, 2
	v_cmp_eq_u16_sdwa s[62:63], v8, v3 src0_sel:BYTE_0 src1_sel:DWORD
	v_lshlrev_b64 v[4:5], v57, -1
	s_mov_b32 s72, 0
	v_and_b32_e32 v3, s63, v5
	v_or_b32_e32 v3, 0x80000000, v3
	v_ffbl_b32_e32 v3, v3
	v_add_u32_e32 v58, 32, v3
	v_and_b32_e32 v3, 63, v57
	v_cmp_ne_u32_e32 vcc, 63, v3
	v_and_b32_e32 v9, s62, v4
	v_ffbl_b32_e32 v9, v9
	v_addc_co_u32_e32 v59, vcc, 0, v57, vcc
	v_lshlrev_b32_e32 v64, 2, v59
	ds_bpermute_b32 v65, v64, v6
	ds_bpermute_b32 v59, v64, v7
	v_min_u32_e32 v9, v9, v58
	v_cmp_lt_u32_e32 vcc, v3, v9
	v_mov_b32_e32 v58, v7
	s_and_saveexec_b64 s[62:63], vcc
	s_cbranch_execz .LBB75_174
; %bb.173:
	s_mov_b32 s73, 1
	s_waitcnt lgkmcnt(1)
	v_max_i32_e32 v58, v6, v65
	v_cmp_gt_u64_e32 vcc, s[72:73], v[6:7]
	v_and_b32_e32 v7, 1, v7
	s_nop 0
	v_cndmask_b32_e32 v6, v6, v58, vcc
	s_waitcnt lgkmcnt(0)
	v_and_b32_e32 v58, 1, v59
	v_cmp_eq_u32_e32 vcc, 1, v7
	s_nop 1
	v_cndmask_b32_e64 v7, v58, 1, vcc
	v_and_b32_e32 v58, 0xffff, v7
.LBB75_174:
	s_or_b64 exec, exec, s[62:63]
	v_cmp_gt_u32_e32 vcc, 62, v3
	v_add_u32_e32 v66, 2, v3
	s_waitcnt lgkmcnt(0)
	v_cndmask_b32_e64 v59, 0, 1, vcc
	v_lshlrev_b32_e32 v59, 1, v59
	v_add_lshl_u32 v65, v59, v57, 2
	ds_bpermute_b32 v67, v65, v6
	ds_bpermute_b32 v59, v65, v58
	v_cmp_le_u32_e32 vcc, v66, v9
	s_and_saveexec_b64 s[62:63], vcc
	s_cbranch_execz .LBB75_176
; %bb.175:
	s_waitcnt lgkmcnt(1)
	v_max_i32_e32 v58, v6, v67
	v_cmp_eq_u16_e32 vcc, 0, v7
	v_and_b32_e32 v7, 1, v7
	s_nop 0
	v_cndmask_b32_e32 v6, v6, v58, vcc
	s_waitcnt lgkmcnt(0)
	v_and_b32_e32 v58, 1, v59
	v_cmp_eq_u32_e32 vcc, 1, v7
	s_nop 1
	v_cndmask_b32_e64 v7, v58, 1, vcc
	v_and_b32_e32 v58, 0xffff, v7
.LBB75_176:
	s_or_b64 exec, exec, s[62:63]
	v_cmp_gt_u32_e32 vcc, 60, v3
	v_add_u32_e32 v68, 4, v3
	s_waitcnt lgkmcnt(0)
	v_cndmask_b32_e64 v59, 0, 1, vcc
	v_lshlrev_b32_e32 v59, 2, v59
	v_add_lshl_u32 v67, v59, v57, 2
	ds_bpermute_b32 v69, v67, v6
	ds_bpermute_b32 v59, v67, v58
	v_cmp_le_u32_e32 vcc, v68, v9
	s_and_saveexec_b64 s[62:63], vcc
	s_cbranch_execz .LBB75_178
; %bb.177:
	s_waitcnt lgkmcnt(1)
	v_max_i32_e32 v58, v6, v69
	v_cmp_eq_u16_e32 vcc, 0, v7
	v_and_b32_e32 v7, 1, v7
	s_nop 0
	v_cndmask_b32_e32 v6, v6, v58, vcc
	s_waitcnt lgkmcnt(0)
	v_and_b32_e32 v58, 1, v59
	v_cmp_eq_u32_e32 vcc, 1, v7
	s_nop 1
	v_cndmask_b32_e64 v7, v58, 1, vcc
	v_and_b32_e32 v58, 0xffff, v7
.LBB75_178:
	;; [unrolled: 26-line block ×4, first 2 shown]
	s_or_b64 exec, exec, s[62:63]
	v_cmp_gt_u32_e32 vcc, 32, v3
	v_add_u32_e32 v75, 32, v3
	s_waitcnt lgkmcnt(0)
	v_cndmask_b32_e64 v59, 0, 1, vcc
	v_lshlrev_b32_e32 v59, 5, v59
	v_add_lshl_u32 v74, v59, v57, 2
	ds_bpermute_b32 v59, v74, v6
	ds_bpermute_b32 v57, v74, v58
	v_cmp_le_u32_e32 vcc, v75, v9
	s_and_saveexec_b64 s[62:63], vcc
	s_cbranch_execz .LBB75_184
; %bb.183:
	s_waitcnt lgkmcnt(1)
	v_max_i32_e32 v9, v6, v59
	v_cmp_eq_u16_e32 vcc, 0, v7
	v_and_b32_e32 v7, 1, v7
	s_nop 0
	v_cndmask_b32_e32 v6, v6, v9, vcc
	s_waitcnt lgkmcnt(0)
	v_and_b32_e32 v9, 1, v57
	v_cmp_eq_u32_e32 vcc, 1, v7
	s_nop 1
	v_cndmask_b32_e64 v7, v9, 1, vcc
.LBB75_184:
	s_or_b64 exec, exec, s[62:63]
	s_mov_b32 s62, 0
	s_mov_b32 s63, 1
	s_waitcnt lgkmcnt(0)
	v_mov_b32_e32 v57, 0
	v_mov_b32_e32 v77, 2
	s_branch .LBB75_186
.LBB75_185:                             ;   in Loop: Header=BB75_186 Depth=1
	s_or_b64 exec, exec, s[72:73]
	s_waitcnt lgkmcnt(0)
	ds_bpermute_b32 v59, v74, v6
	ds_bpermute_b32 v58, v74, v58
	v_and_b32_e32 v78, 1, v7
	v_cmp_eq_u16_e32 vcc, 0, v7
	v_subrev_u32_e32 v56, 64, v56
	s_waitcnt lgkmcnt(1)
	v_max_i32_e32 v59, v6, v59
	v_cndmask_b32_e32 v59, v6, v59, vcc
	v_cmp_eq_u32_e32 vcc, 1, v78
	s_waitcnt lgkmcnt(0)
	s_nop 0
	v_cndmask_b32_e64 v58, v58, 1, vcc
	v_cmp_gt_u32_e32 vcc, v75, v9
	v_and_b32_e32 v9, 1, v73
	s_nop 0
	v_cndmask_b32_e32 v6, v59, v6, vcc
	v_cndmask_b32_e32 v7, v58, v7, vcc
	v_max_i32_e32 v6, v76, v6
	v_cmp_eq_u16_sdwa vcc, v73, v57 src0_sel:BYTE_0 src1_sel:DWORD
	v_and_b32_e32 v7, 1, v7
	s_nop 0
	v_cndmask_b32_e32 v6, v76, v6, vcc
	v_cmp_eq_u32_e32 vcc, 1, v9
	s_nop 1
	v_cndmask_b32_e64 v7, v7, 1, vcc
.LBB75_186:                             ; =>This Loop Header: Depth=1
                                        ;     Child Loop BB75_189 Depth 2
                                        ;       Child Loop BB75_190 Depth 3
	v_cmp_ne_u16_sdwa s[72:73], v8, v77 src0_sel:BYTE_0 src1_sel:DWORD
	v_mov_b32_e32 v73, v7
	v_mov_b32_e32 v76, v6
	v_cndmask_b32_e64 v7, 0, 1, s[72:73]
	;;#ASMSTART
	;;#ASMEND
	s_nop 0
	v_cmp_ne_u32_e32 vcc, 0, v7
	s_cmp_lg_u64 vcc, exec
	s_cbranch_scc1 .LBB75_203
; %bb.187:                              ;   in Loop: Header=BB75_186 Depth=1
	v_lshl_add_u64 v[58:59], v[56:57], 4, s[64:65]
	;;#ASMSTART
	global_load_dwordx4 v[6:9], v[58:59] off sc1	
s_waitcnt vmcnt(0)
	;;#ASMEND
	s_nop 0
	v_and_b32_e32 v9, 0xff0000, v6
	v_and_b32_e32 v78, 0xff000000, v6
	;; [unrolled: 1-line block ×3, first 2 shown]
	v_or_b32_sdwa v6, v6, v9 dst_sel:DWORD dst_unused:UNUSED_PAD src0_sel:WORD_0 src1_sel:DWORD
	v_or3_b32 v7, 0, 0, v7
	v_or3_b32 v6, v6, v78, 0
	v_cmp_eq_u16_sdwa s[74:75], v8, v57 src0_sel:BYTE_0 src1_sel:DWORD
	s_and_saveexec_b64 s[72:73], s[74:75]
	s_cbranch_execz .LBB75_193
; %bb.188:                              ;   in Loop: Header=BB75_186 Depth=1
	s_mov_b32 s67, 1
	s_mov_b64 s[74:75], 0
.LBB75_189:                             ;   Parent Loop BB75_186 Depth=1
                                        ; =>  This Loop Header: Depth=2
                                        ;       Child Loop BB75_190 Depth 3
	s_max_u32 s76, s67, 1
.LBB75_190:                             ;   Parent Loop BB75_186 Depth=1
                                        ;     Parent Loop BB75_189 Depth=2
                                        ; =>    This Inner Loop Header: Depth=3
	s_add_i32 s76, s76, -1
	s_cmp_eq_u32 s76, 0
	s_sleep 1
	s_cbranch_scc0 .LBB75_190
; %bb.191:                              ;   in Loop: Header=BB75_189 Depth=2
	s_cmp_lt_u32 s67, 32
	s_cselect_b64 s[76:77], -1, 0
	s_cmp_lg_u64 s[76:77], 0
	s_addc_u32 s67, s67, 0
	;;#ASMSTART
	global_load_dwordx4 v[6:9], v[58:59] off sc1	
s_waitcnt vmcnt(0)
	;;#ASMEND
	s_nop 0
	v_cmp_ne_u16_sdwa s[76:77], v8, v57 src0_sel:BYTE_0 src1_sel:DWORD
	s_or_b64 s[74:75], s[76:77], s[74:75]
	s_andn2_b64 exec, exec, s[74:75]
	s_cbranch_execnz .LBB75_189
; %bb.192:                              ;   in Loop: Header=BB75_186 Depth=1
	s_or_b64 exec, exec, s[74:75]
	v_and_b32_e32 v7, 0xff, v7
.LBB75_193:                             ;   in Loop: Header=BB75_186 Depth=1
	s_or_b64 exec, exec, s[72:73]
	v_cmp_eq_u16_sdwa s[72:73], v8, v77 src0_sel:BYTE_0 src1_sel:DWORD
	ds_bpermute_b32 v78, v64, v6
	ds_bpermute_b32 v59, v64, v7
	v_and_b32_e32 v9, s73, v5
	v_or_b32_e32 v9, 0x80000000, v9
	v_and_b32_e32 v58, s72, v4
	v_ffbl_b32_e32 v9, v9
	v_add_u32_e32 v9, 32, v9
	v_ffbl_b32_e32 v58, v58
	v_min_u32_e32 v9, v58, v9
	v_cmp_lt_u32_e32 vcc, v3, v9
	v_mov_b32_e32 v58, v7
	s_and_saveexec_b64 s[72:73], vcc
	s_cbranch_execz .LBB75_195
; %bb.194:                              ;   in Loop: Header=BB75_186 Depth=1
	s_waitcnt lgkmcnt(1)
	v_max_i32_e32 v58, v6, v78
	v_cmp_gt_u64_e32 vcc, s[62:63], v[6:7]
	v_and_b32_e32 v7, 1, v7
	s_nop 0
	v_cndmask_b32_e32 v6, v6, v58, vcc
	s_waitcnt lgkmcnt(0)
	v_and_b32_e32 v58, 1, v59
	v_cmp_eq_u32_e32 vcc, 1, v7
	s_nop 1
	v_cndmask_b32_e64 v7, v58, 1, vcc
	v_and_b32_e32 v58, 0xffff, v7
.LBB75_195:                             ;   in Loop: Header=BB75_186 Depth=1
	s_or_b64 exec, exec, s[72:73]
	s_waitcnt lgkmcnt(1)
	ds_bpermute_b32 v78, v65, v6
	s_waitcnt lgkmcnt(1)
	ds_bpermute_b32 v59, v65, v58
	v_cmp_le_u32_e32 vcc, v66, v9
	s_and_saveexec_b64 s[72:73], vcc
	s_cbranch_execz .LBB75_197
; %bb.196:                              ;   in Loop: Header=BB75_186 Depth=1
	s_waitcnt lgkmcnt(1)
	v_max_i32_e32 v58, v6, v78
	v_cmp_eq_u16_e32 vcc, 0, v7
	v_and_b32_e32 v7, 1, v7
	s_nop 0
	v_cndmask_b32_e32 v6, v6, v58, vcc
	s_waitcnt lgkmcnt(0)
	v_and_b32_e32 v58, 1, v59
	v_cmp_eq_u32_e32 vcc, 1, v7
	s_nop 1
	v_cndmask_b32_e64 v7, v58, 1, vcc
	v_and_b32_e32 v58, 0xffff, v7
.LBB75_197:                             ;   in Loop: Header=BB75_186 Depth=1
	s_or_b64 exec, exec, s[72:73]
	s_waitcnt lgkmcnt(1)
	ds_bpermute_b32 v78, v67, v6
	s_waitcnt lgkmcnt(1)
	ds_bpermute_b32 v59, v67, v58
	v_cmp_le_u32_e32 vcc, v68, v9
	s_and_saveexec_b64 s[72:73], vcc
	s_cbranch_execz .LBB75_199
; %bb.198:                              ;   in Loop: Header=BB75_186 Depth=1
	s_waitcnt lgkmcnt(1)
	v_max_i32_e32 v58, v6, v78
	v_cmp_eq_u16_e32 vcc, 0, v7
	v_and_b32_e32 v7, 1, v7
	s_nop 0
	v_cndmask_b32_e32 v6, v6, v58, vcc
	s_waitcnt lgkmcnt(0)
	v_and_b32_e32 v58, 1, v59
	v_cmp_eq_u32_e32 vcc, 1, v7
	s_nop 1
	v_cndmask_b32_e64 v7, v58, 1, vcc
	v_and_b32_e32 v58, 0xffff, v7
.LBB75_199:                             ;   in Loop: Header=BB75_186 Depth=1
	;; [unrolled: 22-line block ×3, first 2 shown]
	s_or_b64 exec, exec, s[72:73]
	s_waitcnt lgkmcnt(1)
	ds_bpermute_b32 v78, v71, v6
	s_waitcnt lgkmcnt(1)
	ds_bpermute_b32 v59, v71, v58
	v_cmp_le_u32_e32 vcc, v72, v9
	s_and_saveexec_b64 s[72:73], vcc
	s_cbranch_execz .LBB75_185
; %bb.202:                              ;   in Loop: Header=BB75_186 Depth=1
	s_waitcnt lgkmcnt(1)
	v_max_i32_e32 v58, v6, v78
	v_cmp_eq_u16_e32 vcc, 0, v7
	v_and_b32_e32 v7, 1, v7
	s_nop 0
	v_cndmask_b32_e32 v6, v6, v58, vcc
	s_waitcnt lgkmcnt(0)
	v_and_b32_e32 v58, 1, v59
	v_cmp_eq_u32_e32 vcc, 1, v7
	s_nop 1
	v_cndmask_b32_e64 v7, v58, 1, vcc
	v_and_b32_e32 v58, 0xffff, v7
	s_branch .LBB75_185
.LBB75_203:                             ;   in Loop: Header=BB75_186 Depth=1
                                        ; implicit-def: $vgpr7
	s_cbranch_execz .LBB75_186
; %bb.204:
	s_and_saveexec_b64 s[62:63], s[50:51]
	s_cbranch_execz .LBB75_206
; %bb.205:
	s_and_b32 s50, s3, 0xff
	s_cmp_eq_u32 s50, 0
	s_cselect_b64 vcc, -1, 0
	s_bitcmp1_b32 s3, 0
	s_mov_b32 s51, 0
	s_cselect_b64 s[72:73], -1, 0
	s_add_i32 s50, s2, 64
	s_lshl_b64 s[2:3], s[50:51], 4
	v_max_i32_e32 v3, v2, v76
	s_add_u32 s2, s64, s2
	v_cndmask_b32_e32 v2, v2, v3, vcc
	v_and_b32_e32 v3, 1, v73
	s_addc_u32 s3, s65, s3
	v_cndmask_b32_e64 v3, v3, 1, s[72:73]
	v_mov_b32_e32 v4, 2
	v_mov_b32_e32 v5, 0
	v_mov_b64_e32 v[6:7], s[2:3]
	;;#ASMSTART
	global_store_dwordx4 v[6:7], v[2:5] off sc1	
s_waitcnt vmcnt(0)
	;;#ASMEND
.LBB75_206:
	s_or_b64 exec, exec, s[62:63]
	s_and_b64 exec, exec, s[48:49]
	s_cbranch_execz .LBB75_208
; %bb.207:
	v_mov_b32_e32 v2, 0
	ds_write_b32 v2, v76
	ds_write_b8 v2, v73 offset:4
.LBB75_208:
	s_or_b64 exec, exec, s[56:57]
	v_mov_b32_e32 v2, 0
	s_waitcnt lgkmcnt(0)
	s_barrier
	ds_read_b32 v3, v2
	s_mov_b32 s2, 0
	v_and_b32_e32 v4, 1, v11
	s_mov_b32 s3, 1
	v_and_b32_e32 v5, 1, v63
	v_cmp_eq_u32_e32 vcc, 1, v4
	s_nop 1
	v_cndmask_b32_e64 v4, v5, 1, vcc
	v_max_i32_e32 v5, v10, v62
	v_cmp_gt_u64_e32 vcc, s[2:3], v[10:11]
	v_cndmask_b32_e64 v4, v4, v11, s[48:49]
	s_nop 0
	v_cndmask_b32_e32 v5, v10, v5, vcc
	v_cndmask_b32_e64 v5, v5, v10, s[48:49]
	s_waitcnt lgkmcnt(0)
	v_max_i32_e32 v3, v5, v3
	v_cmp_eq_u16_sdwa vcc, v4, v2 src0_sel:BYTE_0 src1_sel:DWORD
	s_nop 1
	v_cndmask_b32_e32 v80, v5, v3, vcc
	v_max_i32_e32 v2, v12, v80
	v_cndmask_b32_e64 v56, v12, v2, s[52:53]
	v_max_i32_e32 v2, v14, v56
	v_cndmask_b32_e64 v57, v14, v2, s[4:5]
	;; [unrolled: 2-line block ×22, first 2 shown]
	s_branch .LBB75_231
.LBB75_209:
                                        ; implicit-def: $vgpr78
                                        ; implicit-def: $vgpr77
                                        ; implicit-def: $vgpr76
                                        ; implicit-def: $vgpr75
                                        ; implicit-def: $vgpr74
                                        ; implicit-def: $vgpr73
                                        ; implicit-def: $vgpr72
                                        ; implicit-def: $vgpr71
                                        ; implicit-def: $vgpr70
                                        ; implicit-def: $vgpr69
                                        ; implicit-def: $vgpr68
                                        ; implicit-def: $vgpr67
                                        ; implicit-def: $vgpr66
                                        ; implicit-def: $vgpr65
                                        ; implicit-def: $vgpr64
                                        ; implicit-def: $vgpr63
                                        ; implicit-def: $vgpr62
                                        ; implicit-def: $vgpr59
                                        ; implicit-def: $vgpr58
                                        ; implicit-def: $vgpr57
                                        ; implicit-def: $vgpr56
                                        ; implicit-def: $vgpr80
                                        ; implicit-def: $vgpr79
	s_cbranch_execz .LBB75_231
; %bb.210:
	s_cmp_lg_u64 s[70:71], 0
	s_cselect_b32 s5, s59, 0
	s_cselect_b32 s4, s58, 0
	s_cmp_lg_u64 s[4:5], 0
	s_cselect_b64 s[6:7], -1, 0
	v_cmp_eq_u32_e32 vcc, 0, v0
	s_mov_b32 s48, 0
	v_cmp_ne_u32_e64 s[2:3], 0, v0
	s_and_b64 s[8:9], vcc, s[6:7]
	s_and_saveexec_b64 s[6:7], s[8:9]
	s_cbranch_execz .LBB75_212
; %bb.211:
	v_mov_b32_e32 v2, 0
	global_load_dword v4, v2, s[4:5]
	global_load_ubyte v5, v2, s[4:5] offset:4
	s_mov_b32 s49, 1
	v_and_b32_e32 v3, 1, v11
	v_cmp_gt_u64_e64 s[4:5], s[48:49], v[10:11]
	s_waitcnt vmcnt(1)
	v_max_i32_e32 v4, v10, v4
	s_waitcnt vmcnt(0)
	v_and_b32_e32 v5, 1, v5
	v_cndmask_b32_e64 v10, v10, v4, s[4:5]
	v_cmp_eq_u64_e64 s[4:5], 0, v[2:3]
	s_nop 1
	v_cndmask_b32_e64 v11, 1, v5, s[4:5]
.LBB75_212:
	s_or_b64 exec, exec, s[6:7]
	s_mov_b32 s49, 1
	v_max_i32_e32 v2, v12, v10
	v_cmp_gt_u64_e64 s[4:5], s[48:49], v[12:13]
	v_cmp_gt_u64_e64 s[6:7], s[48:49], v[14:15]
	v_cmp_gt_u64_e64 s[8:9], s[48:49], v[16:17]
	v_cndmask_b32_e64 v56, v12, v2, s[4:5]
	v_max_i32_e32 v2, v14, v56
	v_cndmask_b32_e64 v57, v14, v2, s[6:7]
	v_max_i32_e32 v2, v16, v57
	v_cndmask_b32_e64 v58, v16, v2, s[8:9]
	v_max_i32_e32 v2, v18, v58
	v_cmp_gt_u64_e64 s[10:11], s[48:49], v[18:19]
	v_cmp_gt_u64_e64 s[12:13], s[48:49], v[20:21]
	v_cmp_gt_u64_e64 s[14:15], s[48:49], v[22:23]
	v_cndmask_b32_e64 v59, v18, v2, s[10:11]
	v_max_i32_e32 v2, v20, v59
	v_cndmask_b32_e64 v62, v20, v2, s[12:13]
	v_max_i32_e32 v2, v22, v62
	v_cndmask_b32_e64 v63, v22, v2, s[14:15]
	;; [unrolled: 9-line block ×7, first 2 shown]
	v_max_i32_e32 v2, v54, v78
	v_cmp_gt_u64_e64 s[48:49], s[48:49], v[54:55]
	s_nop 1
	v_cndmask_b32_e64 v79, v54, v2, s[48:49]
	v_or3_b32 v2, v61, v51, v49
	v_or3_b32 v2, v2, v47, v45
	;; [unrolled: 1-line block ×10, first 2 shown]
	v_and_b32_e32 v2, 1, v2
	v_cmp_eq_u32_e64 s[50:51], 1, v2
	v_add_lshl_u32 v2, v60, v0, 3
	s_nop 0
	v_cndmask_b32_e64 v5, v11, 1, s[50:51]
	v_cmp_gt_u32_e64 s[50:51], 64, v0
	ds_write_b32 v2, v79
	ds_write_b8 v2, v5 offset:4
	s_waitcnt lgkmcnt(0)
	s_barrier
	s_and_saveexec_b64 s[52:53], s[50:51]
	s_cbranch_execz .LBB75_226
; %bb.213:
	v_lshrrev_b32_e32 v2, 3, v0
	v_add_lshl_u32 v4, v2, v1, 3
	ds_read2_b32 v[8:9], v4 offset0:2 offset1:4
	ds_read_b64 v[2:3], v4
	ds_read_u8 v13, v4 offset:12
	ds_read_u8 v15, v4 offset:20
	ds_read_b32 v7, v4 offset:24
	ds_read_u8 v17, v4 offset:28
	v_mov_b32_e32 v19, 0
	s_waitcnt lgkmcnt(4)
	v_max_i32_e32 v21, v8, v2
	s_waitcnt lgkmcnt(3)
	v_cmp_eq_u16_sdwa s[50:51], v13, v19 src0_sel:BYTE_0 src1_sel:DWORD
	v_and_b32_e32 v6, 1, v3
	s_nop 0
	v_cndmask_b32_e64 v8, v8, v21, s[50:51]
	v_max_i32_e32 v8, v9, v8
	s_waitcnt lgkmcnt(2)
	v_cmp_eq_u16_sdwa s[50:51], v15, v19 src0_sel:BYTE_0 src1_sel:DWORD
	s_nop 1
	v_cndmask_b32_e64 v8, v9, v8, s[50:51]
	s_waitcnt lgkmcnt(1)
	v_max_i32_e32 v8, v7, v8
	s_waitcnt lgkmcnt(0)
	v_cmp_eq_u16_e64 s[50:51], 0, v17
	v_mbcnt_lo_u32_b32 v9, -1, 0
	v_mbcnt_hi_u32_b32 v9, -1, v9
	v_cndmask_b32_e64 v7, v7, v8, s[50:51]
	v_or_b32_e32 v8, v17, v15
	v_or_b32_e32 v8, v8, v13
	v_and_b32_e32 v8, 1, v8
	v_cmp_eq_u32_e64 s[50:51], 1, v8
	v_and_b32_e32 v8, 0xffffff00, v3
	v_and_b32_e32 v17, 15, v9
	v_cndmask_b32_e64 v13, v6, 1, s[50:51]
	v_or_b32_sdwa v15, v8, v13 dst_sel:DWORD dst_unused:UNUSED_PAD src0_sel:DWORD src1_sel:WORD_0
	v_mov_b32_dpp v21, v7 row_shr:1 row_mask:0xf bank_mask:0xf
	v_cmp_ne_u32_e64 s[50:51], 0, v17
	v_mov_b32_dpp v19, v15 row_shr:1 row_mask:0xf bank_mask:0xf
	s_and_saveexec_b64 s[56:57], s[50:51]
; %bb.214:
	v_max_i32_e32 v15, v7, v21
	v_cmp_eq_u16_e64 s[50:51], 0, v13
	v_and_b32_e32 v13, 1, v13
	s_nop 0
	v_cndmask_b32_e64 v7, v7, v15, s[50:51]
	v_and_b32_e32 v15, 1, v19
	v_cmp_eq_u32_e64 s[50:51], 1, v13
	s_nop 1
	v_cndmask_b32_e64 v13, v15, 1, s[50:51]
	v_or_b32_sdwa v15, v8, v13 dst_sel:DWORD dst_unused:UNUSED_PAD src0_sel:DWORD src1_sel:WORD_0
; %bb.215:
	s_or_b64 exec, exec, s[56:57]
	v_mov_b32_dpp v21, v7 row_shr:2 row_mask:0xf bank_mask:0xf
	v_mov_b32_dpp v19, v15 row_shr:2 row_mask:0xf bank_mask:0xf
	v_cmp_lt_u32_e64 s[50:51], 1, v17
	s_and_saveexec_b64 s[56:57], s[50:51]
; %bb.216:
	v_max_i32_e32 v15, v7, v21
	v_cmp_eq_u16_e64 s[50:51], 0, v13
	v_and_b32_e32 v13, 1, v13
	s_nop 0
	v_cndmask_b32_e64 v7, v7, v15, s[50:51]
	v_and_b32_e32 v15, 1, v19
	v_cmp_eq_u32_e64 s[50:51], 1, v13
	s_nop 1
	v_cndmask_b32_e64 v13, v15, 1, s[50:51]
	v_or_b32_sdwa v15, v8, v13 dst_sel:DWORD dst_unused:UNUSED_PAD src0_sel:DWORD src1_sel:WORD_0
; %bb.217:
	s_or_b64 exec, exec, s[56:57]
	v_mov_b32_dpp v21, v7 row_shr:4 row_mask:0xf bank_mask:0xf
	v_mov_b32_dpp v19, v15 row_shr:4 row_mask:0xf bank_mask:0xf
	v_cmp_lt_u32_e64 s[50:51], 3, v17
	;; [unrolled: 17-line block ×3, first 2 shown]
	s_and_saveexec_b64 s[56:57], s[50:51]
; %bb.220:
	v_max_i32_e32 v15, v7, v21
	v_cmp_eq_u16_e64 s[50:51], 0, v13
	v_and_b32_e32 v13, 1, v13
	s_nop 0
	v_cndmask_b32_e64 v7, v7, v15, s[50:51]
	v_and_b32_e32 v15, 1, v19
	v_cmp_eq_u32_e64 s[50:51], 1, v13
	s_nop 1
	v_cndmask_b32_e64 v13, v15, 1, s[50:51]
	v_or_b32_sdwa v15, v8, v13 dst_sel:DWORD dst_unused:UNUSED_PAD src0_sel:DWORD src1_sel:WORD_0
; %bb.221:
	s_or_b64 exec, exec, s[56:57]
	v_and_b32_e32 v21, 16, v9
	v_mov_b32_dpp v19, v7 row_bcast:15 row_mask:0xf bank_mask:0xf
	v_mov_b32_dpp v17, v15 row_bcast:15 row_mask:0xf bank_mask:0xf
	v_cmp_ne_u32_e64 s[50:51], 0, v21
	s_and_saveexec_b64 s[56:57], s[50:51]
; %bb.222:
	v_max_i32_e32 v15, v7, v19
	v_cmp_eq_u16_e64 s[50:51], 0, v13
	v_and_b32_e32 v13, 1, v13
	s_nop 0
	v_cndmask_b32_e64 v7, v7, v15, s[50:51]
	v_and_b32_e32 v15, 1, v17
	v_cmp_eq_u32_e64 s[50:51], 1, v13
	s_nop 1
	v_cndmask_b32_e64 v13, v15, 1, s[50:51]
	v_or_b32_sdwa v15, v8, v13 dst_sel:DWORD dst_unused:UNUSED_PAD src0_sel:DWORD src1_sel:WORD_0
; %bb.223:
	s_or_b64 exec, exec, s[56:57]
	v_mov_b32_dpp v17, v7 row_bcast:31 row_mask:0xf bank_mask:0xf
	v_mov_b32_dpp v15, v15 row_bcast:31 row_mask:0xf bank_mask:0xf
	v_cmp_lt_u32_e64 s[50:51], 31, v9
	s_and_saveexec_b64 s[56:57], s[50:51]
; %bb.224:
	v_max_i32_e32 v17, v7, v17
	v_cmp_eq_u16_e64 s[50:51], 0, v13
	v_and_b32_e32 v13, 1, v13
	v_and_b32_e32 v15, 1, v15
	v_cndmask_b32_e64 v7, v7, v17, s[50:51]
	v_cmp_eq_u32_e64 s[50:51], 1, v13
	s_nop 1
	v_cndmask_b32_e64 v13, v15, 1, s[50:51]
; %bb.225:
	s_or_b64 exec, exec, s[56:57]
	v_add_u32_e32 v15, -1, v9
	v_and_b32_e32 v17, 64, v9
	v_cmp_lt_i32_e64 s[50:51], v15, v17
	v_or_b32_sdwa v8, v8, v13 dst_sel:DWORD dst_unused:UNUSED_PAD src0_sel:DWORD src1_sel:WORD_0
	s_nop 0
	v_cndmask_b32_e64 v9, v15, v9, s[50:51]
	v_lshlrev_b32_e32 v9, 2, v9
	ds_bpermute_b32 v7, v9, v7
	ds_bpermute_b32 v8, v9, v8
	v_mov_b32_e32 v9, 0
	v_cmp_eq_u16_sdwa s[50:51], v3, v9 src0_sel:BYTE_0 src1_sel:DWORD
	; wave barrier
	s_waitcnt lgkmcnt(1)
	v_max_i32_e32 v7, v2, v7
	v_cndmask_b32_e64 v2, v2, v7, s[50:51]
	s_waitcnt lgkmcnt(0)
	v_and_b32_e32 v3, 1, v8
	v_cmp_eq_u32_e64 s[50:51], 1, v6
	v_cndmask_b32_e32 v6, v2, v79, vcc
	s_nop 0
	v_cndmask_b32_e64 v3, v3, 1, s[50:51]
	v_cndmask_b32_e32 v5, v3, v5, vcc
	ds_write_b32 v4, v6
	ds_write_b8 v4, v5 offset:4
	; wave barrier
	ds_read2_b32 v[2:3], v4 offset0:2 offset1:4
	ds_read_u8 v7, v4 offset:12
	ds_read_u8 v8, v4 offset:20
	ds_read_b32 v9, v4 offset:24
	ds_read_u8 v13, v4 offset:28
	s_waitcnt lgkmcnt(4)
	v_max_i32_e32 v6, v2, v6
	s_waitcnt lgkmcnt(3)
	v_cmp_eq_u16_e64 s[50:51], 0, v7
	s_nop 1
	v_cndmask_b32_e64 v2, v2, v6, s[50:51]
	v_and_b32_e32 v6, 1, v7
	v_cmp_eq_u32_e64 s[50:51], 1, v6
	v_max_i32_e32 v6, v3, v2
	s_nop 0
	v_cndmask_b32_e64 v5, v5, 1, s[50:51]
	s_waitcnt lgkmcnt(2)
	v_cmp_eq_u16_e64 s[50:51], 0, v8
	ds_write_b8 v4, v5 offset:12
	s_nop 0
	v_cndmask_b32_e64 v3, v3, v6, s[50:51]
	v_and_b32_e32 v6, 1, v8
	v_cmp_eq_u32_e64 s[50:51], 1, v6
	s_nop 1
	v_cndmask_b32_e64 v5, v5, 1, s[50:51]
	ds_write2_b32 v4, v2, v3 offset0:2 offset1:4
	ds_write_b8 v4, v5 offset:20
	s_waitcnt lgkmcnt(4)
	v_max_i32_e32 v2, v9, v3
	s_waitcnt lgkmcnt(3)
	v_cmp_eq_u16_e64 s[50:51], 0, v13
	v_and_b32_e32 v3, 1, v13
	s_nop 0
	v_cndmask_b32_e64 v2, v9, v2, s[50:51]
	v_cmp_eq_u32_e64 s[50:51], 1, v3
	s_nop 1
	v_cndmask_b32_e64 v3, v5, 1, s[50:51]
	ds_write_b32 v4, v2 offset:24
	ds_write_b8 v4, v3 offset:28
.LBB75_226:
	s_or_b64 exec, exec, s[52:53]
	v_mov_b32_e32 v2, v79
	s_waitcnt lgkmcnt(0)
	s_barrier
	s_and_saveexec_b64 s[50:51], s[2:3]
	s_cbranch_execz .LBB75_277
; %bb.227:
	v_add_u32_e32 v2, -1, v0
	v_lshrrev_b32_e32 v3, 5, v2
	v_add_lshl_u32 v2, v3, v2, 3
	ds_read_b32 v2, v2
	s_or_b64 exec, exec, s[50:51]
	s_and_saveexec_b64 s[50:51], s[2:3]
	s_cbranch_execnz .LBB75_278
.LBB75_228:
	s_or_b64 exec, exec, s[50:51]
	s_and_saveexec_b64 s[2:3], vcc
	s_cbranch_execz .LBB75_230
.LBB75_229:
	v_mov_b32_e32 v5, 0
	s_waitcnt lgkmcnt(0)
	ds_read_b32 v2, v5 offset:2096
	ds_read_u8 v3, v5 offset:2100
	s_add_u32 s4, s64, 0x400
	s_addc_u32 s5, s65, 0
	v_mov_b32_e32 v4, 2
	v_mov_b64_e32 v[6:7], s[4:5]
	s_waitcnt lgkmcnt(0)
	;;#ASMSTART
	global_store_dwordx4 v[6:7], v[2:5] off sc1	
s_waitcnt vmcnt(0)
	;;#ASMEND
.LBB75_230:
	s_or_b64 exec, exec, s[2:3]
	v_mov_b32_e32 v80, v10
.LBB75_231:
	s_lshl_b64 s[2:3], s[68:69], 2
	s_add_u32 s4, s54, s2
	s_addc_u32 s5, s55, s3
	s_lshl_b64 s[2:3], s[60:61], 2
	s_add_u32 s2, s4, s2
	s_addc_u32 s3, s5, s3
	s_and_b64 vcc, exec, s[0:1]
	s_cbranch_vccz .LBB75_279
; %bb.232:
	s_movk_i32 s0, 0x5c
	v_mul_i32_i24_e32 v27, 0xffffffa8, v0
	v_mul_u32_u24_e32 v26, 0x5c, v0
	s_waitcnt lgkmcnt(0)
	v_mad_u32_u24 v2, v0, s0, v27
	s_barrier
	ds_write2_b32 v26, v80, v56 offset1:1
	ds_write2_b32 v26, v57, v58 offset0:2 offset1:3
	ds_write2_b32 v26, v59, v62 offset0:4 offset1:5
	;; [unrolled: 1-line block ×10, first 2 shown]
	ds_write_b32 v26, v79 offset:88
	s_waitcnt lgkmcnt(0)
	s_barrier
	ds_read2st64_b32 v[22:23], v2 offset0:4 offset1:8
	ds_read2st64_b32 v[20:21], v2 offset0:12 offset1:16
	;; [unrolled: 1-line block ×11, first 2 shown]
	v_mov_b32_e32 v24, s3
	v_sub_co_u32_e32 v25, vcc, s2, v1
	s_add_i32 s33, s33, s66
	s_nop 0
	v_subbrev_co_u32_e32 v24, vcc, 0, v24, vcc
	v_cmp_gt_u32_e32 vcc, s33, v0
	s_and_saveexec_b64 s[0:1], vcc
	s_cbranch_execz .LBB75_234
; %bb.233:
	v_add_u32_e32 v26, v26, v27
	ds_read_b32 v28, v26
	v_add_co_u32_e32 v26, vcc, -4, v25
	s_nop 1
	v_addc_co_u32_e32 v27, vcc, -1, v24, vcc
	s_waitcnt lgkmcnt(0)
	flat_store_dword v[26:27], v28
.LBB75_234:
	s_or_b64 exec, exec, s[0:1]
	v_or_b32_e32 v26, 0x100, v0
	v_cmp_gt_u32_e32 vcc, s33, v26
	s_and_saveexec_b64 s[0:1], vcc
	s_cbranch_execz .LBB75_236
; %bb.235:
	v_add_co_u32_e32 v26, vcc, 0xfffffbfc, v25
	s_nop 1
	v_addc_co_u32_e32 v27, vcc, -1, v24, vcc
	s_waitcnt lgkmcnt(0)
	flat_store_dword v[26:27], v22
.LBB75_236:
	s_or_b64 exec, exec, s[0:1]
	s_waitcnt lgkmcnt(0)
	v_or_b32_e32 v22, 0x200, v0
	v_cmp_gt_u32_e32 vcc, s33, v22
	s_and_saveexec_b64 s[0:1], vcc
	s_cbranch_execz .LBB75_238
; %bb.237:
	v_add_co_u32_e32 v26, vcc, 0xfffff7fc, v25
	s_nop 1
	v_addc_co_u32_e32 v27, vcc, -1, v24, vcc
	flat_store_dword v[26:27], v23
.LBB75_238:
	s_or_b64 exec, exec, s[0:1]
	v_or_b32_e32 v22, 0x300, v0
	v_cmp_gt_u32_e32 vcc, s33, v22
	s_and_saveexec_b64 s[0:1], vcc
	s_cbranch_execz .LBB75_240
; %bb.239:
	v_add_co_u32_e32 v22, vcc, 0xfffff3fc, v25
	s_nop 1
	v_addc_co_u32_e32 v23, vcc, -1, v24, vcc
	flat_store_dword v[22:23], v20
.LBB75_240:
	s_or_b64 exec, exec, s[0:1]
	;; [unrolled: 11-line block ×19, first 2 shown]
	v_sub_co_u32_e32 v4, vcc, 0, v0
	v_or_b32_e32 v6, 0x1500, v0
	s_nop 0
	v_subb_co_u32_e64 v5, s[0:1], 0, 0, vcc
	v_cmp_gt_u32_e32 vcc, s33, v6
	s_and_saveexec_b64 s[0:1], vcc
	s_cbranch_execz .LBB75_276
; %bb.275:
	v_add_co_u32_e32 v6, vcc, 0xffffabfc, v25
	s_nop 1
	v_addc_co_u32_e32 v7, vcc, -1, v24, vcc
	flat_store_dword v[6:7], v2
.LBB75_276:
	s_or_b64 exec, exec, s[0:1]
	v_or_b32_e32 v2, 0x1600, v0
	v_cmp_gt_u32_e64 s[0:1], s33, v2
	s_branch .LBB75_281
.LBB75_277:
	s_or_b64 exec, exec, s[50:51]
	s_and_saveexec_b64 s[50:51], s[2:3]
	s_cbranch_execz .LBB75_228
.LBB75_278:
	v_and_b32_e32 v5, 0xff, v11
	v_mov_b32_e32 v4, 0
	s_waitcnt lgkmcnt(0)
	v_max_i32_e32 v2, v10, v2
	v_cmp_eq_u64_e64 s[2:3], 0, v[4:5]
	;;#ASMSTART
	;;#ASMEND
	s_nop 1
	v_cndmask_b32_e64 v10, v10, v2, s[2:3]
	v_max_i32_e32 v2, v12, v10
	v_cndmask_b32_e64 v56, v12, v2, s[4:5]
	v_max_i32_e32 v2, v14, v56
	;; [unrolled: 2-line block ×22, first 2 shown]
	v_cndmask_b32_e64 v79, v54, v2, s[48:49]
	s_or_b64 exec, exec, s[50:51]
	s_and_saveexec_b64 s[2:3], vcc
	s_cbranch_execnz .LBB75_229
	s_branch .LBB75_230
.LBB75_279:
	s_mov_b64 s[0:1], 0
                                        ; implicit-def: $vgpr3
                                        ; implicit-def: $vgpr4_vgpr5
	s_cbranch_execz .LBB75_281
; %bb.280:
	s_waitcnt lgkmcnt(0)
	v_mul_u32_u24_e32 v2, 0x5c, v0
	s_barrier
	s_movk_i32 s4, 0x5c
	ds_write2_b32 v2, v80, v56 offset1:1
	ds_write2_b32 v2, v57, v58 offset0:2 offset1:3
	ds_write2_b32 v2, v59, v62 offset0:4 offset1:5
	;; [unrolled: 1-line block ×10, first 2 shown]
	ds_write_b32 v2, v79 offset:88
	v_mul_i32_i24_e32 v2, 0xffffffa8, v0
	v_mad_u32_u24 v2, v0, s4, v2
	v_sub_co_u32_e32 v4, vcc, 0, v0
	s_waitcnt lgkmcnt(0)
	s_barrier
	ds_read2st64_b32 v[6:7], v2 offset1:4
	ds_read2st64_b32 v[8:9], v2 offset0:8 offset1:12
	ds_read2st64_b32 v[10:11], v2 offset0:16 offset1:20
	;; [unrolled: 1-line block ×10, first 2 shown]
	ds_read_b32 v3, v2 offset:22528
	v_subb_co_u32_e64 v5, s[4:5], 0, 0, vcc
	v_mov_b32_e32 v0, s3
	v_sub_co_u32_e32 v2, vcc, s2, v1
	s_movk_i32 s4, 0xf3fc
	s_nop 0
	v_subbrev_co_u32_e32 v28, vcc, 0, v0, vcc
	v_add_co_u32_e32 v0, vcc, s4, v2
	s_movk_i32 s4, 0xe3fc
	s_nop 0
	v_addc_co_u32_e32 v1, vcc, -1, v28, vcc
	s_waitcnt lgkmcnt(0)
	flat_store_dword v[0:1], v6 offset:3072
	flat_store_dword v[0:1], v7 offset:2048
	flat_store_dword v[0:1], v8 offset:1024
	flat_store_dword v[0:1], v9
	v_add_co_u32_e32 v0, vcc, s4, v2
	s_movk_i32 s4, 0xd3fc
	s_nop 0
	v_addc_co_u32_e32 v1, vcc, -1, v28, vcc
	flat_store_dword v[0:1], v10 offset:3072
	flat_store_dword v[0:1], v11 offset:2048
	flat_store_dword v[0:1], v12 offset:1024
	flat_store_dword v[0:1], v13
	v_add_co_u32_e32 v0, vcc, s4, v2
	s_movk_i32 s4, 0xc3fc
	s_nop 0
	v_addc_co_u32_e32 v1, vcc, -1, v28, vcc
	flat_store_dword v[0:1], v14 offset:3072
	flat_store_dword v[0:1], v15 offset:2048
	flat_store_dword v[0:1], v16 offset:1024
	flat_store_dword v[0:1], v17
	v_add_co_u32_e32 v0, vcc, s4, v2
	s_movk_i32 s4, 0xb7fc
	s_nop 0
	v_addc_co_u32_e32 v1, vcc, -1, v28, vcc
	flat_store_dword v[0:1], v18 offset:3072
	flat_store_dword v[0:1], v19 offset:2048
	;; [unrolled: 1-line block ×3, first 2 shown]
	flat_store_dword v[0:1], v21
	v_add_co_u32_e32 v0, vcc, s4, v2
	s_or_b64 s[0:1], s[0:1], exec
	s_nop 0
	v_addc_co_u32_e32 v1, vcc, -1, v28, vcc
	flat_store_dword v[0:1], v22 offset:2048
	flat_store_dword v[0:1], v23 offset:1024
	flat_store_dword v[0:1], v24
	v_add_co_u32_e32 v0, vcc, 0xffffb3fc, v2
	s_nop 1
	v_addc_co_u32_e32 v1, vcc, -1, v28, vcc
	flat_store_dword v[0:1], v25
	v_add_co_u32_e32 v0, vcc, 0xffffaffc, v2
	s_nop 1
	v_addc_co_u32_e32 v1, vcc, -1, v28, vcc
	;; [unrolled: 4-line block ×3, first 2 shown]
	flat_store_dword v[0:1], v27
.LBB75_281:
	s_and_saveexec_b64 s[4:5], s[0:1]
	s_cbranch_execz .LBB75_283
; %bb.282:
	v_lshl_add_u64 v[0:1], v[4:5], 2, s[2:3]
	v_add_co_u32_e32 v0, vcc, 0xffffa7fc, v0
	s_nop 1
	v_addc_co_u32_e32 v1, vcc, -1, v1, vcc
	flat_store_dword v[0:1], v3
	s_endpgm
.LBB75_283:
	s_endpgm
	.section	.rodata,"a",@progbits
	.p2align	6, 0x0
	.amdhsa_kernel _ZN7rocprim17ROCPRIM_400000_NS6detail17trampoline_kernelINS0_14default_configENS1_27scan_by_key_config_selectorIiiEEZZNS1_16scan_by_key_implILNS1_25lookback_scan_determinismE0ELb0ES3_N6thrust23THRUST_200600_302600_NS16reverse_iteratorIPKiEESD_NSA_IPiEEiN6hipcub16HIPCUB_304000_NS3MaxENSH_8EqualityEiEE10hipError_tPvRmT2_T3_T4_T5_mT6_T7_P12ihipStream_tbENKUlT_T0_E_clISt17integral_constantIbLb1EESZ_IbLb0EEEEDaSV_SW_EUlSV_E_NS1_11comp_targetILNS1_3genE5ELNS1_11target_archE942ELNS1_3gpuE9ELNS1_3repE0EEENS1_30default_config_static_selectorELNS0_4arch9wavefront6targetE1EEEvT1_
		.amdhsa_group_segment_fixed_size 25600
		.amdhsa_private_segment_fixed_size 0
		.amdhsa_kernarg_size 112
		.amdhsa_user_sgpr_count 2
		.amdhsa_user_sgpr_dispatch_ptr 0
		.amdhsa_user_sgpr_queue_ptr 0
		.amdhsa_user_sgpr_kernarg_segment_ptr 1
		.amdhsa_user_sgpr_dispatch_id 0
		.amdhsa_user_sgpr_kernarg_preload_length 0
		.amdhsa_user_sgpr_kernarg_preload_offset 0
		.amdhsa_user_sgpr_private_segment_size 0
		.amdhsa_uses_dynamic_stack 0
		.amdhsa_enable_private_segment 0
		.amdhsa_system_sgpr_workgroup_id_x 1
		.amdhsa_system_sgpr_workgroup_id_y 0
		.amdhsa_system_sgpr_workgroup_id_z 0
		.amdhsa_system_sgpr_workgroup_info 0
		.amdhsa_system_vgpr_workitem_id 0
		.amdhsa_next_free_vgpr 81
		.amdhsa_next_free_sgpr 81
		.amdhsa_accum_offset 84
		.amdhsa_reserve_vcc 1
		.amdhsa_float_round_mode_32 0
		.amdhsa_float_round_mode_16_64 0
		.amdhsa_float_denorm_mode_32 3
		.amdhsa_float_denorm_mode_16_64 3
		.amdhsa_dx10_clamp 1
		.amdhsa_ieee_mode 1
		.amdhsa_fp16_overflow 0
		.amdhsa_tg_split 0
		.amdhsa_exception_fp_ieee_invalid_op 0
		.amdhsa_exception_fp_denorm_src 0
		.amdhsa_exception_fp_ieee_div_zero 0
		.amdhsa_exception_fp_ieee_overflow 0
		.amdhsa_exception_fp_ieee_underflow 0
		.amdhsa_exception_fp_ieee_inexact 0
		.amdhsa_exception_int_div_zero 0
	.end_amdhsa_kernel
	.section	.text._ZN7rocprim17ROCPRIM_400000_NS6detail17trampoline_kernelINS0_14default_configENS1_27scan_by_key_config_selectorIiiEEZZNS1_16scan_by_key_implILNS1_25lookback_scan_determinismE0ELb0ES3_N6thrust23THRUST_200600_302600_NS16reverse_iteratorIPKiEESD_NSA_IPiEEiN6hipcub16HIPCUB_304000_NS3MaxENSH_8EqualityEiEE10hipError_tPvRmT2_T3_T4_T5_mT6_T7_P12ihipStream_tbENKUlT_T0_E_clISt17integral_constantIbLb1EESZ_IbLb0EEEEDaSV_SW_EUlSV_E_NS1_11comp_targetILNS1_3genE5ELNS1_11target_archE942ELNS1_3gpuE9ELNS1_3repE0EEENS1_30default_config_static_selectorELNS0_4arch9wavefront6targetE1EEEvT1_,"axG",@progbits,_ZN7rocprim17ROCPRIM_400000_NS6detail17trampoline_kernelINS0_14default_configENS1_27scan_by_key_config_selectorIiiEEZZNS1_16scan_by_key_implILNS1_25lookback_scan_determinismE0ELb0ES3_N6thrust23THRUST_200600_302600_NS16reverse_iteratorIPKiEESD_NSA_IPiEEiN6hipcub16HIPCUB_304000_NS3MaxENSH_8EqualityEiEE10hipError_tPvRmT2_T3_T4_T5_mT6_T7_P12ihipStream_tbENKUlT_T0_E_clISt17integral_constantIbLb1EESZ_IbLb0EEEEDaSV_SW_EUlSV_E_NS1_11comp_targetILNS1_3genE5ELNS1_11target_archE942ELNS1_3gpuE9ELNS1_3repE0EEENS1_30default_config_static_selectorELNS0_4arch9wavefront6targetE1EEEvT1_,comdat
.Lfunc_end75:
	.size	_ZN7rocprim17ROCPRIM_400000_NS6detail17trampoline_kernelINS0_14default_configENS1_27scan_by_key_config_selectorIiiEEZZNS1_16scan_by_key_implILNS1_25lookback_scan_determinismE0ELb0ES3_N6thrust23THRUST_200600_302600_NS16reverse_iteratorIPKiEESD_NSA_IPiEEiN6hipcub16HIPCUB_304000_NS3MaxENSH_8EqualityEiEE10hipError_tPvRmT2_T3_T4_T5_mT6_T7_P12ihipStream_tbENKUlT_T0_E_clISt17integral_constantIbLb1EESZ_IbLb0EEEEDaSV_SW_EUlSV_E_NS1_11comp_targetILNS1_3genE5ELNS1_11target_archE942ELNS1_3gpuE9ELNS1_3repE0EEENS1_30default_config_static_selectorELNS0_4arch9wavefront6targetE1EEEvT1_, .Lfunc_end75-_ZN7rocprim17ROCPRIM_400000_NS6detail17trampoline_kernelINS0_14default_configENS1_27scan_by_key_config_selectorIiiEEZZNS1_16scan_by_key_implILNS1_25lookback_scan_determinismE0ELb0ES3_N6thrust23THRUST_200600_302600_NS16reverse_iteratorIPKiEESD_NSA_IPiEEiN6hipcub16HIPCUB_304000_NS3MaxENSH_8EqualityEiEE10hipError_tPvRmT2_T3_T4_T5_mT6_T7_P12ihipStream_tbENKUlT_T0_E_clISt17integral_constantIbLb1EESZ_IbLb0EEEEDaSV_SW_EUlSV_E_NS1_11comp_targetILNS1_3genE5ELNS1_11target_archE942ELNS1_3gpuE9ELNS1_3repE0EEENS1_30default_config_static_selectorELNS0_4arch9wavefront6targetE1EEEvT1_
                                        ; -- End function
	.section	.AMDGPU.csdata,"",@progbits
; Kernel info:
; codeLenInByte = 16360
; NumSgprs: 87
; NumVgprs: 81
; NumAgprs: 0
; TotalNumVgprs: 81
; ScratchSize: 0
; MemoryBound: 0
; FloatMode: 240
; IeeeMode: 1
; LDSByteSize: 25600 bytes/workgroup (compile time only)
; SGPRBlocks: 10
; VGPRBlocks: 10
; NumSGPRsForWavesPerEU: 87
; NumVGPRsForWavesPerEU: 81
; AccumOffset: 84
; Occupancy: 2
; WaveLimiterHint : 1
; COMPUTE_PGM_RSRC2:SCRATCH_EN: 0
; COMPUTE_PGM_RSRC2:USER_SGPR: 2
; COMPUTE_PGM_RSRC2:TRAP_HANDLER: 0
; COMPUTE_PGM_RSRC2:TGID_X_EN: 1
; COMPUTE_PGM_RSRC2:TGID_Y_EN: 0
; COMPUTE_PGM_RSRC2:TGID_Z_EN: 0
; COMPUTE_PGM_RSRC2:TIDIG_COMP_CNT: 0
; COMPUTE_PGM_RSRC3_GFX90A:ACCUM_OFFSET: 20
; COMPUTE_PGM_RSRC3_GFX90A:TG_SPLIT: 0
	.section	.text._ZN7rocprim17ROCPRIM_400000_NS6detail17trampoline_kernelINS0_14default_configENS1_27scan_by_key_config_selectorIiiEEZZNS1_16scan_by_key_implILNS1_25lookback_scan_determinismE0ELb0ES3_N6thrust23THRUST_200600_302600_NS16reverse_iteratorIPKiEESD_NSA_IPiEEiN6hipcub16HIPCUB_304000_NS3MaxENSH_8EqualityEiEE10hipError_tPvRmT2_T3_T4_T5_mT6_T7_P12ihipStream_tbENKUlT_T0_E_clISt17integral_constantIbLb1EESZ_IbLb0EEEEDaSV_SW_EUlSV_E_NS1_11comp_targetILNS1_3genE4ELNS1_11target_archE910ELNS1_3gpuE8ELNS1_3repE0EEENS1_30default_config_static_selectorELNS0_4arch9wavefront6targetE1EEEvT1_,"axG",@progbits,_ZN7rocprim17ROCPRIM_400000_NS6detail17trampoline_kernelINS0_14default_configENS1_27scan_by_key_config_selectorIiiEEZZNS1_16scan_by_key_implILNS1_25lookback_scan_determinismE0ELb0ES3_N6thrust23THRUST_200600_302600_NS16reverse_iteratorIPKiEESD_NSA_IPiEEiN6hipcub16HIPCUB_304000_NS3MaxENSH_8EqualityEiEE10hipError_tPvRmT2_T3_T4_T5_mT6_T7_P12ihipStream_tbENKUlT_T0_E_clISt17integral_constantIbLb1EESZ_IbLb0EEEEDaSV_SW_EUlSV_E_NS1_11comp_targetILNS1_3genE4ELNS1_11target_archE910ELNS1_3gpuE8ELNS1_3repE0EEENS1_30default_config_static_selectorELNS0_4arch9wavefront6targetE1EEEvT1_,comdat
	.protected	_ZN7rocprim17ROCPRIM_400000_NS6detail17trampoline_kernelINS0_14default_configENS1_27scan_by_key_config_selectorIiiEEZZNS1_16scan_by_key_implILNS1_25lookback_scan_determinismE0ELb0ES3_N6thrust23THRUST_200600_302600_NS16reverse_iteratorIPKiEESD_NSA_IPiEEiN6hipcub16HIPCUB_304000_NS3MaxENSH_8EqualityEiEE10hipError_tPvRmT2_T3_T4_T5_mT6_T7_P12ihipStream_tbENKUlT_T0_E_clISt17integral_constantIbLb1EESZ_IbLb0EEEEDaSV_SW_EUlSV_E_NS1_11comp_targetILNS1_3genE4ELNS1_11target_archE910ELNS1_3gpuE8ELNS1_3repE0EEENS1_30default_config_static_selectorELNS0_4arch9wavefront6targetE1EEEvT1_ ; -- Begin function _ZN7rocprim17ROCPRIM_400000_NS6detail17trampoline_kernelINS0_14default_configENS1_27scan_by_key_config_selectorIiiEEZZNS1_16scan_by_key_implILNS1_25lookback_scan_determinismE0ELb0ES3_N6thrust23THRUST_200600_302600_NS16reverse_iteratorIPKiEESD_NSA_IPiEEiN6hipcub16HIPCUB_304000_NS3MaxENSH_8EqualityEiEE10hipError_tPvRmT2_T3_T4_T5_mT6_T7_P12ihipStream_tbENKUlT_T0_E_clISt17integral_constantIbLb1EESZ_IbLb0EEEEDaSV_SW_EUlSV_E_NS1_11comp_targetILNS1_3genE4ELNS1_11target_archE910ELNS1_3gpuE8ELNS1_3repE0EEENS1_30default_config_static_selectorELNS0_4arch9wavefront6targetE1EEEvT1_
	.globl	_ZN7rocprim17ROCPRIM_400000_NS6detail17trampoline_kernelINS0_14default_configENS1_27scan_by_key_config_selectorIiiEEZZNS1_16scan_by_key_implILNS1_25lookback_scan_determinismE0ELb0ES3_N6thrust23THRUST_200600_302600_NS16reverse_iteratorIPKiEESD_NSA_IPiEEiN6hipcub16HIPCUB_304000_NS3MaxENSH_8EqualityEiEE10hipError_tPvRmT2_T3_T4_T5_mT6_T7_P12ihipStream_tbENKUlT_T0_E_clISt17integral_constantIbLb1EESZ_IbLb0EEEEDaSV_SW_EUlSV_E_NS1_11comp_targetILNS1_3genE4ELNS1_11target_archE910ELNS1_3gpuE8ELNS1_3repE0EEENS1_30default_config_static_selectorELNS0_4arch9wavefront6targetE1EEEvT1_
	.p2align	8
	.type	_ZN7rocprim17ROCPRIM_400000_NS6detail17trampoline_kernelINS0_14default_configENS1_27scan_by_key_config_selectorIiiEEZZNS1_16scan_by_key_implILNS1_25lookback_scan_determinismE0ELb0ES3_N6thrust23THRUST_200600_302600_NS16reverse_iteratorIPKiEESD_NSA_IPiEEiN6hipcub16HIPCUB_304000_NS3MaxENSH_8EqualityEiEE10hipError_tPvRmT2_T3_T4_T5_mT6_T7_P12ihipStream_tbENKUlT_T0_E_clISt17integral_constantIbLb1EESZ_IbLb0EEEEDaSV_SW_EUlSV_E_NS1_11comp_targetILNS1_3genE4ELNS1_11target_archE910ELNS1_3gpuE8ELNS1_3repE0EEENS1_30default_config_static_selectorELNS0_4arch9wavefront6targetE1EEEvT1_,@function
_ZN7rocprim17ROCPRIM_400000_NS6detail17trampoline_kernelINS0_14default_configENS1_27scan_by_key_config_selectorIiiEEZZNS1_16scan_by_key_implILNS1_25lookback_scan_determinismE0ELb0ES3_N6thrust23THRUST_200600_302600_NS16reverse_iteratorIPKiEESD_NSA_IPiEEiN6hipcub16HIPCUB_304000_NS3MaxENSH_8EqualityEiEE10hipError_tPvRmT2_T3_T4_T5_mT6_T7_P12ihipStream_tbENKUlT_T0_E_clISt17integral_constantIbLb1EESZ_IbLb0EEEEDaSV_SW_EUlSV_E_NS1_11comp_targetILNS1_3genE4ELNS1_11target_archE910ELNS1_3gpuE8ELNS1_3repE0EEENS1_30default_config_static_selectorELNS0_4arch9wavefront6targetE1EEEvT1_: ; @_ZN7rocprim17ROCPRIM_400000_NS6detail17trampoline_kernelINS0_14default_configENS1_27scan_by_key_config_selectorIiiEEZZNS1_16scan_by_key_implILNS1_25lookback_scan_determinismE0ELb0ES3_N6thrust23THRUST_200600_302600_NS16reverse_iteratorIPKiEESD_NSA_IPiEEiN6hipcub16HIPCUB_304000_NS3MaxENSH_8EqualityEiEE10hipError_tPvRmT2_T3_T4_T5_mT6_T7_P12ihipStream_tbENKUlT_T0_E_clISt17integral_constantIbLb1EESZ_IbLb0EEEEDaSV_SW_EUlSV_E_NS1_11comp_targetILNS1_3genE4ELNS1_11target_archE910ELNS1_3gpuE8ELNS1_3repE0EEENS1_30default_config_static_selectorELNS0_4arch9wavefront6targetE1EEEvT1_
; %bb.0:
	.section	.rodata,"a",@progbits
	.p2align	6, 0x0
	.amdhsa_kernel _ZN7rocprim17ROCPRIM_400000_NS6detail17trampoline_kernelINS0_14default_configENS1_27scan_by_key_config_selectorIiiEEZZNS1_16scan_by_key_implILNS1_25lookback_scan_determinismE0ELb0ES3_N6thrust23THRUST_200600_302600_NS16reverse_iteratorIPKiEESD_NSA_IPiEEiN6hipcub16HIPCUB_304000_NS3MaxENSH_8EqualityEiEE10hipError_tPvRmT2_T3_T4_T5_mT6_T7_P12ihipStream_tbENKUlT_T0_E_clISt17integral_constantIbLb1EESZ_IbLb0EEEEDaSV_SW_EUlSV_E_NS1_11comp_targetILNS1_3genE4ELNS1_11target_archE910ELNS1_3gpuE8ELNS1_3repE0EEENS1_30default_config_static_selectorELNS0_4arch9wavefront6targetE1EEEvT1_
		.amdhsa_group_segment_fixed_size 0
		.amdhsa_private_segment_fixed_size 0
		.amdhsa_kernarg_size 112
		.amdhsa_user_sgpr_count 2
		.amdhsa_user_sgpr_dispatch_ptr 0
		.amdhsa_user_sgpr_queue_ptr 0
		.amdhsa_user_sgpr_kernarg_segment_ptr 1
		.amdhsa_user_sgpr_dispatch_id 0
		.amdhsa_user_sgpr_kernarg_preload_length 0
		.amdhsa_user_sgpr_kernarg_preload_offset 0
		.amdhsa_user_sgpr_private_segment_size 0
		.amdhsa_uses_dynamic_stack 0
		.amdhsa_enable_private_segment 0
		.amdhsa_system_sgpr_workgroup_id_x 1
		.amdhsa_system_sgpr_workgroup_id_y 0
		.amdhsa_system_sgpr_workgroup_id_z 0
		.amdhsa_system_sgpr_workgroup_info 0
		.amdhsa_system_vgpr_workitem_id 0
		.amdhsa_next_free_vgpr 1
		.amdhsa_next_free_sgpr 0
		.amdhsa_accum_offset 4
		.amdhsa_reserve_vcc 0
		.amdhsa_float_round_mode_32 0
		.amdhsa_float_round_mode_16_64 0
		.amdhsa_float_denorm_mode_32 3
		.amdhsa_float_denorm_mode_16_64 3
		.amdhsa_dx10_clamp 1
		.amdhsa_ieee_mode 1
		.amdhsa_fp16_overflow 0
		.amdhsa_tg_split 0
		.amdhsa_exception_fp_ieee_invalid_op 0
		.amdhsa_exception_fp_denorm_src 0
		.amdhsa_exception_fp_ieee_div_zero 0
		.amdhsa_exception_fp_ieee_overflow 0
		.amdhsa_exception_fp_ieee_underflow 0
		.amdhsa_exception_fp_ieee_inexact 0
		.amdhsa_exception_int_div_zero 0
	.end_amdhsa_kernel
	.section	.text._ZN7rocprim17ROCPRIM_400000_NS6detail17trampoline_kernelINS0_14default_configENS1_27scan_by_key_config_selectorIiiEEZZNS1_16scan_by_key_implILNS1_25lookback_scan_determinismE0ELb0ES3_N6thrust23THRUST_200600_302600_NS16reverse_iteratorIPKiEESD_NSA_IPiEEiN6hipcub16HIPCUB_304000_NS3MaxENSH_8EqualityEiEE10hipError_tPvRmT2_T3_T4_T5_mT6_T7_P12ihipStream_tbENKUlT_T0_E_clISt17integral_constantIbLb1EESZ_IbLb0EEEEDaSV_SW_EUlSV_E_NS1_11comp_targetILNS1_3genE4ELNS1_11target_archE910ELNS1_3gpuE8ELNS1_3repE0EEENS1_30default_config_static_selectorELNS0_4arch9wavefront6targetE1EEEvT1_,"axG",@progbits,_ZN7rocprim17ROCPRIM_400000_NS6detail17trampoline_kernelINS0_14default_configENS1_27scan_by_key_config_selectorIiiEEZZNS1_16scan_by_key_implILNS1_25lookback_scan_determinismE0ELb0ES3_N6thrust23THRUST_200600_302600_NS16reverse_iteratorIPKiEESD_NSA_IPiEEiN6hipcub16HIPCUB_304000_NS3MaxENSH_8EqualityEiEE10hipError_tPvRmT2_T3_T4_T5_mT6_T7_P12ihipStream_tbENKUlT_T0_E_clISt17integral_constantIbLb1EESZ_IbLb0EEEEDaSV_SW_EUlSV_E_NS1_11comp_targetILNS1_3genE4ELNS1_11target_archE910ELNS1_3gpuE8ELNS1_3repE0EEENS1_30default_config_static_selectorELNS0_4arch9wavefront6targetE1EEEvT1_,comdat
.Lfunc_end76:
	.size	_ZN7rocprim17ROCPRIM_400000_NS6detail17trampoline_kernelINS0_14default_configENS1_27scan_by_key_config_selectorIiiEEZZNS1_16scan_by_key_implILNS1_25lookback_scan_determinismE0ELb0ES3_N6thrust23THRUST_200600_302600_NS16reverse_iteratorIPKiEESD_NSA_IPiEEiN6hipcub16HIPCUB_304000_NS3MaxENSH_8EqualityEiEE10hipError_tPvRmT2_T3_T4_T5_mT6_T7_P12ihipStream_tbENKUlT_T0_E_clISt17integral_constantIbLb1EESZ_IbLb0EEEEDaSV_SW_EUlSV_E_NS1_11comp_targetILNS1_3genE4ELNS1_11target_archE910ELNS1_3gpuE8ELNS1_3repE0EEENS1_30default_config_static_selectorELNS0_4arch9wavefront6targetE1EEEvT1_, .Lfunc_end76-_ZN7rocprim17ROCPRIM_400000_NS6detail17trampoline_kernelINS0_14default_configENS1_27scan_by_key_config_selectorIiiEEZZNS1_16scan_by_key_implILNS1_25lookback_scan_determinismE0ELb0ES3_N6thrust23THRUST_200600_302600_NS16reverse_iteratorIPKiEESD_NSA_IPiEEiN6hipcub16HIPCUB_304000_NS3MaxENSH_8EqualityEiEE10hipError_tPvRmT2_T3_T4_T5_mT6_T7_P12ihipStream_tbENKUlT_T0_E_clISt17integral_constantIbLb1EESZ_IbLb0EEEEDaSV_SW_EUlSV_E_NS1_11comp_targetILNS1_3genE4ELNS1_11target_archE910ELNS1_3gpuE8ELNS1_3repE0EEENS1_30default_config_static_selectorELNS0_4arch9wavefront6targetE1EEEvT1_
                                        ; -- End function
	.section	.AMDGPU.csdata,"",@progbits
; Kernel info:
; codeLenInByte = 0
; NumSgprs: 6
; NumVgprs: 0
; NumAgprs: 0
; TotalNumVgprs: 0
; ScratchSize: 0
; MemoryBound: 0
; FloatMode: 240
; IeeeMode: 1
; LDSByteSize: 0 bytes/workgroup (compile time only)
; SGPRBlocks: 0
; VGPRBlocks: 0
; NumSGPRsForWavesPerEU: 6
; NumVGPRsForWavesPerEU: 1
; AccumOffset: 4
; Occupancy: 8
; WaveLimiterHint : 0
; COMPUTE_PGM_RSRC2:SCRATCH_EN: 0
; COMPUTE_PGM_RSRC2:USER_SGPR: 2
; COMPUTE_PGM_RSRC2:TRAP_HANDLER: 0
; COMPUTE_PGM_RSRC2:TGID_X_EN: 1
; COMPUTE_PGM_RSRC2:TGID_Y_EN: 0
; COMPUTE_PGM_RSRC2:TGID_Z_EN: 0
; COMPUTE_PGM_RSRC2:TIDIG_COMP_CNT: 0
; COMPUTE_PGM_RSRC3_GFX90A:ACCUM_OFFSET: 0
; COMPUTE_PGM_RSRC3_GFX90A:TG_SPLIT: 0
	.section	.text._ZN7rocprim17ROCPRIM_400000_NS6detail17trampoline_kernelINS0_14default_configENS1_27scan_by_key_config_selectorIiiEEZZNS1_16scan_by_key_implILNS1_25lookback_scan_determinismE0ELb0ES3_N6thrust23THRUST_200600_302600_NS16reverse_iteratorIPKiEESD_NSA_IPiEEiN6hipcub16HIPCUB_304000_NS3MaxENSH_8EqualityEiEE10hipError_tPvRmT2_T3_T4_T5_mT6_T7_P12ihipStream_tbENKUlT_T0_E_clISt17integral_constantIbLb1EESZ_IbLb0EEEEDaSV_SW_EUlSV_E_NS1_11comp_targetILNS1_3genE3ELNS1_11target_archE908ELNS1_3gpuE7ELNS1_3repE0EEENS1_30default_config_static_selectorELNS0_4arch9wavefront6targetE1EEEvT1_,"axG",@progbits,_ZN7rocprim17ROCPRIM_400000_NS6detail17trampoline_kernelINS0_14default_configENS1_27scan_by_key_config_selectorIiiEEZZNS1_16scan_by_key_implILNS1_25lookback_scan_determinismE0ELb0ES3_N6thrust23THRUST_200600_302600_NS16reverse_iteratorIPKiEESD_NSA_IPiEEiN6hipcub16HIPCUB_304000_NS3MaxENSH_8EqualityEiEE10hipError_tPvRmT2_T3_T4_T5_mT6_T7_P12ihipStream_tbENKUlT_T0_E_clISt17integral_constantIbLb1EESZ_IbLb0EEEEDaSV_SW_EUlSV_E_NS1_11comp_targetILNS1_3genE3ELNS1_11target_archE908ELNS1_3gpuE7ELNS1_3repE0EEENS1_30default_config_static_selectorELNS0_4arch9wavefront6targetE1EEEvT1_,comdat
	.protected	_ZN7rocprim17ROCPRIM_400000_NS6detail17trampoline_kernelINS0_14default_configENS1_27scan_by_key_config_selectorIiiEEZZNS1_16scan_by_key_implILNS1_25lookback_scan_determinismE0ELb0ES3_N6thrust23THRUST_200600_302600_NS16reverse_iteratorIPKiEESD_NSA_IPiEEiN6hipcub16HIPCUB_304000_NS3MaxENSH_8EqualityEiEE10hipError_tPvRmT2_T3_T4_T5_mT6_T7_P12ihipStream_tbENKUlT_T0_E_clISt17integral_constantIbLb1EESZ_IbLb0EEEEDaSV_SW_EUlSV_E_NS1_11comp_targetILNS1_3genE3ELNS1_11target_archE908ELNS1_3gpuE7ELNS1_3repE0EEENS1_30default_config_static_selectorELNS0_4arch9wavefront6targetE1EEEvT1_ ; -- Begin function _ZN7rocprim17ROCPRIM_400000_NS6detail17trampoline_kernelINS0_14default_configENS1_27scan_by_key_config_selectorIiiEEZZNS1_16scan_by_key_implILNS1_25lookback_scan_determinismE0ELb0ES3_N6thrust23THRUST_200600_302600_NS16reverse_iteratorIPKiEESD_NSA_IPiEEiN6hipcub16HIPCUB_304000_NS3MaxENSH_8EqualityEiEE10hipError_tPvRmT2_T3_T4_T5_mT6_T7_P12ihipStream_tbENKUlT_T0_E_clISt17integral_constantIbLb1EESZ_IbLb0EEEEDaSV_SW_EUlSV_E_NS1_11comp_targetILNS1_3genE3ELNS1_11target_archE908ELNS1_3gpuE7ELNS1_3repE0EEENS1_30default_config_static_selectorELNS0_4arch9wavefront6targetE1EEEvT1_
	.globl	_ZN7rocprim17ROCPRIM_400000_NS6detail17trampoline_kernelINS0_14default_configENS1_27scan_by_key_config_selectorIiiEEZZNS1_16scan_by_key_implILNS1_25lookback_scan_determinismE0ELb0ES3_N6thrust23THRUST_200600_302600_NS16reverse_iteratorIPKiEESD_NSA_IPiEEiN6hipcub16HIPCUB_304000_NS3MaxENSH_8EqualityEiEE10hipError_tPvRmT2_T3_T4_T5_mT6_T7_P12ihipStream_tbENKUlT_T0_E_clISt17integral_constantIbLb1EESZ_IbLb0EEEEDaSV_SW_EUlSV_E_NS1_11comp_targetILNS1_3genE3ELNS1_11target_archE908ELNS1_3gpuE7ELNS1_3repE0EEENS1_30default_config_static_selectorELNS0_4arch9wavefront6targetE1EEEvT1_
	.p2align	8
	.type	_ZN7rocprim17ROCPRIM_400000_NS6detail17trampoline_kernelINS0_14default_configENS1_27scan_by_key_config_selectorIiiEEZZNS1_16scan_by_key_implILNS1_25lookback_scan_determinismE0ELb0ES3_N6thrust23THRUST_200600_302600_NS16reverse_iteratorIPKiEESD_NSA_IPiEEiN6hipcub16HIPCUB_304000_NS3MaxENSH_8EqualityEiEE10hipError_tPvRmT2_T3_T4_T5_mT6_T7_P12ihipStream_tbENKUlT_T0_E_clISt17integral_constantIbLb1EESZ_IbLb0EEEEDaSV_SW_EUlSV_E_NS1_11comp_targetILNS1_3genE3ELNS1_11target_archE908ELNS1_3gpuE7ELNS1_3repE0EEENS1_30default_config_static_selectorELNS0_4arch9wavefront6targetE1EEEvT1_,@function
_ZN7rocprim17ROCPRIM_400000_NS6detail17trampoline_kernelINS0_14default_configENS1_27scan_by_key_config_selectorIiiEEZZNS1_16scan_by_key_implILNS1_25lookback_scan_determinismE0ELb0ES3_N6thrust23THRUST_200600_302600_NS16reverse_iteratorIPKiEESD_NSA_IPiEEiN6hipcub16HIPCUB_304000_NS3MaxENSH_8EqualityEiEE10hipError_tPvRmT2_T3_T4_T5_mT6_T7_P12ihipStream_tbENKUlT_T0_E_clISt17integral_constantIbLb1EESZ_IbLb0EEEEDaSV_SW_EUlSV_E_NS1_11comp_targetILNS1_3genE3ELNS1_11target_archE908ELNS1_3gpuE7ELNS1_3repE0EEENS1_30default_config_static_selectorELNS0_4arch9wavefront6targetE1EEEvT1_: ; @_ZN7rocprim17ROCPRIM_400000_NS6detail17trampoline_kernelINS0_14default_configENS1_27scan_by_key_config_selectorIiiEEZZNS1_16scan_by_key_implILNS1_25lookback_scan_determinismE0ELb0ES3_N6thrust23THRUST_200600_302600_NS16reverse_iteratorIPKiEESD_NSA_IPiEEiN6hipcub16HIPCUB_304000_NS3MaxENSH_8EqualityEiEE10hipError_tPvRmT2_T3_T4_T5_mT6_T7_P12ihipStream_tbENKUlT_T0_E_clISt17integral_constantIbLb1EESZ_IbLb0EEEEDaSV_SW_EUlSV_E_NS1_11comp_targetILNS1_3genE3ELNS1_11target_archE908ELNS1_3gpuE7ELNS1_3repE0EEENS1_30default_config_static_selectorELNS0_4arch9wavefront6targetE1EEEvT1_
; %bb.0:
	.section	.rodata,"a",@progbits
	.p2align	6, 0x0
	.amdhsa_kernel _ZN7rocprim17ROCPRIM_400000_NS6detail17trampoline_kernelINS0_14default_configENS1_27scan_by_key_config_selectorIiiEEZZNS1_16scan_by_key_implILNS1_25lookback_scan_determinismE0ELb0ES3_N6thrust23THRUST_200600_302600_NS16reverse_iteratorIPKiEESD_NSA_IPiEEiN6hipcub16HIPCUB_304000_NS3MaxENSH_8EqualityEiEE10hipError_tPvRmT2_T3_T4_T5_mT6_T7_P12ihipStream_tbENKUlT_T0_E_clISt17integral_constantIbLb1EESZ_IbLb0EEEEDaSV_SW_EUlSV_E_NS1_11comp_targetILNS1_3genE3ELNS1_11target_archE908ELNS1_3gpuE7ELNS1_3repE0EEENS1_30default_config_static_selectorELNS0_4arch9wavefront6targetE1EEEvT1_
		.amdhsa_group_segment_fixed_size 0
		.amdhsa_private_segment_fixed_size 0
		.amdhsa_kernarg_size 112
		.amdhsa_user_sgpr_count 2
		.amdhsa_user_sgpr_dispatch_ptr 0
		.amdhsa_user_sgpr_queue_ptr 0
		.amdhsa_user_sgpr_kernarg_segment_ptr 1
		.amdhsa_user_sgpr_dispatch_id 0
		.amdhsa_user_sgpr_kernarg_preload_length 0
		.amdhsa_user_sgpr_kernarg_preload_offset 0
		.amdhsa_user_sgpr_private_segment_size 0
		.amdhsa_uses_dynamic_stack 0
		.amdhsa_enable_private_segment 0
		.amdhsa_system_sgpr_workgroup_id_x 1
		.amdhsa_system_sgpr_workgroup_id_y 0
		.amdhsa_system_sgpr_workgroup_id_z 0
		.amdhsa_system_sgpr_workgroup_info 0
		.amdhsa_system_vgpr_workitem_id 0
		.amdhsa_next_free_vgpr 1
		.amdhsa_next_free_sgpr 0
		.amdhsa_accum_offset 4
		.amdhsa_reserve_vcc 0
		.amdhsa_float_round_mode_32 0
		.amdhsa_float_round_mode_16_64 0
		.amdhsa_float_denorm_mode_32 3
		.amdhsa_float_denorm_mode_16_64 3
		.amdhsa_dx10_clamp 1
		.amdhsa_ieee_mode 1
		.amdhsa_fp16_overflow 0
		.amdhsa_tg_split 0
		.amdhsa_exception_fp_ieee_invalid_op 0
		.amdhsa_exception_fp_denorm_src 0
		.amdhsa_exception_fp_ieee_div_zero 0
		.amdhsa_exception_fp_ieee_overflow 0
		.amdhsa_exception_fp_ieee_underflow 0
		.amdhsa_exception_fp_ieee_inexact 0
		.amdhsa_exception_int_div_zero 0
	.end_amdhsa_kernel
	.section	.text._ZN7rocprim17ROCPRIM_400000_NS6detail17trampoline_kernelINS0_14default_configENS1_27scan_by_key_config_selectorIiiEEZZNS1_16scan_by_key_implILNS1_25lookback_scan_determinismE0ELb0ES3_N6thrust23THRUST_200600_302600_NS16reverse_iteratorIPKiEESD_NSA_IPiEEiN6hipcub16HIPCUB_304000_NS3MaxENSH_8EqualityEiEE10hipError_tPvRmT2_T3_T4_T5_mT6_T7_P12ihipStream_tbENKUlT_T0_E_clISt17integral_constantIbLb1EESZ_IbLb0EEEEDaSV_SW_EUlSV_E_NS1_11comp_targetILNS1_3genE3ELNS1_11target_archE908ELNS1_3gpuE7ELNS1_3repE0EEENS1_30default_config_static_selectorELNS0_4arch9wavefront6targetE1EEEvT1_,"axG",@progbits,_ZN7rocprim17ROCPRIM_400000_NS6detail17trampoline_kernelINS0_14default_configENS1_27scan_by_key_config_selectorIiiEEZZNS1_16scan_by_key_implILNS1_25lookback_scan_determinismE0ELb0ES3_N6thrust23THRUST_200600_302600_NS16reverse_iteratorIPKiEESD_NSA_IPiEEiN6hipcub16HIPCUB_304000_NS3MaxENSH_8EqualityEiEE10hipError_tPvRmT2_T3_T4_T5_mT6_T7_P12ihipStream_tbENKUlT_T0_E_clISt17integral_constantIbLb1EESZ_IbLb0EEEEDaSV_SW_EUlSV_E_NS1_11comp_targetILNS1_3genE3ELNS1_11target_archE908ELNS1_3gpuE7ELNS1_3repE0EEENS1_30default_config_static_selectorELNS0_4arch9wavefront6targetE1EEEvT1_,comdat
.Lfunc_end77:
	.size	_ZN7rocprim17ROCPRIM_400000_NS6detail17trampoline_kernelINS0_14default_configENS1_27scan_by_key_config_selectorIiiEEZZNS1_16scan_by_key_implILNS1_25lookback_scan_determinismE0ELb0ES3_N6thrust23THRUST_200600_302600_NS16reverse_iteratorIPKiEESD_NSA_IPiEEiN6hipcub16HIPCUB_304000_NS3MaxENSH_8EqualityEiEE10hipError_tPvRmT2_T3_T4_T5_mT6_T7_P12ihipStream_tbENKUlT_T0_E_clISt17integral_constantIbLb1EESZ_IbLb0EEEEDaSV_SW_EUlSV_E_NS1_11comp_targetILNS1_3genE3ELNS1_11target_archE908ELNS1_3gpuE7ELNS1_3repE0EEENS1_30default_config_static_selectorELNS0_4arch9wavefront6targetE1EEEvT1_, .Lfunc_end77-_ZN7rocprim17ROCPRIM_400000_NS6detail17trampoline_kernelINS0_14default_configENS1_27scan_by_key_config_selectorIiiEEZZNS1_16scan_by_key_implILNS1_25lookback_scan_determinismE0ELb0ES3_N6thrust23THRUST_200600_302600_NS16reverse_iteratorIPKiEESD_NSA_IPiEEiN6hipcub16HIPCUB_304000_NS3MaxENSH_8EqualityEiEE10hipError_tPvRmT2_T3_T4_T5_mT6_T7_P12ihipStream_tbENKUlT_T0_E_clISt17integral_constantIbLb1EESZ_IbLb0EEEEDaSV_SW_EUlSV_E_NS1_11comp_targetILNS1_3genE3ELNS1_11target_archE908ELNS1_3gpuE7ELNS1_3repE0EEENS1_30default_config_static_selectorELNS0_4arch9wavefront6targetE1EEEvT1_
                                        ; -- End function
	.section	.AMDGPU.csdata,"",@progbits
; Kernel info:
; codeLenInByte = 0
; NumSgprs: 6
; NumVgprs: 0
; NumAgprs: 0
; TotalNumVgprs: 0
; ScratchSize: 0
; MemoryBound: 0
; FloatMode: 240
; IeeeMode: 1
; LDSByteSize: 0 bytes/workgroup (compile time only)
; SGPRBlocks: 0
; VGPRBlocks: 0
; NumSGPRsForWavesPerEU: 6
; NumVGPRsForWavesPerEU: 1
; AccumOffset: 4
; Occupancy: 8
; WaveLimiterHint : 0
; COMPUTE_PGM_RSRC2:SCRATCH_EN: 0
; COMPUTE_PGM_RSRC2:USER_SGPR: 2
; COMPUTE_PGM_RSRC2:TRAP_HANDLER: 0
; COMPUTE_PGM_RSRC2:TGID_X_EN: 1
; COMPUTE_PGM_RSRC2:TGID_Y_EN: 0
; COMPUTE_PGM_RSRC2:TGID_Z_EN: 0
; COMPUTE_PGM_RSRC2:TIDIG_COMP_CNT: 0
; COMPUTE_PGM_RSRC3_GFX90A:ACCUM_OFFSET: 0
; COMPUTE_PGM_RSRC3_GFX90A:TG_SPLIT: 0
	.section	.text._ZN7rocprim17ROCPRIM_400000_NS6detail17trampoline_kernelINS0_14default_configENS1_27scan_by_key_config_selectorIiiEEZZNS1_16scan_by_key_implILNS1_25lookback_scan_determinismE0ELb0ES3_N6thrust23THRUST_200600_302600_NS16reverse_iteratorIPKiEESD_NSA_IPiEEiN6hipcub16HIPCUB_304000_NS3MaxENSH_8EqualityEiEE10hipError_tPvRmT2_T3_T4_T5_mT6_T7_P12ihipStream_tbENKUlT_T0_E_clISt17integral_constantIbLb1EESZ_IbLb0EEEEDaSV_SW_EUlSV_E_NS1_11comp_targetILNS1_3genE2ELNS1_11target_archE906ELNS1_3gpuE6ELNS1_3repE0EEENS1_30default_config_static_selectorELNS0_4arch9wavefront6targetE1EEEvT1_,"axG",@progbits,_ZN7rocprim17ROCPRIM_400000_NS6detail17trampoline_kernelINS0_14default_configENS1_27scan_by_key_config_selectorIiiEEZZNS1_16scan_by_key_implILNS1_25lookback_scan_determinismE0ELb0ES3_N6thrust23THRUST_200600_302600_NS16reverse_iteratorIPKiEESD_NSA_IPiEEiN6hipcub16HIPCUB_304000_NS3MaxENSH_8EqualityEiEE10hipError_tPvRmT2_T3_T4_T5_mT6_T7_P12ihipStream_tbENKUlT_T0_E_clISt17integral_constantIbLb1EESZ_IbLb0EEEEDaSV_SW_EUlSV_E_NS1_11comp_targetILNS1_3genE2ELNS1_11target_archE906ELNS1_3gpuE6ELNS1_3repE0EEENS1_30default_config_static_selectorELNS0_4arch9wavefront6targetE1EEEvT1_,comdat
	.protected	_ZN7rocprim17ROCPRIM_400000_NS6detail17trampoline_kernelINS0_14default_configENS1_27scan_by_key_config_selectorIiiEEZZNS1_16scan_by_key_implILNS1_25lookback_scan_determinismE0ELb0ES3_N6thrust23THRUST_200600_302600_NS16reverse_iteratorIPKiEESD_NSA_IPiEEiN6hipcub16HIPCUB_304000_NS3MaxENSH_8EqualityEiEE10hipError_tPvRmT2_T3_T4_T5_mT6_T7_P12ihipStream_tbENKUlT_T0_E_clISt17integral_constantIbLb1EESZ_IbLb0EEEEDaSV_SW_EUlSV_E_NS1_11comp_targetILNS1_3genE2ELNS1_11target_archE906ELNS1_3gpuE6ELNS1_3repE0EEENS1_30default_config_static_selectorELNS0_4arch9wavefront6targetE1EEEvT1_ ; -- Begin function _ZN7rocprim17ROCPRIM_400000_NS6detail17trampoline_kernelINS0_14default_configENS1_27scan_by_key_config_selectorIiiEEZZNS1_16scan_by_key_implILNS1_25lookback_scan_determinismE0ELb0ES3_N6thrust23THRUST_200600_302600_NS16reverse_iteratorIPKiEESD_NSA_IPiEEiN6hipcub16HIPCUB_304000_NS3MaxENSH_8EqualityEiEE10hipError_tPvRmT2_T3_T4_T5_mT6_T7_P12ihipStream_tbENKUlT_T0_E_clISt17integral_constantIbLb1EESZ_IbLb0EEEEDaSV_SW_EUlSV_E_NS1_11comp_targetILNS1_3genE2ELNS1_11target_archE906ELNS1_3gpuE6ELNS1_3repE0EEENS1_30default_config_static_selectorELNS0_4arch9wavefront6targetE1EEEvT1_
	.globl	_ZN7rocprim17ROCPRIM_400000_NS6detail17trampoline_kernelINS0_14default_configENS1_27scan_by_key_config_selectorIiiEEZZNS1_16scan_by_key_implILNS1_25lookback_scan_determinismE0ELb0ES3_N6thrust23THRUST_200600_302600_NS16reverse_iteratorIPKiEESD_NSA_IPiEEiN6hipcub16HIPCUB_304000_NS3MaxENSH_8EqualityEiEE10hipError_tPvRmT2_T3_T4_T5_mT6_T7_P12ihipStream_tbENKUlT_T0_E_clISt17integral_constantIbLb1EESZ_IbLb0EEEEDaSV_SW_EUlSV_E_NS1_11comp_targetILNS1_3genE2ELNS1_11target_archE906ELNS1_3gpuE6ELNS1_3repE0EEENS1_30default_config_static_selectorELNS0_4arch9wavefront6targetE1EEEvT1_
	.p2align	8
	.type	_ZN7rocprim17ROCPRIM_400000_NS6detail17trampoline_kernelINS0_14default_configENS1_27scan_by_key_config_selectorIiiEEZZNS1_16scan_by_key_implILNS1_25lookback_scan_determinismE0ELb0ES3_N6thrust23THRUST_200600_302600_NS16reverse_iteratorIPKiEESD_NSA_IPiEEiN6hipcub16HIPCUB_304000_NS3MaxENSH_8EqualityEiEE10hipError_tPvRmT2_T3_T4_T5_mT6_T7_P12ihipStream_tbENKUlT_T0_E_clISt17integral_constantIbLb1EESZ_IbLb0EEEEDaSV_SW_EUlSV_E_NS1_11comp_targetILNS1_3genE2ELNS1_11target_archE906ELNS1_3gpuE6ELNS1_3repE0EEENS1_30default_config_static_selectorELNS0_4arch9wavefront6targetE1EEEvT1_,@function
_ZN7rocprim17ROCPRIM_400000_NS6detail17trampoline_kernelINS0_14default_configENS1_27scan_by_key_config_selectorIiiEEZZNS1_16scan_by_key_implILNS1_25lookback_scan_determinismE0ELb0ES3_N6thrust23THRUST_200600_302600_NS16reverse_iteratorIPKiEESD_NSA_IPiEEiN6hipcub16HIPCUB_304000_NS3MaxENSH_8EqualityEiEE10hipError_tPvRmT2_T3_T4_T5_mT6_T7_P12ihipStream_tbENKUlT_T0_E_clISt17integral_constantIbLb1EESZ_IbLb0EEEEDaSV_SW_EUlSV_E_NS1_11comp_targetILNS1_3genE2ELNS1_11target_archE906ELNS1_3gpuE6ELNS1_3repE0EEENS1_30default_config_static_selectorELNS0_4arch9wavefront6targetE1EEEvT1_: ; @_ZN7rocprim17ROCPRIM_400000_NS6detail17trampoline_kernelINS0_14default_configENS1_27scan_by_key_config_selectorIiiEEZZNS1_16scan_by_key_implILNS1_25lookback_scan_determinismE0ELb0ES3_N6thrust23THRUST_200600_302600_NS16reverse_iteratorIPKiEESD_NSA_IPiEEiN6hipcub16HIPCUB_304000_NS3MaxENSH_8EqualityEiEE10hipError_tPvRmT2_T3_T4_T5_mT6_T7_P12ihipStream_tbENKUlT_T0_E_clISt17integral_constantIbLb1EESZ_IbLb0EEEEDaSV_SW_EUlSV_E_NS1_11comp_targetILNS1_3genE2ELNS1_11target_archE906ELNS1_3gpuE6ELNS1_3repE0EEENS1_30default_config_static_selectorELNS0_4arch9wavefront6targetE1EEEvT1_
; %bb.0:
	.section	.rodata,"a",@progbits
	.p2align	6, 0x0
	.amdhsa_kernel _ZN7rocprim17ROCPRIM_400000_NS6detail17trampoline_kernelINS0_14default_configENS1_27scan_by_key_config_selectorIiiEEZZNS1_16scan_by_key_implILNS1_25lookback_scan_determinismE0ELb0ES3_N6thrust23THRUST_200600_302600_NS16reverse_iteratorIPKiEESD_NSA_IPiEEiN6hipcub16HIPCUB_304000_NS3MaxENSH_8EqualityEiEE10hipError_tPvRmT2_T3_T4_T5_mT6_T7_P12ihipStream_tbENKUlT_T0_E_clISt17integral_constantIbLb1EESZ_IbLb0EEEEDaSV_SW_EUlSV_E_NS1_11comp_targetILNS1_3genE2ELNS1_11target_archE906ELNS1_3gpuE6ELNS1_3repE0EEENS1_30default_config_static_selectorELNS0_4arch9wavefront6targetE1EEEvT1_
		.amdhsa_group_segment_fixed_size 0
		.amdhsa_private_segment_fixed_size 0
		.amdhsa_kernarg_size 112
		.amdhsa_user_sgpr_count 2
		.amdhsa_user_sgpr_dispatch_ptr 0
		.amdhsa_user_sgpr_queue_ptr 0
		.amdhsa_user_sgpr_kernarg_segment_ptr 1
		.amdhsa_user_sgpr_dispatch_id 0
		.amdhsa_user_sgpr_kernarg_preload_length 0
		.amdhsa_user_sgpr_kernarg_preload_offset 0
		.amdhsa_user_sgpr_private_segment_size 0
		.amdhsa_uses_dynamic_stack 0
		.amdhsa_enable_private_segment 0
		.amdhsa_system_sgpr_workgroup_id_x 1
		.amdhsa_system_sgpr_workgroup_id_y 0
		.amdhsa_system_sgpr_workgroup_id_z 0
		.amdhsa_system_sgpr_workgroup_info 0
		.amdhsa_system_vgpr_workitem_id 0
		.amdhsa_next_free_vgpr 1
		.amdhsa_next_free_sgpr 0
		.amdhsa_accum_offset 4
		.amdhsa_reserve_vcc 0
		.amdhsa_float_round_mode_32 0
		.amdhsa_float_round_mode_16_64 0
		.amdhsa_float_denorm_mode_32 3
		.amdhsa_float_denorm_mode_16_64 3
		.amdhsa_dx10_clamp 1
		.amdhsa_ieee_mode 1
		.amdhsa_fp16_overflow 0
		.amdhsa_tg_split 0
		.amdhsa_exception_fp_ieee_invalid_op 0
		.amdhsa_exception_fp_denorm_src 0
		.amdhsa_exception_fp_ieee_div_zero 0
		.amdhsa_exception_fp_ieee_overflow 0
		.amdhsa_exception_fp_ieee_underflow 0
		.amdhsa_exception_fp_ieee_inexact 0
		.amdhsa_exception_int_div_zero 0
	.end_amdhsa_kernel
	.section	.text._ZN7rocprim17ROCPRIM_400000_NS6detail17trampoline_kernelINS0_14default_configENS1_27scan_by_key_config_selectorIiiEEZZNS1_16scan_by_key_implILNS1_25lookback_scan_determinismE0ELb0ES3_N6thrust23THRUST_200600_302600_NS16reverse_iteratorIPKiEESD_NSA_IPiEEiN6hipcub16HIPCUB_304000_NS3MaxENSH_8EqualityEiEE10hipError_tPvRmT2_T3_T4_T5_mT6_T7_P12ihipStream_tbENKUlT_T0_E_clISt17integral_constantIbLb1EESZ_IbLb0EEEEDaSV_SW_EUlSV_E_NS1_11comp_targetILNS1_3genE2ELNS1_11target_archE906ELNS1_3gpuE6ELNS1_3repE0EEENS1_30default_config_static_selectorELNS0_4arch9wavefront6targetE1EEEvT1_,"axG",@progbits,_ZN7rocprim17ROCPRIM_400000_NS6detail17trampoline_kernelINS0_14default_configENS1_27scan_by_key_config_selectorIiiEEZZNS1_16scan_by_key_implILNS1_25lookback_scan_determinismE0ELb0ES3_N6thrust23THRUST_200600_302600_NS16reverse_iteratorIPKiEESD_NSA_IPiEEiN6hipcub16HIPCUB_304000_NS3MaxENSH_8EqualityEiEE10hipError_tPvRmT2_T3_T4_T5_mT6_T7_P12ihipStream_tbENKUlT_T0_E_clISt17integral_constantIbLb1EESZ_IbLb0EEEEDaSV_SW_EUlSV_E_NS1_11comp_targetILNS1_3genE2ELNS1_11target_archE906ELNS1_3gpuE6ELNS1_3repE0EEENS1_30default_config_static_selectorELNS0_4arch9wavefront6targetE1EEEvT1_,comdat
.Lfunc_end78:
	.size	_ZN7rocprim17ROCPRIM_400000_NS6detail17trampoline_kernelINS0_14default_configENS1_27scan_by_key_config_selectorIiiEEZZNS1_16scan_by_key_implILNS1_25lookback_scan_determinismE0ELb0ES3_N6thrust23THRUST_200600_302600_NS16reverse_iteratorIPKiEESD_NSA_IPiEEiN6hipcub16HIPCUB_304000_NS3MaxENSH_8EqualityEiEE10hipError_tPvRmT2_T3_T4_T5_mT6_T7_P12ihipStream_tbENKUlT_T0_E_clISt17integral_constantIbLb1EESZ_IbLb0EEEEDaSV_SW_EUlSV_E_NS1_11comp_targetILNS1_3genE2ELNS1_11target_archE906ELNS1_3gpuE6ELNS1_3repE0EEENS1_30default_config_static_selectorELNS0_4arch9wavefront6targetE1EEEvT1_, .Lfunc_end78-_ZN7rocprim17ROCPRIM_400000_NS6detail17trampoline_kernelINS0_14default_configENS1_27scan_by_key_config_selectorIiiEEZZNS1_16scan_by_key_implILNS1_25lookback_scan_determinismE0ELb0ES3_N6thrust23THRUST_200600_302600_NS16reverse_iteratorIPKiEESD_NSA_IPiEEiN6hipcub16HIPCUB_304000_NS3MaxENSH_8EqualityEiEE10hipError_tPvRmT2_T3_T4_T5_mT6_T7_P12ihipStream_tbENKUlT_T0_E_clISt17integral_constantIbLb1EESZ_IbLb0EEEEDaSV_SW_EUlSV_E_NS1_11comp_targetILNS1_3genE2ELNS1_11target_archE906ELNS1_3gpuE6ELNS1_3repE0EEENS1_30default_config_static_selectorELNS0_4arch9wavefront6targetE1EEEvT1_
                                        ; -- End function
	.section	.AMDGPU.csdata,"",@progbits
; Kernel info:
; codeLenInByte = 0
; NumSgprs: 6
; NumVgprs: 0
; NumAgprs: 0
; TotalNumVgprs: 0
; ScratchSize: 0
; MemoryBound: 0
; FloatMode: 240
; IeeeMode: 1
; LDSByteSize: 0 bytes/workgroup (compile time only)
; SGPRBlocks: 0
; VGPRBlocks: 0
; NumSGPRsForWavesPerEU: 6
; NumVGPRsForWavesPerEU: 1
; AccumOffset: 4
; Occupancy: 8
; WaveLimiterHint : 0
; COMPUTE_PGM_RSRC2:SCRATCH_EN: 0
; COMPUTE_PGM_RSRC2:USER_SGPR: 2
; COMPUTE_PGM_RSRC2:TRAP_HANDLER: 0
; COMPUTE_PGM_RSRC2:TGID_X_EN: 1
; COMPUTE_PGM_RSRC2:TGID_Y_EN: 0
; COMPUTE_PGM_RSRC2:TGID_Z_EN: 0
; COMPUTE_PGM_RSRC2:TIDIG_COMP_CNT: 0
; COMPUTE_PGM_RSRC3_GFX90A:ACCUM_OFFSET: 0
; COMPUTE_PGM_RSRC3_GFX90A:TG_SPLIT: 0
	.section	.text._ZN7rocprim17ROCPRIM_400000_NS6detail17trampoline_kernelINS0_14default_configENS1_27scan_by_key_config_selectorIiiEEZZNS1_16scan_by_key_implILNS1_25lookback_scan_determinismE0ELb0ES3_N6thrust23THRUST_200600_302600_NS16reverse_iteratorIPKiEESD_NSA_IPiEEiN6hipcub16HIPCUB_304000_NS3MaxENSH_8EqualityEiEE10hipError_tPvRmT2_T3_T4_T5_mT6_T7_P12ihipStream_tbENKUlT_T0_E_clISt17integral_constantIbLb1EESZ_IbLb0EEEEDaSV_SW_EUlSV_E_NS1_11comp_targetILNS1_3genE10ELNS1_11target_archE1200ELNS1_3gpuE4ELNS1_3repE0EEENS1_30default_config_static_selectorELNS0_4arch9wavefront6targetE1EEEvT1_,"axG",@progbits,_ZN7rocprim17ROCPRIM_400000_NS6detail17trampoline_kernelINS0_14default_configENS1_27scan_by_key_config_selectorIiiEEZZNS1_16scan_by_key_implILNS1_25lookback_scan_determinismE0ELb0ES3_N6thrust23THRUST_200600_302600_NS16reverse_iteratorIPKiEESD_NSA_IPiEEiN6hipcub16HIPCUB_304000_NS3MaxENSH_8EqualityEiEE10hipError_tPvRmT2_T3_T4_T5_mT6_T7_P12ihipStream_tbENKUlT_T0_E_clISt17integral_constantIbLb1EESZ_IbLb0EEEEDaSV_SW_EUlSV_E_NS1_11comp_targetILNS1_3genE10ELNS1_11target_archE1200ELNS1_3gpuE4ELNS1_3repE0EEENS1_30default_config_static_selectorELNS0_4arch9wavefront6targetE1EEEvT1_,comdat
	.protected	_ZN7rocprim17ROCPRIM_400000_NS6detail17trampoline_kernelINS0_14default_configENS1_27scan_by_key_config_selectorIiiEEZZNS1_16scan_by_key_implILNS1_25lookback_scan_determinismE0ELb0ES3_N6thrust23THRUST_200600_302600_NS16reverse_iteratorIPKiEESD_NSA_IPiEEiN6hipcub16HIPCUB_304000_NS3MaxENSH_8EqualityEiEE10hipError_tPvRmT2_T3_T4_T5_mT6_T7_P12ihipStream_tbENKUlT_T0_E_clISt17integral_constantIbLb1EESZ_IbLb0EEEEDaSV_SW_EUlSV_E_NS1_11comp_targetILNS1_3genE10ELNS1_11target_archE1200ELNS1_3gpuE4ELNS1_3repE0EEENS1_30default_config_static_selectorELNS0_4arch9wavefront6targetE1EEEvT1_ ; -- Begin function _ZN7rocprim17ROCPRIM_400000_NS6detail17trampoline_kernelINS0_14default_configENS1_27scan_by_key_config_selectorIiiEEZZNS1_16scan_by_key_implILNS1_25lookback_scan_determinismE0ELb0ES3_N6thrust23THRUST_200600_302600_NS16reverse_iteratorIPKiEESD_NSA_IPiEEiN6hipcub16HIPCUB_304000_NS3MaxENSH_8EqualityEiEE10hipError_tPvRmT2_T3_T4_T5_mT6_T7_P12ihipStream_tbENKUlT_T0_E_clISt17integral_constantIbLb1EESZ_IbLb0EEEEDaSV_SW_EUlSV_E_NS1_11comp_targetILNS1_3genE10ELNS1_11target_archE1200ELNS1_3gpuE4ELNS1_3repE0EEENS1_30default_config_static_selectorELNS0_4arch9wavefront6targetE1EEEvT1_
	.globl	_ZN7rocprim17ROCPRIM_400000_NS6detail17trampoline_kernelINS0_14default_configENS1_27scan_by_key_config_selectorIiiEEZZNS1_16scan_by_key_implILNS1_25lookback_scan_determinismE0ELb0ES3_N6thrust23THRUST_200600_302600_NS16reverse_iteratorIPKiEESD_NSA_IPiEEiN6hipcub16HIPCUB_304000_NS3MaxENSH_8EqualityEiEE10hipError_tPvRmT2_T3_T4_T5_mT6_T7_P12ihipStream_tbENKUlT_T0_E_clISt17integral_constantIbLb1EESZ_IbLb0EEEEDaSV_SW_EUlSV_E_NS1_11comp_targetILNS1_3genE10ELNS1_11target_archE1200ELNS1_3gpuE4ELNS1_3repE0EEENS1_30default_config_static_selectorELNS0_4arch9wavefront6targetE1EEEvT1_
	.p2align	8
	.type	_ZN7rocprim17ROCPRIM_400000_NS6detail17trampoline_kernelINS0_14default_configENS1_27scan_by_key_config_selectorIiiEEZZNS1_16scan_by_key_implILNS1_25lookback_scan_determinismE0ELb0ES3_N6thrust23THRUST_200600_302600_NS16reverse_iteratorIPKiEESD_NSA_IPiEEiN6hipcub16HIPCUB_304000_NS3MaxENSH_8EqualityEiEE10hipError_tPvRmT2_T3_T4_T5_mT6_T7_P12ihipStream_tbENKUlT_T0_E_clISt17integral_constantIbLb1EESZ_IbLb0EEEEDaSV_SW_EUlSV_E_NS1_11comp_targetILNS1_3genE10ELNS1_11target_archE1200ELNS1_3gpuE4ELNS1_3repE0EEENS1_30default_config_static_selectorELNS0_4arch9wavefront6targetE1EEEvT1_,@function
_ZN7rocprim17ROCPRIM_400000_NS6detail17trampoline_kernelINS0_14default_configENS1_27scan_by_key_config_selectorIiiEEZZNS1_16scan_by_key_implILNS1_25lookback_scan_determinismE0ELb0ES3_N6thrust23THRUST_200600_302600_NS16reverse_iteratorIPKiEESD_NSA_IPiEEiN6hipcub16HIPCUB_304000_NS3MaxENSH_8EqualityEiEE10hipError_tPvRmT2_T3_T4_T5_mT6_T7_P12ihipStream_tbENKUlT_T0_E_clISt17integral_constantIbLb1EESZ_IbLb0EEEEDaSV_SW_EUlSV_E_NS1_11comp_targetILNS1_3genE10ELNS1_11target_archE1200ELNS1_3gpuE4ELNS1_3repE0EEENS1_30default_config_static_selectorELNS0_4arch9wavefront6targetE1EEEvT1_: ; @_ZN7rocprim17ROCPRIM_400000_NS6detail17trampoline_kernelINS0_14default_configENS1_27scan_by_key_config_selectorIiiEEZZNS1_16scan_by_key_implILNS1_25lookback_scan_determinismE0ELb0ES3_N6thrust23THRUST_200600_302600_NS16reverse_iteratorIPKiEESD_NSA_IPiEEiN6hipcub16HIPCUB_304000_NS3MaxENSH_8EqualityEiEE10hipError_tPvRmT2_T3_T4_T5_mT6_T7_P12ihipStream_tbENKUlT_T0_E_clISt17integral_constantIbLb1EESZ_IbLb0EEEEDaSV_SW_EUlSV_E_NS1_11comp_targetILNS1_3genE10ELNS1_11target_archE1200ELNS1_3gpuE4ELNS1_3repE0EEENS1_30default_config_static_selectorELNS0_4arch9wavefront6targetE1EEEvT1_
; %bb.0:
	.section	.rodata,"a",@progbits
	.p2align	6, 0x0
	.amdhsa_kernel _ZN7rocprim17ROCPRIM_400000_NS6detail17trampoline_kernelINS0_14default_configENS1_27scan_by_key_config_selectorIiiEEZZNS1_16scan_by_key_implILNS1_25lookback_scan_determinismE0ELb0ES3_N6thrust23THRUST_200600_302600_NS16reverse_iteratorIPKiEESD_NSA_IPiEEiN6hipcub16HIPCUB_304000_NS3MaxENSH_8EqualityEiEE10hipError_tPvRmT2_T3_T4_T5_mT6_T7_P12ihipStream_tbENKUlT_T0_E_clISt17integral_constantIbLb1EESZ_IbLb0EEEEDaSV_SW_EUlSV_E_NS1_11comp_targetILNS1_3genE10ELNS1_11target_archE1200ELNS1_3gpuE4ELNS1_3repE0EEENS1_30default_config_static_selectorELNS0_4arch9wavefront6targetE1EEEvT1_
		.amdhsa_group_segment_fixed_size 0
		.amdhsa_private_segment_fixed_size 0
		.amdhsa_kernarg_size 112
		.amdhsa_user_sgpr_count 2
		.amdhsa_user_sgpr_dispatch_ptr 0
		.amdhsa_user_sgpr_queue_ptr 0
		.amdhsa_user_sgpr_kernarg_segment_ptr 1
		.amdhsa_user_sgpr_dispatch_id 0
		.amdhsa_user_sgpr_kernarg_preload_length 0
		.amdhsa_user_sgpr_kernarg_preload_offset 0
		.amdhsa_user_sgpr_private_segment_size 0
		.amdhsa_uses_dynamic_stack 0
		.amdhsa_enable_private_segment 0
		.amdhsa_system_sgpr_workgroup_id_x 1
		.amdhsa_system_sgpr_workgroup_id_y 0
		.amdhsa_system_sgpr_workgroup_id_z 0
		.amdhsa_system_sgpr_workgroup_info 0
		.amdhsa_system_vgpr_workitem_id 0
		.amdhsa_next_free_vgpr 1
		.amdhsa_next_free_sgpr 0
		.amdhsa_accum_offset 4
		.amdhsa_reserve_vcc 0
		.amdhsa_float_round_mode_32 0
		.amdhsa_float_round_mode_16_64 0
		.amdhsa_float_denorm_mode_32 3
		.amdhsa_float_denorm_mode_16_64 3
		.amdhsa_dx10_clamp 1
		.amdhsa_ieee_mode 1
		.amdhsa_fp16_overflow 0
		.amdhsa_tg_split 0
		.amdhsa_exception_fp_ieee_invalid_op 0
		.amdhsa_exception_fp_denorm_src 0
		.amdhsa_exception_fp_ieee_div_zero 0
		.amdhsa_exception_fp_ieee_overflow 0
		.amdhsa_exception_fp_ieee_underflow 0
		.amdhsa_exception_fp_ieee_inexact 0
		.amdhsa_exception_int_div_zero 0
	.end_amdhsa_kernel
	.section	.text._ZN7rocprim17ROCPRIM_400000_NS6detail17trampoline_kernelINS0_14default_configENS1_27scan_by_key_config_selectorIiiEEZZNS1_16scan_by_key_implILNS1_25lookback_scan_determinismE0ELb0ES3_N6thrust23THRUST_200600_302600_NS16reverse_iteratorIPKiEESD_NSA_IPiEEiN6hipcub16HIPCUB_304000_NS3MaxENSH_8EqualityEiEE10hipError_tPvRmT2_T3_T4_T5_mT6_T7_P12ihipStream_tbENKUlT_T0_E_clISt17integral_constantIbLb1EESZ_IbLb0EEEEDaSV_SW_EUlSV_E_NS1_11comp_targetILNS1_3genE10ELNS1_11target_archE1200ELNS1_3gpuE4ELNS1_3repE0EEENS1_30default_config_static_selectorELNS0_4arch9wavefront6targetE1EEEvT1_,"axG",@progbits,_ZN7rocprim17ROCPRIM_400000_NS6detail17trampoline_kernelINS0_14default_configENS1_27scan_by_key_config_selectorIiiEEZZNS1_16scan_by_key_implILNS1_25lookback_scan_determinismE0ELb0ES3_N6thrust23THRUST_200600_302600_NS16reverse_iteratorIPKiEESD_NSA_IPiEEiN6hipcub16HIPCUB_304000_NS3MaxENSH_8EqualityEiEE10hipError_tPvRmT2_T3_T4_T5_mT6_T7_P12ihipStream_tbENKUlT_T0_E_clISt17integral_constantIbLb1EESZ_IbLb0EEEEDaSV_SW_EUlSV_E_NS1_11comp_targetILNS1_3genE10ELNS1_11target_archE1200ELNS1_3gpuE4ELNS1_3repE0EEENS1_30default_config_static_selectorELNS0_4arch9wavefront6targetE1EEEvT1_,comdat
.Lfunc_end79:
	.size	_ZN7rocprim17ROCPRIM_400000_NS6detail17trampoline_kernelINS0_14default_configENS1_27scan_by_key_config_selectorIiiEEZZNS1_16scan_by_key_implILNS1_25lookback_scan_determinismE0ELb0ES3_N6thrust23THRUST_200600_302600_NS16reverse_iteratorIPKiEESD_NSA_IPiEEiN6hipcub16HIPCUB_304000_NS3MaxENSH_8EqualityEiEE10hipError_tPvRmT2_T3_T4_T5_mT6_T7_P12ihipStream_tbENKUlT_T0_E_clISt17integral_constantIbLb1EESZ_IbLb0EEEEDaSV_SW_EUlSV_E_NS1_11comp_targetILNS1_3genE10ELNS1_11target_archE1200ELNS1_3gpuE4ELNS1_3repE0EEENS1_30default_config_static_selectorELNS0_4arch9wavefront6targetE1EEEvT1_, .Lfunc_end79-_ZN7rocprim17ROCPRIM_400000_NS6detail17trampoline_kernelINS0_14default_configENS1_27scan_by_key_config_selectorIiiEEZZNS1_16scan_by_key_implILNS1_25lookback_scan_determinismE0ELb0ES3_N6thrust23THRUST_200600_302600_NS16reverse_iteratorIPKiEESD_NSA_IPiEEiN6hipcub16HIPCUB_304000_NS3MaxENSH_8EqualityEiEE10hipError_tPvRmT2_T3_T4_T5_mT6_T7_P12ihipStream_tbENKUlT_T0_E_clISt17integral_constantIbLb1EESZ_IbLb0EEEEDaSV_SW_EUlSV_E_NS1_11comp_targetILNS1_3genE10ELNS1_11target_archE1200ELNS1_3gpuE4ELNS1_3repE0EEENS1_30default_config_static_selectorELNS0_4arch9wavefront6targetE1EEEvT1_
                                        ; -- End function
	.section	.AMDGPU.csdata,"",@progbits
; Kernel info:
; codeLenInByte = 0
; NumSgprs: 6
; NumVgprs: 0
; NumAgprs: 0
; TotalNumVgprs: 0
; ScratchSize: 0
; MemoryBound: 0
; FloatMode: 240
; IeeeMode: 1
; LDSByteSize: 0 bytes/workgroup (compile time only)
; SGPRBlocks: 0
; VGPRBlocks: 0
; NumSGPRsForWavesPerEU: 6
; NumVGPRsForWavesPerEU: 1
; AccumOffset: 4
; Occupancy: 8
; WaveLimiterHint : 0
; COMPUTE_PGM_RSRC2:SCRATCH_EN: 0
; COMPUTE_PGM_RSRC2:USER_SGPR: 2
; COMPUTE_PGM_RSRC2:TRAP_HANDLER: 0
; COMPUTE_PGM_RSRC2:TGID_X_EN: 1
; COMPUTE_PGM_RSRC2:TGID_Y_EN: 0
; COMPUTE_PGM_RSRC2:TGID_Z_EN: 0
; COMPUTE_PGM_RSRC2:TIDIG_COMP_CNT: 0
; COMPUTE_PGM_RSRC3_GFX90A:ACCUM_OFFSET: 0
; COMPUTE_PGM_RSRC3_GFX90A:TG_SPLIT: 0
	.section	.text._ZN7rocprim17ROCPRIM_400000_NS6detail17trampoline_kernelINS0_14default_configENS1_27scan_by_key_config_selectorIiiEEZZNS1_16scan_by_key_implILNS1_25lookback_scan_determinismE0ELb0ES3_N6thrust23THRUST_200600_302600_NS16reverse_iteratorIPKiEESD_NSA_IPiEEiN6hipcub16HIPCUB_304000_NS3MaxENSH_8EqualityEiEE10hipError_tPvRmT2_T3_T4_T5_mT6_T7_P12ihipStream_tbENKUlT_T0_E_clISt17integral_constantIbLb1EESZ_IbLb0EEEEDaSV_SW_EUlSV_E_NS1_11comp_targetILNS1_3genE9ELNS1_11target_archE1100ELNS1_3gpuE3ELNS1_3repE0EEENS1_30default_config_static_selectorELNS0_4arch9wavefront6targetE1EEEvT1_,"axG",@progbits,_ZN7rocprim17ROCPRIM_400000_NS6detail17trampoline_kernelINS0_14default_configENS1_27scan_by_key_config_selectorIiiEEZZNS1_16scan_by_key_implILNS1_25lookback_scan_determinismE0ELb0ES3_N6thrust23THRUST_200600_302600_NS16reverse_iteratorIPKiEESD_NSA_IPiEEiN6hipcub16HIPCUB_304000_NS3MaxENSH_8EqualityEiEE10hipError_tPvRmT2_T3_T4_T5_mT6_T7_P12ihipStream_tbENKUlT_T0_E_clISt17integral_constantIbLb1EESZ_IbLb0EEEEDaSV_SW_EUlSV_E_NS1_11comp_targetILNS1_3genE9ELNS1_11target_archE1100ELNS1_3gpuE3ELNS1_3repE0EEENS1_30default_config_static_selectorELNS0_4arch9wavefront6targetE1EEEvT1_,comdat
	.protected	_ZN7rocprim17ROCPRIM_400000_NS6detail17trampoline_kernelINS0_14default_configENS1_27scan_by_key_config_selectorIiiEEZZNS1_16scan_by_key_implILNS1_25lookback_scan_determinismE0ELb0ES3_N6thrust23THRUST_200600_302600_NS16reverse_iteratorIPKiEESD_NSA_IPiEEiN6hipcub16HIPCUB_304000_NS3MaxENSH_8EqualityEiEE10hipError_tPvRmT2_T3_T4_T5_mT6_T7_P12ihipStream_tbENKUlT_T0_E_clISt17integral_constantIbLb1EESZ_IbLb0EEEEDaSV_SW_EUlSV_E_NS1_11comp_targetILNS1_3genE9ELNS1_11target_archE1100ELNS1_3gpuE3ELNS1_3repE0EEENS1_30default_config_static_selectorELNS0_4arch9wavefront6targetE1EEEvT1_ ; -- Begin function _ZN7rocprim17ROCPRIM_400000_NS6detail17trampoline_kernelINS0_14default_configENS1_27scan_by_key_config_selectorIiiEEZZNS1_16scan_by_key_implILNS1_25lookback_scan_determinismE0ELb0ES3_N6thrust23THRUST_200600_302600_NS16reverse_iteratorIPKiEESD_NSA_IPiEEiN6hipcub16HIPCUB_304000_NS3MaxENSH_8EqualityEiEE10hipError_tPvRmT2_T3_T4_T5_mT6_T7_P12ihipStream_tbENKUlT_T0_E_clISt17integral_constantIbLb1EESZ_IbLb0EEEEDaSV_SW_EUlSV_E_NS1_11comp_targetILNS1_3genE9ELNS1_11target_archE1100ELNS1_3gpuE3ELNS1_3repE0EEENS1_30default_config_static_selectorELNS0_4arch9wavefront6targetE1EEEvT1_
	.globl	_ZN7rocprim17ROCPRIM_400000_NS6detail17trampoline_kernelINS0_14default_configENS1_27scan_by_key_config_selectorIiiEEZZNS1_16scan_by_key_implILNS1_25lookback_scan_determinismE0ELb0ES3_N6thrust23THRUST_200600_302600_NS16reverse_iteratorIPKiEESD_NSA_IPiEEiN6hipcub16HIPCUB_304000_NS3MaxENSH_8EqualityEiEE10hipError_tPvRmT2_T3_T4_T5_mT6_T7_P12ihipStream_tbENKUlT_T0_E_clISt17integral_constantIbLb1EESZ_IbLb0EEEEDaSV_SW_EUlSV_E_NS1_11comp_targetILNS1_3genE9ELNS1_11target_archE1100ELNS1_3gpuE3ELNS1_3repE0EEENS1_30default_config_static_selectorELNS0_4arch9wavefront6targetE1EEEvT1_
	.p2align	8
	.type	_ZN7rocprim17ROCPRIM_400000_NS6detail17trampoline_kernelINS0_14default_configENS1_27scan_by_key_config_selectorIiiEEZZNS1_16scan_by_key_implILNS1_25lookback_scan_determinismE0ELb0ES3_N6thrust23THRUST_200600_302600_NS16reverse_iteratorIPKiEESD_NSA_IPiEEiN6hipcub16HIPCUB_304000_NS3MaxENSH_8EqualityEiEE10hipError_tPvRmT2_T3_T4_T5_mT6_T7_P12ihipStream_tbENKUlT_T0_E_clISt17integral_constantIbLb1EESZ_IbLb0EEEEDaSV_SW_EUlSV_E_NS1_11comp_targetILNS1_3genE9ELNS1_11target_archE1100ELNS1_3gpuE3ELNS1_3repE0EEENS1_30default_config_static_selectorELNS0_4arch9wavefront6targetE1EEEvT1_,@function
_ZN7rocprim17ROCPRIM_400000_NS6detail17trampoline_kernelINS0_14default_configENS1_27scan_by_key_config_selectorIiiEEZZNS1_16scan_by_key_implILNS1_25lookback_scan_determinismE0ELb0ES3_N6thrust23THRUST_200600_302600_NS16reverse_iteratorIPKiEESD_NSA_IPiEEiN6hipcub16HIPCUB_304000_NS3MaxENSH_8EqualityEiEE10hipError_tPvRmT2_T3_T4_T5_mT6_T7_P12ihipStream_tbENKUlT_T0_E_clISt17integral_constantIbLb1EESZ_IbLb0EEEEDaSV_SW_EUlSV_E_NS1_11comp_targetILNS1_3genE9ELNS1_11target_archE1100ELNS1_3gpuE3ELNS1_3repE0EEENS1_30default_config_static_selectorELNS0_4arch9wavefront6targetE1EEEvT1_: ; @_ZN7rocprim17ROCPRIM_400000_NS6detail17trampoline_kernelINS0_14default_configENS1_27scan_by_key_config_selectorIiiEEZZNS1_16scan_by_key_implILNS1_25lookback_scan_determinismE0ELb0ES3_N6thrust23THRUST_200600_302600_NS16reverse_iteratorIPKiEESD_NSA_IPiEEiN6hipcub16HIPCUB_304000_NS3MaxENSH_8EqualityEiEE10hipError_tPvRmT2_T3_T4_T5_mT6_T7_P12ihipStream_tbENKUlT_T0_E_clISt17integral_constantIbLb1EESZ_IbLb0EEEEDaSV_SW_EUlSV_E_NS1_11comp_targetILNS1_3genE9ELNS1_11target_archE1100ELNS1_3gpuE3ELNS1_3repE0EEENS1_30default_config_static_selectorELNS0_4arch9wavefront6targetE1EEEvT1_
; %bb.0:
	.section	.rodata,"a",@progbits
	.p2align	6, 0x0
	.amdhsa_kernel _ZN7rocprim17ROCPRIM_400000_NS6detail17trampoline_kernelINS0_14default_configENS1_27scan_by_key_config_selectorIiiEEZZNS1_16scan_by_key_implILNS1_25lookback_scan_determinismE0ELb0ES3_N6thrust23THRUST_200600_302600_NS16reverse_iteratorIPKiEESD_NSA_IPiEEiN6hipcub16HIPCUB_304000_NS3MaxENSH_8EqualityEiEE10hipError_tPvRmT2_T3_T4_T5_mT6_T7_P12ihipStream_tbENKUlT_T0_E_clISt17integral_constantIbLb1EESZ_IbLb0EEEEDaSV_SW_EUlSV_E_NS1_11comp_targetILNS1_3genE9ELNS1_11target_archE1100ELNS1_3gpuE3ELNS1_3repE0EEENS1_30default_config_static_selectorELNS0_4arch9wavefront6targetE1EEEvT1_
		.amdhsa_group_segment_fixed_size 0
		.amdhsa_private_segment_fixed_size 0
		.amdhsa_kernarg_size 112
		.amdhsa_user_sgpr_count 2
		.amdhsa_user_sgpr_dispatch_ptr 0
		.amdhsa_user_sgpr_queue_ptr 0
		.amdhsa_user_sgpr_kernarg_segment_ptr 1
		.amdhsa_user_sgpr_dispatch_id 0
		.amdhsa_user_sgpr_kernarg_preload_length 0
		.amdhsa_user_sgpr_kernarg_preload_offset 0
		.amdhsa_user_sgpr_private_segment_size 0
		.amdhsa_uses_dynamic_stack 0
		.amdhsa_enable_private_segment 0
		.amdhsa_system_sgpr_workgroup_id_x 1
		.amdhsa_system_sgpr_workgroup_id_y 0
		.amdhsa_system_sgpr_workgroup_id_z 0
		.amdhsa_system_sgpr_workgroup_info 0
		.amdhsa_system_vgpr_workitem_id 0
		.amdhsa_next_free_vgpr 1
		.amdhsa_next_free_sgpr 0
		.amdhsa_accum_offset 4
		.amdhsa_reserve_vcc 0
		.amdhsa_float_round_mode_32 0
		.amdhsa_float_round_mode_16_64 0
		.amdhsa_float_denorm_mode_32 3
		.amdhsa_float_denorm_mode_16_64 3
		.amdhsa_dx10_clamp 1
		.amdhsa_ieee_mode 1
		.amdhsa_fp16_overflow 0
		.amdhsa_tg_split 0
		.amdhsa_exception_fp_ieee_invalid_op 0
		.amdhsa_exception_fp_denorm_src 0
		.amdhsa_exception_fp_ieee_div_zero 0
		.amdhsa_exception_fp_ieee_overflow 0
		.amdhsa_exception_fp_ieee_underflow 0
		.amdhsa_exception_fp_ieee_inexact 0
		.amdhsa_exception_int_div_zero 0
	.end_amdhsa_kernel
	.section	.text._ZN7rocprim17ROCPRIM_400000_NS6detail17trampoline_kernelINS0_14default_configENS1_27scan_by_key_config_selectorIiiEEZZNS1_16scan_by_key_implILNS1_25lookback_scan_determinismE0ELb0ES3_N6thrust23THRUST_200600_302600_NS16reverse_iteratorIPKiEESD_NSA_IPiEEiN6hipcub16HIPCUB_304000_NS3MaxENSH_8EqualityEiEE10hipError_tPvRmT2_T3_T4_T5_mT6_T7_P12ihipStream_tbENKUlT_T0_E_clISt17integral_constantIbLb1EESZ_IbLb0EEEEDaSV_SW_EUlSV_E_NS1_11comp_targetILNS1_3genE9ELNS1_11target_archE1100ELNS1_3gpuE3ELNS1_3repE0EEENS1_30default_config_static_selectorELNS0_4arch9wavefront6targetE1EEEvT1_,"axG",@progbits,_ZN7rocprim17ROCPRIM_400000_NS6detail17trampoline_kernelINS0_14default_configENS1_27scan_by_key_config_selectorIiiEEZZNS1_16scan_by_key_implILNS1_25lookback_scan_determinismE0ELb0ES3_N6thrust23THRUST_200600_302600_NS16reverse_iteratorIPKiEESD_NSA_IPiEEiN6hipcub16HIPCUB_304000_NS3MaxENSH_8EqualityEiEE10hipError_tPvRmT2_T3_T4_T5_mT6_T7_P12ihipStream_tbENKUlT_T0_E_clISt17integral_constantIbLb1EESZ_IbLb0EEEEDaSV_SW_EUlSV_E_NS1_11comp_targetILNS1_3genE9ELNS1_11target_archE1100ELNS1_3gpuE3ELNS1_3repE0EEENS1_30default_config_static_selectorELNS0_4arch9wavefront6targetE1EEEvT1_,comdat
.Lfunc_end80:
	.size	_ZN7rocprim17ROCPRIM_400000_NS6detail17trampoline_kernelINS0_14default_configENS1_27scan_by_key_config_selectorIiiEEZZNS1_16scan_by_key_implILNS1_25lookback_scan_determinismE0ELb0ES3_N6thrust23THRUST_200600_302600_NS16reverse_iteratorIPKiEESD_NSA_IPiEEiN6hipcub16HIPCUB_304000_NS3MaxENSH_8EqualityEiEE10hipError_tPvRmT2_T3_T4_T5_mT6_T7_P12ihipStream_tbENKUlT_T0_E_clISt17integral_constantIbLb1EESZ_IbLb0EEEEDaSV_SW_EUlSV_E_NS1_11comp_targetILNS1_3genE9ELNS1_11target_archE1100ELNS1_3gpuE3ELNS1_3repE0EEENS1_30default_config_static_selectorELNS0_4arch9wavefront6targetE1EEEvT1_, .Lfunc_end80-_ZN7rocprim17ROCPRIM_400000_NS6detail17trampoline_kernelINS0_14default_configENS1_27scan_by_key_config_selectorIiiEEZZNS1_16scan_by_key_implILNS1_25lookback_scan_determinismE0ELb0ES3_N6thrust23THRUST_200600_302600_NS16reverse_iteratorIPKiEESD_NSA_IPiEEiN6hipcub16HIPCUB_304000_NS3MaxENSH_8EqualityEiEE10hipError_tPvRmT2_T3_T4_T5_mT6_T7_P12ihipStream_tbENKUlT_T0_E_clISt17integral_constantIbLb1EESZ_IbLb0EEEEDaSV_SW_EUlSV_E_NS1_11comp_targetILNS1_3genE9ELNS1_11target_archE1100ELNS1_3gpuE3ELNS1_3repE0EEENS1_30default_config_static_selectorELNS0_4arch9wavefront6targetE1EEEvT1_
                                        ; -- End function
	.section	.AMDGPU.csdata,"",@progbits
; Kernel info:
; codeLenInByte = 0
; NumSgprs: 6
; NumVgprs: 0
; NumAgprs: 0
; TotalNumVgprs: 0
; ScratchSize: 0
; MemoryBound: 0
; FloatMode: 240
; IeeeMode: 1
; LDSByteSize: 0 bytes/workgroup (compile time only)
; SGPRBlocks: 0
; VGPRBlocks: 0
; NumSGPRsForWavesPerEU: 6
; NumVGPRsForWavesPerEU: 1
; AccumOffset: 4
; Occupancy: 8
; WaveLimiterHint : 0
; COMPUTE_PGM_RSRC2:SCRATCH_EN: 0
; COMPUTE_PGM_RSRC2:USER_SGPR: 2
; COMPUTE_PGM_RSRC2:TRAP_HANDLER: 0
; COMPUTE_PGM_RSRC2:TGID_X_EN: 1
; COMPUTE_PGM_RSRC2:TGID_Y_EN: 0
; COMPUTE_PGM_RSRC2:TGID_Z_EN: 0
; COMPUTE_PGM_RSRC2:TIDIG_COMP_CNT: 0
; COMPUTE_PGM_RSRC3_GFX90A:ACCUM_OFFSET: 0
; COMPUTE_PGM_RSRC3_GFX90A:TG_SPLIT: 0
	.section	.text._ZN7rocprim17ROCPRIM_400000_NS6detail17trampoline_kernelINS0_14default_configENS1_27scan_by_key_config_selectorIiiEEZZNS1_16scan_by_key_implILNS1_25lookback_scan_determinismE0ELb0ES3_N6thrust23THRUST_200600_302600_NS16reverse_iteratorIPKiEESD_NSA_IPiEEiN6hipcub16HIPCUB_304000_NS3MaxENSH_8EqualityEiEE10hipError_tPvRmT2_T3_T4_T5_mT6_T7_P12ihipStream_tbENKUlT_T0_E_clISt17integral_constantIbLb1EESZ_IbLb0EEEEDaSV_SW_EUlSV_E_NS1_11comp_targetILNS1_3genE8ELNS1_11target_archE1030ELNS1_3gpuE2ELNS1_3repE0EEENS1_30default_config_static_selectorELNS0_4arch9wavefront6targetE1EEEvT1_,"axG",@progbits,_ZN7rocprim17ROCPRIM_400000_NS6detail17trampoline_kernelINS0_14default_configENS1_27scan_by_key_config_selectorIiiEEZZNS1_16scan_by_key_implILNS1_25lookback_scan_determinismE0ELb0ES3_N6thrust23THRUST_200600_302600_NS16reverse_iteratorIPKiEESD_NSA_IPiEEiN6hipcub16HIPCUB_304000_NS3MaxENSH_8EqualityEiEE10hipError_tPvRmT2_T3_T4_T5_mT6_T7_P12ihipStream_tbENKUlT_T0_E_clISt17integral_constantIbLb1EESZ_IbLb0EEEEDaSV_SW_EUlSV_E_NS1_11comp_targetILNS1_3genE8ELNS1_11target_archE1030ELNS1_3gpuE2ELNS1_3repE0EEENS1_30default_config_static_selectorELNS0_4arch9wavefront6targetE1EEEvT1_,comdat
	.protected	_ZN7rocprim17ROCPRIM_400000_NS6detail17trampoline_kernelINS0_14default_configENS1_27scan_by_key_config_selectorIiiEEZZNS1_16scan_by_key_implILNS1_25lookback_scan_determinismE0ELb0ES3_N6thrust23THRUST_200600_302600_NS16reverse_iteratorIPKiEESD_NSA_IPiEEiN6hipcub16HIPCUB_304000_NS3MaxENSH_8EqualityEiEE10hipError_tPvRmT2_T3_T4_T5_mT6_T7_P12ihipStream_tbENKUlT_T0_E_clISt17integral_constantIbLb1EESZ_IbLb0EEEEDaSV_SW_EUlSV_E_NS1_11comp_targetILNS1_3genE8ELNS1_11target_archE1030ELNS1_3gpuE2ELNS1_3repE0EEENS1_30default_config_static_selectorELNS0_4arch9wavefront6targetE1EEEvT1_ ; -- Begin function _ZN7rocprim17ROCPRIM_400000_NS6detail17trampoline_kernelINS0_14default_configENS1_27scan_by_key_config_selectorIiiEEZZNS1_16scan_by_key_implILNS1_25lookback_scan_determinismE0ELb0ES3_N6thrust23THRUST_200600_302600_NS16reverse_iteratorIPKiEESD_NSA_IPiEEiN6hipcub16HIPCUB_304000_NS3MaxENSH_8EqualityEiEE10hipError_tPvRmT2_T3_T4_T5_mT6_T7_P12ihipStream_tbENKUlT_T0_E_clISt17integral_constantIbLb1EESZ_IbLb0EEEEDaSV_SW_EUlSV_E_NS1_11comp_targetILNS1_3genE8ELNS1_11target_archE1030ELNS1_3gpuE2ELNS1_3repE0EEENS1_30default_config_static_selectorELNS0_4arch9wavefront6targetE1EEEvT1_
	.globl	_ZN7rocprim17ROCPRIM_400000_NS6detail17trampoline_kernelINS0_14default_configENS1_27scan_by_key_config_selectorIiiEEZZNS1_16scan_by_key_implILNS1_25lookback_scan_determinismE0ELb0ES3_N6thrust23THRUST_200600_302600_NS16reverse_iteratorIPKiEESD_NSA_IPiEEiN6hipcub16HIPCUB_304000_NS3MaxENSH_8EqualityEiEE10hipError_tPvRmT2_T3_T4_T5_mT6_T7_P12ihipStream_tbENKUlT_T0_E_clISt17integral_constantIbLb1EESZ_IbLb0EEEEDaSV_SW_EUlSV_E_NS1_11comp_targetILNS1_3genE8ELNS1_11target_archE1030ELNS1_3gpuE2ELNS1_3repE0EEENS1_30default_config_static_selectorELNS0_4arch9wavefront6targetE1EEEvT1_
	.p2align	8
	.type	_ZN7rocprim17ROCPRIM_400000_NS6detail17trampoline_kernelINS0_14default_configENS1_27scan_by_key_config_selectorIiiEEZZNS1_16scan_by_key_implILNS1_25lookback_scan_determinismE0ELb0ES3_N6thrust23THRUST_200600_302600_NS16reverse_iteratorIPKiEESD_NSA_IPiEEiN6hipcub16HIPCUB_304000_NS3MaxENSH_8EqualityEiEE10hipError_tPvRmT2_T3_T4_T5_mT6_T7_P12ihipStream_tbENKUlT_T0_E_clISt17integral_constantIbLb1EESZ_IbLb0EEEEDaSV_SW_EUlSV_E_NS1_11comp_targetILNS1_3genE8ELNS1_11target_archE1030ELNS1_3gpuE2ELNS1_3repE0EEENS1_30default_config_static_selectorELNS0_4arch9wavefront6targetE1EEEvT1_,@function
_ZN7rocprim17ROCPRIM_400000_NS6detail17trampoline_kernelINS0_14default_configENS1_27scan_by_key_config_selectorIiiEEZZNS1_16scan_by_key_implILNS1_25lookback_scan_determinismE0ELb0ES3_N6thrust23THRUST_200600_302600_NS16reverse_iteratorIPKiEESD_NSA_IPiEEiN6hipcub16HIPCUB_304000_NS3MaxENSH_8EqualityEiEE10hipError_tPvRmT2_T3_T4_T5_mT6_T7_P12ihipStream_tbENKUlT_T0_E_clISt17integral_constantIbLb1EESZ_IbLb0EEEEDaSV_SW_EUlSV_E_NS1_11comp_targetILNS1_3genE8ELNS1_11target_archE1030ELNS1_3gpuE2ELNS1_3repE0EEENS1_30default_config_static_selectorELNS0_4arch9wavefront6targetE1EEEvT1_: ; @_ZN7rocprim17ROCPRIM_400000_NS6detail17trampoline_kernelINS0_14default_configENS1_27scan_by_key_config_selectorIiiEEZZNS1_16scan_by_key_implILNS1_25lookback_scan_determinismE0ELb0ES3_N6thrust23THRUST_200600_302600_NS16reverse_iteratorIPKiEESD_NSA_IPiEEiN6hipcub16HIPCUB_304000_NS3MaxENSH_8EqualityEiEE10hipError_tPvRmT2_T3_T4_T5_mT6_T7_P12ihipStream_tbENKUlT_T0_E_clISt17integral_constantIbLb1EESZ_IbLb0EEEEDaSV_SW_EUlSV_E_NS1_11comp_targetILNS1_3genE8ELNS1_11target_archE1030ELNS1_3gpuE2ELNS1_3repE0EEENS1_30default_config_static_selectorELNS0_4arch9wavefront6targetE1EEEvT1_
; %bb.0:
	.section	.rodata,"a",@progbits
	.p2align	6, 0x0
	.amdhsa_kernel _ZN7rocprim17ROCPRIM_400000_NS6detail17trampoline_kernelINS0_14default_configENS1_27scan_by_key_config_selectorIiiEEZZNS1_16scan_by_key_implILNS1_25lookback_scan_determinismE0ELb0ES3_N6thrust23THRUST_200600_302600_NS16reverse_iteratorIPKiEESD_NSA_IPiEEiN6hipcub16HIPCUB_304000_NS3MaxENSH_8EqualityEiEE10hipError_tPvRmT2_T3_T4_T5_mT6_T7_P12ihipStream_tbENKUlT_T0_E_clISt17integral_constantIbLb1EESZ_IbLb0EEEEDaSV_SW_EUlSV_E_NS1_11comp_targetILNS1_3genE8ELNS1_11target_archE1030ELNS1_3gpuE2ELNS1_3repE0EEENS1_30default_config_static_selectorELNS0_4arch9wavefront6targetE1EEEvT1_
		.amdhsa_group_segment_fixed_size 0
		.amdhsa_private_segment_fixed_size 0
		.amdhsa_kernarg_size 112
		.amdhsa_user_sgpr_count 2
		.amdhsa_user_sgpr_dispatch_ptr 0
		.amdhsa_user_sgpr_queue_ptr 0
		.amdhsa_user_sgpr_kernarg_segment_ptr 1
		.amdhsa_user_sgpr_dispatch_id 0
		.amdhsa_user_sgpr_kernarg_preload_length 0
		.amdhsa_user_sgpr_kernarg_preload_offset 0
		.amdhsa_user_sgpr_private_segment_size 0
		.amdhsa_uses_dynamic_stack 0
		.amdhsa_enable_private_segment 0
		.amdhsa_system_sgpr_workgroup_id_x 1
		.amdhsa_system_sgpr_workgroup_id_y 0
		.amdhsa_system_sgpr_workgroup_id_z 0
		.amdhsa_system_sgpr_workgroup_info 0
		.amdhsa_system_vgpr_workitem_id 0
		.amdhsa_next_free_vgpr 1
		.amdhsa_next_free_sgpr 0
		.amdhsa_accum_offset 4
		.amdhsa_reserve_vcc 0
		.amdhsa_float_round_mode_32 0
		.amdhsa_float_round_mode_16_64 0
		.amdhsa_float_denorm_mode_32 3
		.amdhsa_float_denorm_mode_16_64 3
		.amdhsa_dx10_clamp 1
		.amdhsa_ieee_mode 1
		.amdhsa_fp16_overflow 0
		.amdhsa_tg_split 0
		.amdhsa_exception_fp_ieee_invalid_op 0
		.amdhsa_exception_fp_denorm_src 0
		.amdhsa_exception_fp_ieee_div_zero 0
		.amdhsa_exception_fp_ieee_overflow 0
		.amdhsa_exception_fp_ieee_underflow 0
		.amdhsa_exception_fp_ieee_inexact 0
		.amdhsa_exception_int_div_zero 0
	.end_amdhsa_kernel
	.section	.text._ZN7rocprim17ROCPRIM_400000_NS6detail17trampoline_kernelINS0_14default_configENS1_27scan_by_key_config_selectorIiiEEZZNS1_16scan_by_key_implILNS1_25lookback_scan_determinismE0ELb0ES3_N6thrust23THRUST_200600_302600_NS16reverse_iteratorIPKiEESD_NSA_IPiEEiN6hipcub16HIPCUB_304000_NS3MaxENSH_8EqualityEiEE10hipError_tPvRmT2_T3_T4_T5_mT6_T7_P12ihipStream_tbENKUlT_T0_E_clISt17integral_constantIbLb1EESZ_IbLb0EEEEDaSV_SW_EUlSV_E_NS1_11comp_targetILNS1_3genE8ELNS1_11target_archE1030ELNS1_3gpuE2ELNS1_3repE0EEENS1_30default_config_static_selectorELNS0_4arch9wavefront6targetE1EEEvT1_,"axG",@progbits,_ZN7rocprim17ROCPRIM_400000_NS6detail17trampoline_kernelINS0_14default_configENS1_27scan_by_key_config_selectorIiiEEZZNS1_16scan_by_key_implILNS1_25lookback_scan_determinismE0ELb0ES3_N6thrust23THRUST_200600_302600_NS16reverse_iteratorIPKiEESD_NSA_IPiEEiN6hipcub16HIPCUB_304000_NS3MaxENSH_8EqualityEiEE10hipError_tPvRmT2_T3_T4_T5_mT6_T7_P12ihipStream_tbENKUlT_T0_E_clISt17integral_constantIbLb1EESZ_IbLb0EEEEDaSV_SW_EUlSV_E_NS1_11comp_targetILNS1_3genE8ELNS1_11target_archE1030ELNS1_3gpuE2ELNS1_3repE0EEENS1_30default_config_static_selectorELNS0_4arch9wavefront6targetE1EEEvT1_,comdat
.Lfunc_end81:
	.size	_ZN7rocprim17ROCPRIM_400000_NS6detail17trampoline_kernelINS0_14default_configENS1_27scan_by_key_config_selectorIiiEEZZNS1_16scan_by_key_implILNS1_25lookback_scan_determinismE0ELb0ES3_N6thrust23THRUST_200600_302600_NS16reverse_iteratorIPKiEESD_NSA_IPiEEiN6hipcub16HIPCUB_304000_NS3MaxENSH_8EqualityEiEE10hipError_tPvRmT2_T3_T4_T5_mT6_T7_P12ihipStream_tbENKUlT_T0_E_clISt17integral_constantIbLb1EESZ_IbLb0EEEEDaSV_SW_EUlSV_E_NS1_11comp_targetILNS1_3genE8ELNS1_11target_archE1030ELNS1_3gpuE2ELNS1_3repE0EEENS1_30default_config_static_selectorELNS0_4arch9wavefront6targetE1EEEvT1_, .Lfunc_end81-_ZN7rocprim17ROCPRIM_400000_NS6detail17trampoline_kernelINS0_14default_configENS1_27scan_by_key_config_selectorIiiEEZZNS1_16scan_by_key_implILNS1_25lookback_scan_determinismE0ELb0ES3_N6thrust23THRUST_200600_302600_NS16reverse_iteratorIPKiEESD_NSA_IPiEEiN6hipcub16HIPCUB_304000_NS3MaxENSH_8EqualityEiEE10hipError_tPvRmT2_T3_T4_T5_mT6_T7_P12ihipStream_tbENKUlT_T0_E_clISt17integral_constantIbLb1EESZ_IbLb0EEEEDaSV_SW_EUlSV_E_NS1_11comp_targetILNS1_3genE8ELNS1_11target_archE1030ELNS1_3gpuE2ELNS1_3repE0EEENS1_30default_config_static_selectorELNS0_4arch9wavefront6targetE1EEEvT1_
                                        ; -- End function
	.section	.AMDGPU.csdata,"",@progbits
; Kernel info:
; codeLenInByte = 0
; NumSgprs: 6
; NumVgprs: 0
; NumAgprs: 0
; TotalNumVgprs: 0
; ScratchSize: 0
; MemoryBound: 0
; FloatMode: 240
; IeeeMode: 1
; LDSByteSize: 0 bytes/workgroup (compile time only)
; SGPRBlocks: 0
; VGPRBlocks: 0
; NumSGPRsForWavesPerEU: 6
; NumVGPRsForWavesPerEU: 1
; AccumOffset: 4
; Occupancy: 8
; WaveLimiterHint : 0
; COMPUTE_PGM_RSRC2:SCRATCH_EN: 0
; COMPUTE_PGM_RSRC2:USER_SGPR: 2
; COMPUTE_PGM_RSRC2:TRAP_HANDLER: 0
; COMPUTE_PGM_RSRC2:TGID_X_EN: 1
; COMPUTE_PGM_RSRC2:TGID_Y_EN: 0
; COMPUTE_PGM_RSRC2:TGID_Z_EN: 0
; COMPUTE_PGM_RSRC2:TIDIG_COMP_CNT: 0
; COMPUTE_PGM_RSRC3_GFX90A:ACCUM_OFFSET: 0
; COMPUTE_PGM_RSRC3_GFX90A:TG_SPLIT: 0
	.section	.text._ZN7rocprim17ROCPRIM_400000_NS6detail30init_device_scan_by_key_kernelINS1_19lookback_scan_stateINS0_5tupleIJibEEELb0ELb1EEEN6thrust23THRUST_200600_302600_NS16reverse_iteratorIPKiEEjNS1_16block_id_wrapperIjLb1EEEEEvT_jjPNSF_10value_typeET0_PNSt15iterator_traitsISI_E10value_typeEmT1_T2_,"axG",@progbits,_ZN7rocprim17ROCPRIM_400000_NS6detail30init_device_scan_by_key_kernelINS1_19lookback_scan_stateINS0_5tupleIJibEEELb0ELb1EEEN6thrust23THRUST_200600_302600_NS16reverse_iteratorIPKiEEjNS1_16block_id_wrapperIjLb1EEEEEvT_jjPNSF_10value_typeET0_PNSt15iterator_traitsISI_E10value_typeEmT1_T2_,comdat
	.protected	_ZN7rocprim17ROCPRIM_400000_NS6detail30init_device_scan_by_key_kernelINS1_19lookback_scan_stateINS0_5tupleIJibEEELb0ELb1EEEN6thrust23THRUST_200600_302600_NS16reverse_iteratorIPKiEEjNS1_16block_id_wrapperIjLb1EEEEEvT_jjPNSF_10value_typeET0_PNSt15iterator_traitsISI_E10value_typeEmT1_T2_ ; -- Begin function _ZN7rocprim17ROCPRIM_400000_NS6detail30init_device_scan_by_key_kernelINS1_19lookback_scan_stateINS0_5tupleIJibEEELb0ELb1EEEN6thrust23THRUST_200600_302600_NS16reverse_iteratorIPKiEEjNS1_16block_id_wrapperIjLb1EEEEEvT_jjPNSF_10value_typeET0_PNSt15iterator_traitsISI_E10value_typeEmT1_T2_
	.globl	_ZN7rocprim17ROCPRIM_400000_NS6detail30init_device_scan_by_key_kernelINS1_19lookback_scan_stateINS0_5tupleIJibEEELb0ELb1EEEN6thrust23THRUST_200600_302600_NS16reverse_iteratorIPKiEEjNS1_16block_id_wrapperIjLb1EEEEEvT_jjPNSF_10value_typeET0_PNSt15iterator_traitsISI_E10value_typeEmT1_T2_
	.p2align	8
	.type	_ZN7rocprim17ROCPRIM_400000_NS6detail30init_device_scan_by_key_kernelINS1_19lookback_scan_stateINS0_5tupleIJibEEELb0ELb1EEEN6thrust23THRUST_200600_302600_NS16reverse_iteratorIPKiEEjNS1_16block_id_wrapperIjLb1EEEEEvT_jjPNSF_10value_typeET0_PNSt15iterator_traitsISI_E10value_typeEmT1_T2_,@function
_ZN7rocprim17ROCPRIM_400000_NS6detail30init_device_scan_by_key_kernelINS1_19lookback_scan_stateINS0_5tupleIJibEEELb0ELb1EEEN6thrust23THRUST_200600_302600_NS16reverse_iteratorIPKiEEjNS1_16block_id_wrapperIjLb1EEEEEvT_jjPNSF_10value_typeET0_PNSt15iterator_traitsISI_E10value_typeEmT1_T2_: ; @_ZN7rocprim17ROCPRIM_400000_NS6detail30init_device_scan_by_key_kernelINS1_19lookback_scan_stateINS0_5tupleIJibEEELb0ELb1EEEN6thrust23THRUST_200600_302600_NS16reverse_iteratorIPKiEEjNS1_16block_id_wrapperIjLb1EEEEEvT_jjPNSF_10value_typeET0_PNSt15iterator_traitsISI_E10value_typeEmT1_T2_
; %bb.0:
	s_load_dword s3, s[0:1], 0x4c
	s_load_dwordx8 s[4:11], s[0:1], 0x0
	s_load_dword s18, s[0:1], 0x40
	s_waitcnt lgkmcnt(0)
	s_and_b32 s19, s3, 0xffff
	s_mul_i32 s2, s2, s19
	s_cmp_eq_u64 s[8:9], 0
	v_add_u32_e32 v4, s2, v0
	s_cbranch_scc1 .LBB82_8
; %bb.1:
	s_cmp_lt_u32 s7, s6
	s_cselect_b32 s2, s7, 0
	s_mov_b32 s13, 0
	v_cmp_eq_u32_e32 vcc, s2, v4
	s_and_saveexec_b64 s[2:3], vcc
	s_cbranch_execz .LBB82_7
; %bb.2:
	s_add_i32 s12, s7, 64
	s_lshl_b64 s[12:13], s[12:13], 4
	s_add_u32 s16, s4, s12
	s_addc_u32 s17, s5, s13
	v_mov_b64_e32 v[0:1], s[16:17]
	;;#ASMSTART
	global_load_dwordx4 v[0:3], v[0:1] off sc1	
s_waitcnt vmcnt(0)
	;;#ASMEND
	v_mov_b32_e32 v7, 0
	v_and_b32_e32 v6, 0xff, v2
	s_mov_b64 s[14:15], 0
	v_cmp_eq_u64_e32 vcc, 0, v[6:7]
	s_and_saveexec_b64 s[12:13], vcc
	s_cbranch_execz .LBB82_6
; %bb.3:
	v_mov_b64_e32 v[8:9], s[16:17]
.LBB82_4:                               ; =>This Inner Loop Header: Depth=1
	;;#ASMSTART
	global_load_dwordx4 v[0:3], v[8:9] off sc1	
s_waitcnt vmcnt(0)
	;;#ASMEND
	s_nop 0
	v_and_b32_e32 v6, 0xff, v2
	v_cmp_ne_u64_e32 vcc, 0, v[6:7]
	s_or_b64 s[14:15], vcc, s[14:15]
	s_andn2_b64 exec, exec, s[14:15]
	s_cbranch_execnz .LBB82_4
; %bb.5:
	s_or_b64 exec, exec, s[14:15]
.LBB82_6:
	s_or_b64 exec, exec, s[12:13]
	v_mov_b32_e32 v2, 0
	global_store_dword v2, v0, s[8:9]
	global_store_byte v2, v1, s[8:9] offset:4
.LBB82_7:
	s_or_b64 exec, exec, s[2:3]
.LBB82_8:
	v_cmp_eq_u32_e32 vcc, 0, v4
	s_and_saveexec_b64 s[2:3], vcc
	s_cbranch_execz .LBB82_10
; %bb.9:
	s_load_dwordx2 s[8:9], s[0:1], 0x38
	v_mov_b32_e32 v0, 0
	s_waitcnt lgkmcnt(0)
	global_store_dword v0, v0, s[8:9]
.LBB82_10:
	s_or_b64 exec, exec, s[2:3]
	v_cmp_gt_u32_e32 vcc, s6, v4
	s_and_saveexec_b64 s[2:3], vcc
	s_cbranch_execz .LBB82_12
; %bb.11:
	v_add_u32_e32 v0, 64, v4
	v_mov_b32_e32 v1, 0
	v_lshl_add_u64 v[6:7], v[0:1], 4, s[4:5]
	v_mov_b32_e32 v0, v1
	v_mov_b32_e32 v2, v1
	;; [unrolled: 1-line block ×3, first 2 shown]
	global_store_dwordx4 v[6:7], v[0:3], off
.LBB82_12:
	s_or_b64 exec, exec, s[2:3]
	v_cmp_gt_u32_e32 vcc, 64, v4
	v_mov_b32_e32 v5, 0
	s_and_saveexec_b64 s[2:3], vcc
	s_cbranch_execz .LBB82_14
; %bb.13:
	v_lshl_add_u64 v[6:7], v[4:5], 4, s[4:5]
	v_mov_b32_e32 v2, 0xff
	v_mov_b32_e32 v0, v5
	v_mov_b32_e32 v1, v5
	v_mov_b32_e32 v3, v5
	global_store_dwordx4 v[6:7], v[0:3], off
.LBB82_14:
	s_or_b64 exec, exec, s[2:3]
	s_load_dwordx2 s[2:3], s[0:1], 0x28
	s_waitcnt lgkmcnt(0)
	v_cmp_gt_u64_e32 vcc, s[2:3], v[4:5]
	s_and_saveexec_b64 s[4:5], vcc
	s_cbranch_execz .LBB82_17
; %bb.15:
	s_load_dword s6, s[0:1], 0x30
	s_load_dwordx2 s[8:9], s[0:1], 0x20
	v_mov_b32_e32 v1, 0
	s_mul_i32 s0, s18, s19
	v_mov_b32_e32 v2, s11
	s_waitcnt lgkmcnt(0)
	s_add_i32 s4, s6, -1
	v_mov_b32_e32 v0, s4
	v_mad_u64_u32 v[0:1], s[4:5], s6, v4, v[0:1]
	v_lshlrev_b64 v[0:1], 2, v[0:1]
	s_mul_hi_u32 s5, s6, s0
	s_mul_i32 s4, s6, s0
	v_sub_co_u32_e32 v0, vcc, s10, v0
	s_lshl_b64 s[6:7], s[4:5], 2
	s_mov_b32 s1, 0
	v_subb_co_u32_e32 v1, vcc, v2, v1, vcc
	s_sub_u32 s6, 0, s6
	v_lshl_add_u64 v[0:1], v[0:1], 0, -4
	s_mov_b64 s[4:5], 0
	s_subb_u32 s7, 0, s7
	v_lshl_add_u64 v[2:3], v[4:5], 2, s[8:9]
	s_lshl_b64 s[8:9], s[0:1], 2
.LBB82_16:                              ; =>This Inner Loop Header: Depth=1
	global_load_dword v6, v[0:1], off
	v_lshl_add_u64 v[4:5], v[4:5], 0, s[0:1]
	v_cmp_le_u64_e32 vcc, s[2:3], v[4:5]
	v_lshl_add_u64 v[0:1], v[0:1], 0, s[6:7]
	s_or_b64 s[4:5], vcc, s[4:5]
	s_waitcnt vmcnt(0)
	global_store_dword v[2:3], v6, off
	v_lshl_add_u64 v[2:3], v[2:3], 0, s[8:9]
	s_andn2_b64 exec, exec, s[4:5]
	s_cbranch_execnz .LBB82_16
.LBB82_17:
	s_endpgm
	.section	.rodata,"a",@progbits
	.p2align	6, 0x0
	.amdhsa_kernel _ZN7rocprim17ROCPRIM_400000_NS6detail30init_device_scan_by_key_kernelINS1_19lookback_scan_stateINS0_5tupleIJibEEELb0ELb1EEEN6thrust23THRUST_200600_302600_NS16reverse_iteratorIPKiEEjNS1_16block_id_wrapperIjLb1EEEEEvT_jjPNSF_10value_typeET0_PNSt15iterator_traitsISI_E10value_typeEmT1_T2_
		.amdhsa_group_segment_fixed_size 0
		.amdhsa_private_segment_fixed_size 0
		.amdhsa_kernarg_size 320
		.amdhsa_user_sgpr_count 2
		.amdhsa_user_sgpr_dispatch_ptr 0
		.amdhsa_user_sgpr_queue_ptr 0
		.amdhsa_user_sgpr_kernarg_segment_ptr 1
		.amdhsa_user_sgpr_dispatch_id 0
		.amdhsa_user_sgpr_kernarg_preload_length 0
		.amdhsa_user_sgpr_kernarg_preload_offset 0
		.amdhsa_user_sgpr_private_segment_size 0
		.amdhsa_uses_dynamic_stack 0
		.amdhsa_enable_private_segment 0
		.amdhsa_system_sgpr_workgroup_id_x 1
		.amdhsa_system_sgpr_workgroup_id_y 0
		.amdhsa_system_sgpr_workgroup_id_z 0
		.amdhsa_system_sgpr_workgroup_info 0
		.amdhsa_system_vgpr_workitem_id 0
		.amdhsa_next_free_vgpr 10
		.amdhsa_next_free_sgpr 20
		.amdhsa_accum_offset 12
		.amdhsa_reserve_vcc 1
		.amdhsa_float_round_mode_32 0
		.amdhsa_float_round_mode_16_64 0
		.amdhsa_float_denorm_mode_32 3
		.amdhsa_float_denorm_mode_16_64 3
		.amdhsa_dx10_clamp 1
		.amdhsa_ieee_mode 1
		.amdhsa_fp16_overflow 0
		.amdhsa_tg_split 0
		.amdhsa_exception_fp_ieee_invalid_op 0
		.amdhsa_exception_fp_denorm_src 0
		.amdhsa_exception_fp_ieee_div_zero 0
		.amdhsa_exception_fp_ieee_overflow 0
		.amdhsa_exception_fp_ieee_underflow 0
		.amdhsa_exception_fp_ieee_inexact 0
		.amdhsa_exception_int_div_zero 0
	.end_amdhsa_kernel
	.section	.text._ZN7rocprim17ROCPRIM_400000_NS6detail30init_device_scan_by_key_kernelINS1_19lookback_scan_stateINS0_5tupleIJibEEELb0ELb1EEEN6thrust23THRUST_200600_302600_NS16reverse_iteratorIPKiEEjNS1_16block_id_wrapperIjLb1EEEEEvT_jjPNSF_10value_typeET0_PNSt15iterator_traitsISI_E10value_typeEmT1_T2_,"axG",@progbits,_ZN7rocprim17ROCPRIM_400000_NS6detail30init_device_scan_by_key_kernelINS1_19lookback_scan_stateINS0_5tupleIJibEEELb0ELb1EEEN6thrust23THRUST_200600_302600_NS16reverse_iteratorIPKiEEjNS1_16block_id_wrapperIjLb1EEEEEvT_jjPNSF_10value_typeET0_PNSt15iterator_traitsISI_E10value_typeEmT1_T2_,comdat
.Lfunc_end82:
	.size	_ZN7rocprim17ROCPRIM_400000_NS6detail30init_device_scan_by_key_kernelINS1_19lookback_scan_stateINS0_5tupleIJibEEELb0ELb1EEEN6thrust23THRUST_200600_302600_NS16reverse_iteratorIPKiEEjNS1_16block_id_wrapperIjLb1EEEEEvT_jjPNSF_10value_typeET0_PNSt15iterator_traitsISI_E10value_typeEmT1_T2_, .Lfunc_end82-_ZN7rocprim17ROCPRIM_400000_NS6detail30init_device_scan_by_key_kernelINS1_19lookback_scan_stateINS0_5tupleIJibEEELb0ELb1EEEN6thrust23THRUST_200600_302600_NS16reverse_iteratorIPKiEEjNS1_16block_id_wrapperIjLb1EEEEEvT_jjPNSF_10value_typeET0_PNSt15iterator_traitsISI_E10value_typeEmT1_T2_
                                        ; -- End function
	.section	.AMDGPU.csdata,"",@progbits
; Kernel info:
; codeLenInByte = 568
; NumSgprs: 26
; NumVgprs: 10
; NumAgprs: 0
; TotalNumVgprs: 10
; ScratchSize: 0
; MemoryBound: 0
; FloatMode: 240
; IeeeMode: 1
; LDSByteSize: 0 bytes/workgroup (compile time only)
; SGPRBlocks: 3
; VGPRBlocks: 1
; NumSGPRsForWavesPerEU: 26
; NumVGPRsForWavesPerEU: 10
; AccumOffset: 12
; Occupancy: 8
; WaveLimiterHint : 0
; COMPUTE_PGM_RSRC2:SCRATCH_EN: 0
; COMPUTE_PGM_RSRC2:USER_SGPR: 2
; COMPUTE_PGM_RSRC2:TRAP_HANDLER: 0
; COMPUTE_PGM_RSRC2:TGID_X_EN: 1
; COMPUTE_PGM_RSRC2:TGID_Y_EN: 0
; COMPUTE_PGM_RSRC2:TGID_Z_EN: 0
; COMPUTE_PGM_RSRC2:TIDIG_COMP_CNT: 0
; COMPUTE_PGM_RSRC3_GFX90A:ACCUM_OFFSET: 2
; COMPUTE_PGM_RSRC3_GFX90A:TG_SPLIT: 0
	.section	.text._ZN7rocprim17ROCPRIM_400000_NS6detail17trampoline_kernelINS0_14default_configENS1_27scan_by_key_config_selectorIiiEEZZNS1_16scan_by_key_implILNS1_25lookback_scan_determinismE0ELb0ES3_N6thrust23THRUST_200600_302600_NS16reverse_iteratorIPKiEESD_NSA_IPiEEiN6hipcub16HIPCUB_304000_NS3MaxENSH_8EqualityEiEE10hipError_tPvRmT2_T3_T4_T5_mT6_T7_P12ihipStream_tbENKUlT_T0_E_clISt17integral_constantIbLb0EESZ_IbLb1EEEEDaSV_SW_EUlSV_E_NS1_11comp_targetILNS1_3genE0ELNS1_11target_archE4294967295ELNS1_3gpuE0ELNS1_3repE0EEENS1_30default_config_static_selectorELNS0_4arch9wavefront6targetE1EEEvT1_,"axG",@progbits,_ZN7rocprim17ROCPRIM_400000_NS6detail17trampoline_kernelINS0_14default_configENS1_27scan_by_key_config_selectorIiiEEZZNS1_16scan_by_key_implILNS1_25lookback_scan_determinismE0ELb0ES3_N6thrust23THRUST_200600_302600_NS16reverse_iteratorIPKiEESD_NSA_IPiEEiN6hipcub16HIPCUB_304000_NS3MaxENSH_8EqualityEiEE10hipError_tPvRmT2_T3_T4_T5_mT6_T7_P12ihipStream_tbENKUlT_T0_E_clISt17integral_constantIbLb0EESZ_IbLb1EEEEDaSV_SW_EUlSV_E_NS1_11comp_targetILNS1_3genE0ELNS1_11target_archE4294967295ELNS1_3gpuE0ELNS1_3repE0EEENS1_30default_config_static_selectorELNS0_4arch9wavefront6targetE1EEEvT1_,comdat
	.protected	_ZN7rocprim17ROCPRIM_400000_NS6detail17trampoline_kernelINS0_14default_configENS1_27scan_by_key_config_selectorIiiEEZZNS1_16scan_by_key_implILNS1_25lookback_scan_determinismE0ELb0ES3_N6thrust23THRUST_200600_302600_NS16reverse_iteratorIPKiEESD_NSA_IPiEEiN6hipcub16HIPCUB_304000_NS3MaxENSH_8EqualityEiEE10hipError_tPvRmT2_T3_T4_T5_mT6_T7_P12ihipStream_tbENKUlT_T0_E_clISt17integral_constantIbLb0EESZ_IbLb1EEEEDaSV_SW_EUlSV_E_NS1_11comp_targetILNS1_3genE0ELNS1_11target_archE4294967295ELNS1_3gpuE0ELNS1_3repE0EEENS1_30default_config_static_selectorELNS0_4arch9wavefront6targetE1EEEvT1_ ; -- Begin function _ZN7rocprim17ROCPRIM_400000_NS6detail17trampoline_kernelINS0_14default_configENS1_27scan_by_key_config_selectorIiiEEZZNS1_16scan_by_key_implILNS1_25lookback_scan_determinismE0ELb0ES3_N6thrust23THRUST_200600_302600_NS16reverse_iteratorIPKiEESD_NSA_IPiEEiN6hipcub16HIPCUB_304000_NS3MaxENSH_8EqualityEiEE10hipError_tPvRmT2_T3_T4_T5_mT6_T7_P12ihipStream_tbENKUlT_T0_E_clISt17integral_constantIbLb0EESZ_IbLb1EEEEDaSV_SW_EUlSV_E_NS1_11comp_targetILNS1_3genE0ELNS1_11target_archE4294967295ELNS1_3gpuE0ELNS1_3repE0EEENS1_30default_config_static_selectorELNS0_4arch9wavefront6targetE1EEEvT1_
	.globl	_ZN7rocprim17ROCPRIM_400000_NS6detail17trampoline_kernelINS0_14default_configENS1_27scan_by_key_config_selectorIiiEEZZNS1_16scan_by_key_implILNS1_25lookback_scan_determinismE0ELb0ES3_N6thrust23THRUST_200600_302600_NS16reverse_iteratorIPKiEESD_NSA_IPiEEiN6hipcub16HIPCUB_304000_NS3MaxENSH_8EqualityEiEE10hipError_tPvRmT2_T3_T4_T5_mT6_T7_P12ihipStream_tbENKUlT_T0_E_clISt17integral_constantIbLb0EESZ_IbLb1EEEEDaSV_SW_EUlSV_E_NS1_11comp_targetILNS1_3genE0ELNS1_11target_archE4294967295ELNS1_3gpuE0ELNS1_3repE0EEENS1_30default_config_static_selectorELNS0_4arch9wavefront6targetE1EEEvT1_
	.p2align	8
	.type	_ZN7rocprim17ROCPRIM_400000_NS6detail17trampoline_kernelINS0_14default_configENS1_27scan_by_key_config_selectorIiiEEZZNS1_16scan_by_key_implILNS1_25lookback_scan_determinismE0ELb0ES3_N6thrust23THRUST_200600_302600_NS16reverse_iteratorIPKiEESD_NSA_IPiEEiN6hipcub16HIPCUB_304000_NS3MaxENSH_8EqualityEiEE10hipError_tPvRmT2_T3_T4_T5_mT6_T7_P12ihipStream_tbENKUlT_T0_E_clISt17integral_constantIbLb0EESZ_IbLb1EEEEDaSV_SW_EUlSV_E_NS1_11comp_targetILNS1_3genE0ELNS1_11target_archE4294967295ELNS1_3gpuE0ELNS1_3repE0EEENS1_30default_config_static_selectorELNS0_4arch9wavefront6targetE1EEEvT1_,@function
_ZN7rocprim17ROCPRIM_400000_NS6detail17trampoline_kernelINS0_14default_configENS1_27scan_by_key_config_selectorIiiEEZZNS1_16scan_by_key_implILNS1_25lookback_scan_determinismE0ELb0ES3_N6thrust23THRUST_200600_302600_NS16reverse_iteratorIPKiEESD_NSA_IPiEEiN6hipcub16HIPCUB_304000_NS3MaxENSH_8EqualityEiEE10hipError_tPvRmT2_T3_T4_T5_mT6_T7_P12ihipStream_tbENKUlT_T0_E_clISt17integral_constantIbLb0EESZ_IbLb1EEEEDaSV_SW_EUlSV_E_NS1_11comp_targetILNS1_3genE0ELNS1_11target_archE4294967295ELNS1_3gpuE0ELNS1_3repE0EEENS1_30default_config_static_selectorELNS0_4arch9wavefront6targetE1EEEvT1_: ; @_ZN7rocprim17ROCPRIM_400000_NS6detail17trampoline_kernelINS0_14default_configENS1_27scan_by_key_config_selectorIiiEEZZNS1_16scan_by_key_implILNS1_25lookback_scan_determinismE0ELb0ES3_N6thrust23THRUST_200600_302600_NS16reverse_iteratorIPKiEESD_NSA_IPiEEiN6hipcub16HIPCUB_304000_NS3MaxENSH_8EqualityEiEE10hipError_tPvRmT2_T3_T4_T5_mT6_T7_P12ihipStream_tbENKUlT_T0_E_clISt17integral_constantIbLb0EESZ_IbLb1EEEEDaSV_SW_EUlSV_E_NS1_11comp_targetILNS1_3genE0ELNS1_11target_archE4294967295ELNS1_3gpuE0ELNS1_3repE0EEENS1_30default_config_static_selectorELNS0_4arch9wavefront6targetE1EEEvT1_
; %bb.0:
	.section	.rodata,"a",@progbits
	.p2align	6, 0x0
	.amdhsa_kernel _ZN7rocprim17ROCPRIM_400000_NS6detail17trampoline_kernelINS0_14default_configENS1_27scan_by_key_config_selectorIiiEEZZNS1_16scan_by_key_implILNS1_25lookback_scan_determinismE0ELb0ES3_N6thrust23THRUST_200600_302600_NS16reverse_iteratorIPKiEESD_NSA_IPiEEiN6hipcub16HIPCUB_304000_NS3MaxENSH_8EqualityEiEE10hipError_tPvRmT2_T3_T4_T5_mT6_T7_P12ihipStream_tbENKUlT_T0_E_clISt17integral_constantIbLb0EESZ_IbLb1EEEEDaSV_SW_EUlSV_E_NS1_11comp_targetILNS1_3genE0ELNS1_11target_archE4294967295ELNS1_3gpuE0ELNS1_3repE0EEENS1_30default_config_static_selectorELNS0_4arch9wavefront6targetE1EEEvT1_
		.amdhsa_group_segment_fixed_size 0
		.amdhsa_private_segment_fixed_size 0
		.amdhsa_kernarg_size 112
		.amdhsa_user_sgpr_count 2
		.amdhsa_user_sgpr_dispatch_ptr 0
		.amdhsa_user_sgpr_queue_ptr 0
		.amdhsa_user_sgpr_kernarg_segment_ptr 1
		.amdhsa_user_sgpr_dispatch_id 0
		.amdhsa_user_sgpr_kernarg_preload_length 0
		.amdhsa_user_sgpr_kernarg_preload_offset 0
		.amdhsa_user_sgpr_private_segment_size 0
		.amdhsa_uses_dynamic_stack 0
		.amdhsa_enable_private_segment 0
		.amdhsa_system_sgpr_workgroup_id_x 1
		.amdhsa_system_sgpr_workgroup_id_y 0
		.amdhsa_system_sgpr_workgroup_id_z 0
		.amdhsa_system_sgpr_workgroup_info 0
		.amdhsa_system_vgpr_workitem_id 0
		.amdhsa_next_free_vgpr 1
		.amdhsa_next_free_sgpr 0
		.amdhsa_accum_offset 4
		.amdhsa_reserve_vcc 0
		.amdhsa_float_round_mode_32 0
		.amdhsa_float_round_mode_16_64 0
		.amdhsa_float_denorm_mode_32 3
		.amdhsa_float_denorm_mode_16_64 3
		.amdhsa_dx10_clamp 1
		.amdhsa_ieee_mode 1
		.amdhsa_fp16_overflow 0
		.amdhsa_tg_split 0
		.amdhsa_exception_fp_ieee_invalid_op 0
		.amdhsa_exception_fp_denorm_src 0
		.amdhsa_exception_fp_ieee_div_zero 0
		.amdhsa_exception_fp_ieee_overflow 0
		.amdhsa_exception_fp_ieee_underflow 0
		.amdhsa_exception_fp_ieee_inexact 0
		.amdhsa_exception_int_div_zero 0
	.end_amdhsa_kernel
	.section	.text._ZN7rocprim17ROCPRIM_400000_NS6detail17trampoline_kernelINS0_14default_configENS1_27scan_by_key_config_selectorIiiEEZZNS1_16scan_by_key_implILNS1_25lookback_scan_determinismE0ELb0ES3_N6thrust23THRUST_200600_302600_NS16reverse_iteratorIPKiEESD_NSA_IPiEEiN6hipcub16HIPCUB_304000_NS3MaxENSH_8EqualityEiEE10hipError_tPvRmT2_T3_T4_T5_mT6_T7_P12ihipStream_tbENKUlT_T0_E_clISt17integral_constantIbLb0EESZ_IbLb1EEEEDaSV_SW_EUlSV_E_NS1_11comp_targetILNS1_3genE0ELNS1_11target_archE4294967295ELNS1_3gpuE0ELNS1_3repE0EEENS1_30default_config_static_selectorELNS0_4arch9wavefront6targetE1EEEvT1_,"axG",@progbits,_ZN7rocprim17ROCPRIM_400000_NS6detail17trampoline_kernelINS0_14default_configENS1_27scan_by_key_config_selectorIiiEEZZNS1_16scan_by_key_implILNS1_25lookback_scan_determinismE0ELb0ES3_N6thrust23THRUST_200600_302600_NS16reverse_iteratorIPKiEESD_NSA_IPiEEiN6hipcub16HIPCUB_304000_NS3MaxENSH_8EqualityEiEE10hipError_tPvRmT2_T3_T4_T5_mT6_T7_P12ihipStream_tbENKUlT_T0_E_clISt17integral_constantIbLb0EESZ_IbLb1EEEEDaSV_SW_EUlSV_E_NS1_11comp_targetILNS1_3genE0ELNS1_11target_archE4294967295ELNS1_3gpuE0ELNS1_3repE0EEENS1_30default_config_static_selectorELNS0_4arch9wavefront6targetE1EEEvT1_,comdat
.Lfunc_end83:
	.size	_ZN7rocprim17ROCPRIM_400000_NS6detail17trampoline_kernelINS0_14default_configENS1_27scan_by_key_config_selectorIiiEEZZNS1_16scan_by_key_implILNS1_25lookback_scan_determinismE0ELb0ES3_N6thrust23THRUST_200600_302600_NS16reverse_iteratorIPKiEESD_NSA_IPiEEiN6hipcub16HIPCUB_304000_NS3MaxENSH_8EqualityEiEE10hipError_tPvRmT2_T3_T4_T5_mT6_T7_P12ihipStream_tbENKUlT_T0_E_clISt17integral_constantIbLb0EESZ_IbLb1EEEEDaSV_SW_EUlSV_E_NS1_11comp_targetILNS1_3genE0ELNS1_11target_archE4294967295ELNS1_3gpuE0ELNS1_3repE0EEENS1_30default_config_static_selectorELNS0_4arch9wavefront6targetE1EEEvT1_, .Lfunc_end83-_ZN7rocprim17ROCPRIM_400000_NS6detail17trampoline_kernelINS0_14default_configENS1_27scan_by_key_config_selectorIiiEEZZNS1_16scan_by_key_implILNS1_25lookback_scan_determinismE0ELb0ES3_N6thrust23THRUST_200600_302600_NS16reverse_iteratorIPKiEESD_NSA_IPiEEiN6hipcub16HIPCUB_304000_NS3MaxENSH_8EqualityEiEE10hipError_tPvRmT2_T3_T4_T5_mT6_T7_P12ihipStream_tbENKUlT_T0_E_clISt17integral_constantIbLb0EESZ_IbLb1EEEEDaSV_SW_EUlSV_E_NS1_11comp_targetILNS1_3genE0ELNS1_11target_archE4294967295ELNS1_3gpuE0ELNS1_3repE0EEENS1_30default_config_static_selectorELNS0_4arch9wavefront6targetE1EEEvT1_
                                        ; -- End function
	.section	.AMDGPU.csdata,"",@progbits
; Kernel info:
; codeLenInByte = 0
; NumSgprs: 6
; NumVgprs: 0
; NumAgprs: 0
; TotalNumVgprs: 0
; ScratchSize: 0
; MemoryBound: 0
; FloatMode: 240
; IeeeMode: 1
; LDSByteSize: 0 bytes/workgroup (compile time only)
; SGPRBlocks: 0
; VGPRBlocks: 0
; NumSGPRsForWavesPerEU: 6
; NumVGPRsForWavesPerEU: 1
; AccumOffset: 4
; Occupancy: 8
; WaveLimiterHint : 0
; COMPUTE_PGM_RSRC2:SCRATCH_EN: 0
; COMPUTE_PGM_RSRC2:USER_SGPR: 2
; COMPUTE_PGM_RSRC2:TRAP_HANDLER: 0
; COMPUTE_PGM_RSRC2:TGID_X_EN: 1
; COMPUTE_PGM_RSRC2:TGID_Y_EN: 0
; COMPUTE_PGM_RSRC2:TGID_Z_EN: 0
; COMPUTE_PGM_RSRC2:TIDIG_COMP_CNT: 0
; COMPUTE_PGM_RSRC3_GFX90A:ACCUM_OFFSET: 0
; COMPUTE_PGM_RSRC3_GFX90A:TG_SPLIT: 0
	.section	.text._ZN7rocprim17ROCPRIM_400000_NS6detail17trampoline_kernelINS0_14default_configENS1_27scan_by_key_config_selectorIiiEEZZNS1_16scan_by_key_implILNS1_25lookback_scan_determinismE0ELb0ES3_N6thrust23THRUST_200600_302600_NS16reverse_iteratorIPKiEESD_NSA_IPiEEiN6hipcub16HIPCUB_304000_NS3MaxENSH_8EqualityEiEE10hipError_tPvRmT2_T3_T4_T5_mT6_T7_P12ihipStream_tbENKUlT_T0_E_clISt17integral_constantIbLb0EESZ_IbLb1EEEEDaSV_SW_EUlSV_E_NS1_11comp_targetILNS1_3genE10ELNS1_11target_archE1201ELNS1_3gpuE5ELNS1_3repE0EEENS1_30default_config_static_selectorELNS0_4arch9wavefront6targetE1EEEvT1_,"axG",@progbits,_ZN7rocprim17ROCPRIM_400000_NS6detail17trampoline_kernelINS0_14default_configENS1_27scan_by_key_config_selectorIiiEEZZNS1_16scan_by_key_implILNS1_25lookback_scan_determinismE0ELb0ES3_N6thrust23THRUST_200600_302600_NS16reverse_iteratorIPKiEESD_NSA_IPiEEiN6hipcub16HIPCUB_304000_NS3MaxENSH_8EqualityEiEE10hipError_tPvRmT2_T3_T4_T5_mT6_T7_P12ihipStream_tbENKUlT_T0_E_clISt17integral_constantIbLb0EESZ_IbLb1EEEEDaSV_SW_EUlSV_E_NS1_11comp_targetILNS1_3genE10ELNS1_11target_archE1201ELNS1_3gpuE5ELNS1_3repE0EEENS1_30default_config_static_selectorELNS0_4arch9wavefront6targetE1EEEvT1_,comdat
	.protected	_ZN7rocprim17ROCPRIM_400000_NS6detail17trampoline_kernelINS0_14default_configENS1_27scan_by_key_config_selectorIiiEEZZNS1_16scan_by_key_implILNS1_25lookback_scan_determinismE0ELb0ES3_N6thrust23THRUST_200600_302600_NS16reverse_iteratorIPKiEESD_NSA_IPiEEiN6hipcub16HIPCUB_304000_NS3MaxENSH_8EqualityEiEE10hipError_tPvRmT2_T3_T4_T5_mT6_T7_P12ihipStream_tbENKUlT_T0_E_clISt17integral_constantIbLb0EESZ_IbLb1EEEEDaSV_SW_EUlSV_E_NS1_11comp_targetILNS1_3genE10ELNS1_11target_archE1201ELNS1_3gpuE5ELNS1_3repE0EEENS1_30default_config_static_selectorELNS0_4arch9wavefront6targetE1EEEvT1_ ; -- Begin function _ZN7rocprim17ROCPRIM_400000_NS6detail17trampoline_kernelINS0_14default_configENS1_27scan_by_key_config_selectorIiiEEZZNS1_16scan_by_key_implILNS1_25lookback_scan_determinismE0ELb0ES3_N6thrust23THRUST_200600_302600_NS16reverse_iteratorIPKiEESD_NSA_IPiEEiN6hipcub16HIPCUB_304000_NS3MaxENSH_8EqualityEiEE10hipError_tPvRmT2_T3_T4_T5_mT6_T7_P12ihipStream_tbENKUlT_T0_E_clISt17integral_constantIbLb0EESZ_IbLb1EEEEDaSV_SW_EUlSV_E_NS1_11comp_targetILNS1_3genE10ELNS1_11target_archE1201ELNS1_3gpuE5ELNS1_3repE0EEENS1_30default_config_static_selectorELNS0_4arch9wavefront6targetE1EEEvT1_
	.globl	_ZN7rocprim17ROCPRIM_400000_NS6detail17trampoline_kernelINS0_14default_configENS1_27scan_by_key_config_selectorIiiEEZZNS1_16scan_by_key_implILNS1_25lookback_scan_determinismE0ELb0ES3_N6thrust23THRUST_200600_302600_NS16reverse_iteratorIPKiEESD_NSA_IPiEEiN6hipcub16HIPCUB_304000_NS3MaxENSH_8EqualityEiEE10hipError_tPvRmT2_T3_T4_T5_mT6_T7_P12ihipStream_tbENKUlT_T0_E_clISt17integral_constantIbLb0EESZ_IbLb1EEEEDaSV_SW_EUlSV_E_NS1_11comp_targetILNS1_3genE10ELNS1_11target_archE1201ELNS1_3gpuE5ELNS1_3repE0EEENS1_30default_config_static_selectorELNS0_4arch9wavefront6targetE1EEEvT1_
	.p2align	8
	.type	_ZN7rocprim17ROCPRIM_400000_NS6detail17trampoline_kernelINS0_14default_configENS1_27scan_by_key_config_selectorIiiEEZZNS1_16scan_by_key_implILNS1_25lookback_scan_determinismE0ELb0ES3_N6thrust23THRUST_200600_302600_NS16reverse_iteratorIPKiEESD_NSA_IPiEEiN6hipcub16HIPCUB_304000_NS3MaxENSH_8EqualityEiEE10hipError_tPvRmT2_T3_T4_T5_mT6_T7_P12ihipStream_tbENKUlT_T0_E_clISt17integral_constantIbLb0EESZ_IbLb1EEEEDaSV_SW_EUlSV_E_NS1_11comp_targetILNS1_3genE10ELNS1_11target_archE1201ELNS1_3gpuE5ELNS1_3repE0EEENS1_30default_config_static_selectorELNS0_4arch9wavefront6targetE1EEEvT1_,@function
_ZN7rocprim17ROCPRIM_400000_NS6detail17trampoline_kernelINS0_14default_configENS1_27scan_by_key_config_selectorIiiEEZZNS1_16scan_by_key_implILNS1_25lookback_scan_determinismE0ELb0ES3_N6thrust23THRUST_200600_302600_NS16reverse_iteratorIPKiEESD_NSA_IPiEEiN6hipcub16HIPCUB_304000_NS3MaxENSH_8EqualityEiEE10hipError_tPvRmT2_T3_T4_T5_mT6_T7_P12ihipStream_tbENKUlT_T0_E_clISt17integral_constantIbLb0EESZ_IbLb1EEEEDaSV_SW_EUlSV_E_NS1_11comp_targetILNS1_3genE10ELNS1_11target_archE1201ELNS1_3gpuE5ELNS1_3repE0EEENS1_30default_config_static_selectorELNS0_4arch9wavefront6targetE1EEEvT1_: ; @_ZN7rocprim17ROCPRIM_400000_NS6detail17trampoline_kernelINS0_14default_configENS1_27scan_by_key_config_selectorIiiEEZZNS1_16scan_by_key_implILNS1_25lookback_scan_determinismE0ELb0ES3_N6thrust23THRUST_200600_302600_NS16reverse_iteratorIPKiEESD_NSA_IPiEEiN6hipcub16HIPCUB_304000_NS3MaxENSH_8EqualityEiEE10hipError_tPvRmT2_T3_T4_T5_mT6_T7_P12ihipStream_tbENKUlT_T0_E_clISt17integral_constantIbLb0EESZ_IbLb1EEEEDaSV_SW_EUlSV_E_NS1_11comp_targetILNS1_3genE10ELNS1_11target_archE1201ELNS1_3gpuE5ELNS1_3repE0EEENS1_30default_config_static_selectorELNS0_4arch9wavefront6targetE1EEEvT1_
; %bb.0:
	.section	.rodata,"a",@progbits
	.p2align	6, 0x0
	.amdhsa_kernel _ZN7rocprim17ROCPRIM_400000_NS6detail17trampoline_kernelINS0_14default_configENS1_27scan_by_key_config_selectorIiiEEZZNS1_16scan_by_key_implILNS1_25lookback_scan_determinismE0ELb0ES3_N6thrust23THRUST_200600_302600_NS16reverse_iteratorIPKiEESD_NSA_IPiEEiN6hipcub16HIPCUB_304000_NS3MaxENSH_8EqualityEiEE10hipError_tPvRmT2_T3_T4_T5_mT6_T7_P12ihipStream_tbENKUlT_T0_E_clISt17integral_constantIbLb0EESZ_IbLb1EEEEDaSV_SW_EUlSV_E_NS1_11comp_targetILNS1_3genE10ELNS1_11target_archE1201ELNS1_3gpuE5ELNS1_3repE0EEENS1_30default_config_static_selectorELNS0_4arch9wavefront6targetE1EEEvT1_
		.amdhsa_group_segment_fixed_size 0
		.amdhsa_private_segment_fixed_size 0
		.amdhsa_kernarg_size 112
		.amdhsa_user_sgpr_count 2
		.amdhsa_user_sgpr_dispatch_ptr 0
		.amdhsa_user_sgpr_queue_ptr 0
		.amdhsa_user_sgpr_kernarg_segment_ptr 1
		.amdhsa_user_sgpr_dispatch_id 0
		.amdhsa_user_sgpr_kernarg_preload_length 0
		.amdhsa_user_sgpr_kernarg_preload_offset 0
		.amdhsa_user_sgpr_private_segment_size 0
		.amdhsa_uses_dynamic_stack 0
		.amdhsa_enable_private_segment 0
		.amdhsa_system_sgpr_workgroup_id_x 1
		.amdhsa_system_sgpr_workgroup_id_y 0
		.amdhsa_system_sgpr_workgroup_id_z 0
		.amdhsa_system_sgpr_workgroup_info 0
		.amdhsa_system_vgpr_workitem_id 0
		.amdhsa_next_free_vgpr 1
		.amdhsa_next_free_sgpr 0
		.amdhsa_accum_offset 4
		.amdhsa_reserve_vcc 0
		.amdhsa_float_round_mode_32 0
		.amdhsa_float_round_mode_16_64 0
		.amdhsa_float_denorm_mode_32 3
		.amdhsa_float_denorm_mode_16_64 3
		.amdhsa_dx10_clamp 1
		.amdhsa_ieee_mode 1
		.amdhsa_fp16_overflow 0
		.amdhsa_tg_split 0
		.amdhsa_exception_fp_ieee_invalid_op 0
		.amdhsa_exception_fp_denorm_src 0
		.amdhsa_exception_fp_ieee_div_zero 0
		.amdhsa_exception_fp_ieee_overflow 0
		.amdhsa_exception_fp_ieee_underflow 0
		.amdhsa_exception_fp_ieee_inexact 0
		.amdhsa_exception_int_div_zero 0
	.end_amdhsa_kernel
	.section	.text._ZN7rocprim17ROCPRIM_400000_NS6detail17trampoline_kernelINS0_14default_configENS1_27scan_by_key_config_selectorIiiEEZZNS1_16scan_by_key_implILNS1_25lookback_scan_determinismE0ELb0ES3_N6thrust23THRUST_200600_302600_NS16reverse_iteratorIPKiEESD_NSA_IPiEEiN6hipcub16HIPCUB_304000_NS3MaxENSH_8EqualityEiEE10hipError_tPvRmT2_T3_T4_T5_mT6_T7_P12ihipStream_tbENKUlT_T0_E_clISt17integral_constantIbLb0EESZ_IbLb1EEEEDaSV_SW_EUlSV_E_NS1_11comp_targetILNS1_3genE10ELNS1_11target_archE1201ELNS1_3gpuE5ELNS1_3repE0EEENS1_30default_config_static_selectorELNS0_4arch9wavefront6targetE1EEEvT1_,"axG",@progbits,_ZN7rocprim17ROCPRIM_400000_NS6detail17trampoline_kernelINS0_14default_configENS1_27scan_by_key_config_selectorIiiEEZZNS1_16scan_by_key_implILNS1_25lookback_scan_determinismE0ELb0ES3_N6thrust23THRUST_200600_302600_NS16reverse_iteratorIPKiEESD_NSA_IPiEEiN6hipcub16HIPCUB_304000_NS3MaxENSH_8EqualityEiEE10hipError_tPvRmT2_T3_T4_T5_mT6_T7_P12ihipStream_tbENKUlT_T0_E_clISt17integral_constantIbLb0EESZ_IbLb1EEEEDaSV_SW_EUlSV_E_NS1_11comp_targetILNS1_3genE10ELNS1_11target_archE1201ELNS1_3gpuE5ELNS1_3repE0EEENS1_30default_config_static_selectorELNS0_4arch9wavefront6targetE1EEEvT1_,comdat
.Lfunc_end84:
	.size	_ZN7rocprim17ROCPRIM_400000_NS6detail17trampoline_kernelINS0_14default_configENS1_27scan_by_key_config_selectorIiiEEZZNS1_16scan_by_key_implILNS1_25lookback_scan_determinismE0ELb0ES3_N6thrust23THRUST_200600_302600_NS16reverse_iteratorIPKiEESD_NSA_IPiEEiN6hipcub16HIPCUB_304000_NS3MaxENSH_8EqualityEiEE10hipError_tPvRmT2_T3_T4_T5_mT6_T7_P12ihipStream_tbENKUlT_T0_E_clISt17integral_constantIbLb0EESZ_IbLb1EEEEDaSV_SW_EUlSV_E_NS1_11comp_targetILNS1_3genE10ELNS1_11target_archE1201ELNS1_3gpuE5ELNS1_3repE0EEENS1_30default_config_static_selectorELNS0_4arch9wavefront6targetE1EEEvT1_, .Lfunc_end84-_ZN7rocprim17ROCPRIM_400000_NS6detail17trampoline_kernelINS0_14default_configENS1_27scan_by_key_config_selectorIiiEEZZNS1_16scan_by_key_implILNS1_25lookback_scan_determinismE0ELb0ES3_N6thrust23THRUST_200600_302600_NS16reverse_iteratorIPKiEESD_NSA_IPiEEiN6hipcub16HIPCUB_304000_NS3MaxENSH_8EqualityEiEE10hipError_tPvRmT2_T3_T4_T5_mT6_T7_P12ihipStream_tbENKUlT_T0_E_clISt17integral_constantIbLb0EESZ_IbLb1EEEEDaSV_SW_EUlSV_E_NS1_11comp_targetILNS1_3genE10ELNS1_11target_archE1201ELNS1_3gpuE5ELNS1_3repE0EEENS1_30default_config_static_selectorELNS0_4arch9wavefront6targetE1EEEvT1_
                                        ; -- End function
	.section	.AMDGPU.csdata,"",@progbits
; Kernel info:
; codeLenInByte = 0
; NumSgprs: 6
; NumVgprs: 0
; NumAgprs: 0
; TotalNumVgprs: 0
; ScratchSize: 0
; MemoryBound: 0
; FloatMode: 240
; IeeeMode: 1
; LDSByteSize: 0 bytes/workgroup (compile time only)
; SGPRBlocks: 0
; VGPRBlocks: 0
; NumSGPRsForWavesPerEU: 6
; NumVGPRsForWavesPerEU: 1
; AccumOffset: 4
; Occupancy: 8
; WaveLimiterHint : 0
; COMPUTE_PGM_RSRC2:SCRATCH_EN: 0
; COMPUTE_PGM_RSRC2:USER_SGPR: 2
; COMPUTE_PGM_RSRC2:TRAP_HANDLER: 0
; COMPUTE_PGM_RSRC2:TGID_X_EN: 1
; COMPUTE_PGM_RSRC2:TGID_Y_EN: 0
; COMPUTE_PGM_RSRC2:TGID_Z_EN: 0
; COMPUTE_PGM_RSRC2:TIDIG_COMP_CNT: 0
; COMPUTE_PGM_RSRC3_GFX90A:ACCUM_OFFSET: 0
; COMPUTE_PGM_RSRC3_GFX90A:TG_SPLIT: 0
	.section	.text._ZN7rocprim17ROCPRIM_400000_NS6detail17trampoline_kernelINS0_14default_configENS1_27scan_by_key_config_selectorIiiEEZZNS1_16scan_by_key_implILNS1_25lookback_scan_determinismE0ELb0ES3_N6thrust23THRUST_200600_302600_NS16reverse_iteratorIPKiEESD_NSA_IPiEEiN6hipcub16HIPCUB_304000_NS3MaxENSH_8EqualityEiEE10hipError_tPvRmT2_T3_T4_T5_mT6_T7_P12ihipStream_tbENKUlT_T0_E_clISt17integral_constantIbLb0EESZ_IbLb1EEEEDaSV_SW_EUlSV_E_NS1_11comp_targetILNS1_3genE5ELNS1_11target_archE942ELNS1_3gpuE9ELNS1_3repE0EEENS1_30default_config_static_selectorELNS0_4arch9wavefront6targetE1EEEvT1_,"axG",@progbits,_ZN7rocprim17ROCPRIM_400000_NS6detail17trampoline_kernelINS0_14default_configENS1_27scan_by_key_config_selectorIiiEEZZNS1_16scan_by_key_implILNS1_25lookback_scan_determinismE0ELb0ES3_N6thrust23THRUST_200600_302600_NS16reverse_iteratorIPKiEESD_NSA_IPiEEiN6hipcub16HIPCUB_304000_NS3MaxENSH_8EqualityEiEE10hipError_tPvRmT2_T3_T4_T5_mT6_T7_P12ihipStream_tbENKUlT_T0_E_clISt17integral_constantIbLb0EESZ_IbLb1EEEEDaSV_SW_EUlSV_E_NS1_11comp_targetILNS1_3genE5ELNS1_11target_archE942ELNS1_3gpuE9ELNS1_3repE0EEENS1_30default_config_static_selectorELNS0_4arch9wavefront6targetE1EEEvT1_,comdat
	.protected	_ZN7rocprim17ROCPRIM_400000_NS6detail17trampoline_kernelINS0_14default_configENS1_27scan_by_key_config_selectorIiiEEZZNS1_16scan_by_key_implILNS1_25lookback_scan_determinismE0ELb0ES3_N6thrust23THRUST_200600_302600_NS16reverse_iteratorIPKiEESD_NSA_IPiEEiN6hipcub16HIPCUB_304000_NS3MaxENSH_8EqualityEiEE10hipError_tPvRmT2_T3_T4_T5_mT6_T7_P12ihipStream_tbENKUlT_T0_E_clISt17integral_constantIbLb0EESZ_IbLb1EEEEDaSV_SW_EUlSV_E_NS1_11comp_targetILNS1_3genE5ELNS1_11target_archE942ELNS1_3gpuE9ELNS1_3repE0EEENS1_30default_config_static_selectorELNS0_4arch9wavefront6targetE1EEEvT1_ ; -- Begin function _ZN7rocprim17ROCPRIM_400000_NS6detail17trampoline_kernelINS0_14default_configENS1_27scan_by_key_config_selectorIiiEEZZNS1_16scan_by_key_implILNS1_25lookback_scan_determinismE0ELb0ES3_N6thrust23THRUST_200600_302600_NS16reverse_iteratorIPKiEESD_NSA_IPiEEiN6hipcub16HIPCUB_304000_NS3MaxENSH_8EqualityEiEE10hipError_tPvRmT2_T3_T4_T5_mT6_T7_P12ihipStream_tbENKUlT_T0_E_clISt17integral_constantIbLb0EESZ_IbLb1EEEEDaSV_SW_EUlSV_E_NS1_11comp_targetILNS1_3genE5ELNS1_11target_archE942ELNS1_3gpuE9ELNS1_3repE0EEENS1_30default_config_static_selectorELNS0_4arch9wavefront6targetE1EEEvT1_
	.globl	_ZN7rocprim17ROCPRIM_400000_NS6detail17trampoline_kernelINS0_14default_configENS1_27scan_by_key_config_selectorIiiEEZZNS1_16scan_by_key_implILNS1_25lookback_scan_determinismE0ELb0ES3_N6thrust23THRUST_200600_302600_NS16reverse_iteratorIPKiEESD_NSA_IPiEEiN6hipcub16HIPCUB_304000_NS3MaxENSH_8EqualityEiEE10hipError_tPvRmT2_T3_T4_T5_mT6_T7_P12ihipStream_tbENKUlT_T0_E_clISt17integral_constantIbLb0EESZ_IbLb1EEEEDaSV_SW_EUlSV_E_NS1_11comp_targetILNS1_3genE5ELNS1_11target_archE942ELNS1_3gpuE9ELNS1_3repE0EEENS1_30default_config_static_selectorELNS0_4arch9wavefront6targetE1EEEvT1_
	.p2align	8
	.type	_ZN7rocprim17ROCPRIM_400000_NS6detail17trampoline_kernelINS0_14default_configENS1_27scan_by_key_config_selectorIiiEEZZNS1_16scan_by_key_implILNS1_25lookback_scan_determinismE0ELb0ES3_N6thrust23THRUST_200600_302600_NS16reverse_iteratorIPKiEESD_NSA_IPiEEiN6hipcub16HIPCUB_304000_NS3MaxENSH_8EqualityEiEE10hipError_tPvRmT2_T3_T4_T5_mT6_T7_P12ihipStream_tbENKUlT_T0_E_clISt17integral_constantIbLb0EESZ_IbLb1EEEEDaSV_SW_EUlSV_E_NS1_11comp_targetILNS1_3genE5ELNS1_11target_archE942ELNS1_3gpuE9ELNS1_3repE0EEENS1_30default_config_static_selectorELNS0_4arch9wavefront6targetE1EEEvT1_,@function
_ZN7rocprim17ROCPRIM_400000_NS6detail17trampoline_kernelINS0_14default_configENS1_27scan_by_key_config_selectorIiiEEZZNS1_16scan_by_key_implILNS1_25lookback_scan_determinismE0ELb0ES3_N6thrust23THRUST_200600_302600_NS16reverse_iteratorIPKiEESD_NSA_IPiEEiN6hipcub16HIPCUB_304000_NS3MaxENSH_8EqualityEiEE10hipError_tPvRmT2_T3_T4_T5_mT6_T7_P12ihipStream_tbENKUlT_T0_E_clISt17integral_constantIbLb0EESZ_IbLb1EEEEDaSV_SW_EUlSV_E_NS1_11comp_targetILNS1_3genE5ELNS1_11target_archE942ELNS1_3gpuE9ELNS1_3repE0EEENS1_30default_config_static_selectorELNS0_4arch9wavefront6targetE1EEEvT1_: ; @_ZN7rocprim17ROCPRIM_400000_NS6detail17trampoline_kernelINS0_14default_configENS1_27scan_by_key_config_selectorIiiEEZZNS1_16scan_by_key_implILNS1_25lookback_scan_determinismE0ELb0ES3_N6thrust23THRUST_200600_302600_NS16reverse_iteratorIPKiEESD_NSA_IPiEEiN6hipcub16HIPCUB_304000_NS3MaxENSH_8EqualityEiEE10hipError_tPvRmT2_T3_T4_T5_mT6_T7_P12ihipStream_tbENKUlT_T0_E_clISt17integral_constantIbLb0EESZ_IbLb1EEEEDaSV_SW_EUlSV_E_NS1_11comp_targetILNS1_3genE5ELNS1_11target_archE942ELNS1_3gpuE9ELNS1_3repE0EEENS1_30default_config_static_selectorELNS0_4arch9wavefront6targetE1EEEvT1_
; %bb.0:
	s_load_dwordx4 s[72:75], s[0:1], 0x28
	s_load_dwordx2 s[78:79], s[0:1], 0x38
	v_cmp_ne_u32_e64 s[4:5], 0, v0
	v_cmp_eq_u32_e64 s[54:55], 0, v0
	s_and_saveexec_b64 s[2:3], s[54:55]
	s_cbranch_execz .LBB85_4
; %bb.1:
	s_mov_b64 s[8:9], exec
	v_mbcnt_lo_u32_b32 v1, s8, 0
	v_mbcnt_hi_u32_b32 v1, s9, v1
	v_cmp_eq_u32_e32 vcc, 0, v1
                                        ; implicit-def: $vgpr2
	s_and_saveexec_b64 s[6:7], vcc
	s_cbranch_execz .LBB85_3
; %bb.2:
	s_load_dwordx2 s[10:11], s[0:1], 0x68
	s_bcnt1_i32_b64 s8, s[8:9]
	v_mov_b32_e32 v2, 0
	v_mov_b32_e32 v3, s8
	s_waitcnt lgkmcnt(0)
	global_atomic_add v2, v2, v3, s[10:11] sc0
.LBB85_3:
	s_or_b64 exec, exec, s[6:7]
	s_waitcnt vmcnt(0)
	v_readfirstlane_b32 s6, v2
	v_mov_b32_e32 v2, 0
	s_nop 0
	v_add_u32_e32 v1, s6, v1
	ds_write_b32 v2, v1
.LBB85_4:
	s_or_b64 exec, exec, s[2:3]
	s_load_dwordx8 s[56:63], s[0:1], 0x0
	s_load_dword s2, s[0:1], 0x40
	s_load_dwordx8 s[64:71], s[0:1], 0x48
	v_mov_b32_e32 v1, 0
	s_waitcnt lgkmcnt(0)
	s_sub_u32 s76, 0, s58
	s_subb_u32 s77, 0, s59
	s_lshl_b64 s[0:1], s[58:59], 2
	s_barrier
	ds_read_b32 v1, v1
	s_sub_u32 s3, s56, s0
	s_subb_u32 s6, s57, s1
	s_sub_u32 s7, s60, s0
	s_subb_u32 s8, s61, s1
	s_mul_i32 s0, s79, s2
	s_mul_hi_u32 s1, s78, s2
	s_add_i32 s9, s1, s0
	s_waitcnt lgkmcnt(0)
	v_readfirstlane_b32 s75, v1
	s_cmp_eq_u64 s[68:69], 0
	s_mul_i32 s0, s75, 0x1700
	s_cselect_b64 s[58:59], -1, 0
	s_mov_b32 s1, 0
	s_sub_u32 s56, 0, s0
	s_subb_u32 s57, 0, 0
	s_lshl_b64 s[0:1], s[0:1], 2
	s_sub_u32 s82, s3, s0
	s_subb_u32 s83, s6, s1
	s_sub_u32 s52, s7, s0
	s_mul_i32 s2, s78, s2
	s_subb_u32 s53, s8, s1
	s_add_u32 s60, s2, s75
	s_addc_u32 s61, s9, 0
	s_add_u32 s0, s64, -1
	s_addc_u32 s1, s65, -1
	v_mov_b64_e32 v[2:3], s[0:1]
	v_cmp_ge_u64_e64 s[2:3], s[60:61], v[2:3]
	s_mov_b64 s[10:11], 0
	s_mov_b64 s[6:7], -1
	s_and_b64 vcc, exec, s[2:3]
	s_mul_i32 s33, s0, 0xffffe900
	s_barrier
	s_barrier
	s_cbranch_vccz .LBB85_75
; %bb.5:
	v_mov_b32_e32 v1, s83
	v_add_co_u32_e64 v2, vcc, -4, s82
	s_add_i32 s84, s33, s74
	s_nop 0
	v_addc_co_u32_e32 v3, vcc, -1, v1, vcc
	flat_load_dword v1, v[2:3]
	s_add_u32 s68, s82, -4
	s_addc_u32 s69, s83, -1
	v_cmp_gt_u32_e32 vcc, s84, v0
	s_waitcnt vmcnt(0) lgkmcnt(0)
	v_mov_b32_e32 v4, v1
	s_and_saveexec_b64 s[6:7], vcc
	s_cbranch_execz .LBB85_7
; %bb.6:
	v_lshlrev_b32_e32 v2, 2, v0
	v_mov_b32_e32 v3, s69
	v_sub_co_u32_e64 v2, s[0:1], s68, v2
	s_nop 1
	v_subbrev_co_u32_e64 v3, s[0:1], 0, v3, s[0:1]
	flat_load_dword v4, v[2:3]
.LBB85_7:
	s_or_b64 exec, exec, s[6:7]
	v_or_b32_e32 v2, 0x100, v0
	v_cmp_gt_u32_e64 s[6:7], s84, v2
	v_lshlrev_b32_e32 v2, 2, v2
	v_mov_b32_e32 v5, v1
	s_and_saveexec_b64 s[8:9], s[6:7]
	s_cbranch_execz .LBB85_9
; %bb.8:
	v_mov_b32_e32 v3, s69
	v_sub_co_u32_e64 v6, s[0:1], s68, v2
	s_nop 1
	v_subbrev_co_u32_e64 v7, s[0:1], 0, v3, s[0:1]
	flat_load_dword v5, v[6:7]
.LBB85_9:
	s_or_b64 exec, exec, s[8:9]
	v_or_b32_e32 v3, 0x200, v0
	v_cmp_gt_u32_e64 s[8:9], s84, v3
	v_lshlrev_b32_e32 v3, 2, v3
	v_mov_b32_e32 v6, v1
	s_and_saveexec_b64 s[10:11], s[8:9]
	s_cbranch_execz .LBB85_11
; %bb.10:
	v_mov_b32_e32 v7, s69
	v_sub_co_u32_e64 v6, s[0:1], s68, v3
	s_nop 1
	v_subbrev_co_u32_e64 v7, s[0:1], 0, v7, s[0:1]
	flat_load_dword v6, v[6:7]
.LBB85_11:
	;; [unrolled: 14-line block ×21, first 2 shown]
	s_or_b64 exec, exec, s[50:51]
	v_or_b32_e32 v29, 0x1600, v0
	v_cmp_gt_u32_e64 s[50:51], s84, v29
	v_lshlrev_b32_e32 v30, 2, v29
	s_and_saveexec_b64 s[64:65], s[50:51]
	s_cbranch_execz .LBB85_51
; %bb.50:
	v_mov_b32_e32 v1, s69
	v_sub_co_u32_e64 v48, s[0:1], s68, v30
	s_nop 1
	v_subbrev_co_u32_e64 v49, s[0:1], 0, v1, s[0:1]
	flat_load_dword v1, v[48:49]
.LBB85_51:
	s_or_b64 exec, exec, s[64:65]
	s_lshl_b64 s[0:1], s[60:61], 2
	s_add_u32 s0, s70, s0
	s_addc_u32 s1, s71, s1
	s_add_u32 s64, s0, -4
	s_addc_u32 s65, s1, -1
	s_and_b64 s[0:1], s[58:59], exec
	s_cselect_b32 s0, s82, s64
	s_cselect_b32 s1, s83, s65
	s_cmp_eq_u64 s[60:61], 0
	v_lshlrev_b32_e32 v29, 2, v0
	s_cselect_b32 s1, s69, s1
	s_cselect_b32 s0, s68, s0
	s_waitcnt vmcnt(0) lgkmcnt(0)
	ds_write2st64_b32 v29, v4, v5 offset1:4
	ds_write2st64_b32 v29, v6, v7 offset0:8 offset1:12
	ds_write2st64_b32 v29, v8, v9 offset0:16 offset1:20
	;; [unrolled: 1-line block ×10, first 2 shown]
	ds_write_b32 v29, v1 offset:22528
	v_mov_b32_e32 v4, s0
	v_mov_b32_e32 v5, s1
	s_waitcnt lgkmcnt(0)
	s_barrier
	flat_load_dword v70, v[4:5]
	s_movk_i32 s0, 0x58
	v_mad_u32_u24 v1, v0, s0, v29
	s_movk_i32 s0, 0xffa8
	ds_read2_b32 v[68:69], v1 offset1:1
	ds_read2_b32 v[66:67], v1 offset0:2 offset1:3
	ds_read2_b32 v[64:65], v1 offset0:4 offset1:5
	;; [unrolled: 1-line block ×6, first 2 shown]
	ds_read_b32 v72, v1 offset:88
	ds_read2_b32 v[60:61], v1 offset0:8 offset1:9
	ds_read2_b32 v[58:59], v1 offset0:10 offset1:11
	;; [unrolled: 1-line block ×4, first 2 shown]
	v_mad_i32_i24 v31, v0, s0, v1
	s_waitcnt lgkmcnt(0)
	ds_write_b32 v31, v72 offset:23552
	s_waitcnt lgkmcnt(0)
	s_barrier
	s_and_saveexec_b64 s[0:1], s[4:5]
	s_cbranch_execz .LBB85_53
; %bb.52:
	v_mul_i32_i24_e32 v31, 0xffffffa8, v0
	v_add_u32_e32 v31, v1, v31
	s_waitcnt vmcnt(0)
	ds_read_b32 v70, v31 offset:23548
.LBB85_53:
	s_or_b64 exec, exec, s[0:1]
	s_add_u32 s64, s52, -4
	s_addc_u32 s65, s53, -1
	s_waitcnt lgkmcnt(0)
	s_barrier
	s_waitcnt lgkmcnt(0)
                                        ; implicit-def: $vgpr31
	s_and_saveexec_b64 s[0:1], vcc
	s_cbranch_execz .LBB85_76
; %bb.54:
	v_mov_b32_e32 v31, s65
	v_sub_co_u32_e32 v32, vcc, s64, v29
	s_nop 1
	v_subbrev_co_u32_e32 v33, vcc, 0, v31, vcc
	flat_load_dword v31, v[32:33]
	s_or_b64 exec, exec, s[0:1]
                                        ; implicit-def: $vgpr32
	s_and_saveexec_b64 s[0:1], s[6:7]
	s_cbranch_execnz .LBB85_77
.LBB85_55:
	s_or_b64 exec, exec, s[0:1]
                                        ; implicit-def: $vgpr2
	s_and_saveexec_b64 s[0:1], s[8:9]
	s_cbranch_execz .LBB85_78
.LBB85_56:
	v_mov_b32_e32 v33, s65
	v_sub_co_u32_e32 v2, vcc, s64, v3
	s_nop 1
	v_subbrev_co_u32_e32 v3, vcc, 0, v33, vcc
	flat_load_dword v2, v[2:3]
	s_or_b64 exec, exec, s[0:1]
                                        ; implicit-def: $vgpr3
	s_and_saveexec_b64 s[0:1], s[10:11]
	s_cbranch_execnz .LBB85_79
.LBB85_57:
	s_or_b64 exec, exec, s[0:1]
                                        ; implicit-def: $vgpr10
	s_and_saveexec_b64 s[0:1], s[12:13]
	s_cbranch_execz .LBB85_80
.LBB85_58:
	v_mov_b32_e32 v33, s65
	v_sub_co_u32_e32 v10, vcc, s64, v11
	s_nop 1
	v_subbrev_co_u32_e32 v11, vcc, 0, v33, vcc
	flat_load_dword v10, v[10:11]
	s_or_b64 exec, exec, s[0:1]
                                        ; implicit-def: $vgpr11
	s_and_saveexec_b64 s[0:1], s[14:15]
	s_cbranch_execnz .LBB85_81
.LBB85_59:
	s_or_b64 exec, exec, s[0:1]
                                        ; implicit-def: $vgpr12
	s_and_saveexec_b64 s[0:1], s[16:17]
	s_cbranch_execz .LBB85_82
.LBB85_60:
	v_mov_b32_e32 v33, s65
	v_sub_co_u32_e32 v12, vcc, s64, v13
	s_nop 1
	v_subbrev_co_u32_e32 v13, vcc, 0, v33, vcc
	flat_load_dword v12, v[12:13]
	s_or_b64 exec, exec, s[0:1]
                                        ; implicit-def: $vgpr13
	s_and_saveexec_b64 s[0:1], s[18:19]
	s_cbranch_execnz .LBB85_83
.LBB85_61:
	s_or_b64 exec, exec, s[0:1]
                                        ; implicit-def: $vgpr14
	s_and_saveexec_b64 s[0:1], s[20:21]
	s_cbranch_execz .LBB85_84
.LBB85_62:
	v_mov_b32_e32 v33, s65
	v_sub_co_u32_e32 v14, vcc, s64, v15
	s_nop 1
	v_subbrev_co_u32_e32 v15, vcc, 0, v33, vcc
	flat_load_dword v14, v[14:15]
	s_or_b64 exec, exec, s[0:1]
                                        ; implicit-def: $vgpr15
	s_and_saveexec_b64 s[0:1], s[22:23]
	s_cbranch_execnz .LBB85_85
.LBB85_63:
	s_or_b64 exec, exec, s[0:1]
                                        ; implicit-def: $vgpr16
	s_and_saveexec_b64 s[0:1], s[24:25]
	s_cbranch_execz .LBB85_86
.LBB85_64:
	v_mov_b32_e32 v33, s65
	v_sub_co_u32_e32 v16, vcc, s64, v17
	s_nop 1
	v_subbrev_co_u32_e32 v17, vcc, 0, v33, vcc
	flat_load_dword v16, v[16:17]
	s_or_b64 exec, exec, s[0:1]
                                        ; implicit-def: $vgpr17
	s_and_saveexec_b64 s[0:1], s[26:27]
	s_cbranch_execnz .LBB85_87
.LBB85_65:
	s_or_b64 exec, exec, s[0:1]
                                        ; implicit-def: $vgpr18
	s_and_saveexec_b64 s[0:1], s[28:29]
	s_cbranch_execz .LBB85_88
.LBB85_66:
	v_mov_b32_e32 v33, s65
	v_sub_co_u32_e32 v18, vcc, s64, v19
	s_nop 1
	v_subbrev_co_u32_e32 v19, vcc, 0, v33, vcc
	flat_load_dword v18, v[18:19]
	s_or_b64 exec, exec, s[0:1]
                                        ; implicit-def: $vgpr19
	s_and_saveexec_b64 s[0:1], s[30:31]
	s_cbranch_execnz .LBB85_89
.LBB85_67:
	s_or_b64 exec, exec, s[0:1]
                                        ; implicit-def: $vgpr20
	s_and_saveexec_b64 s[0:1], s[34:35]
	s_cbranch_execz .LBB85_90
.LBB85_68:
	v_mov_b32_e32 v33, s65
	v_sub_co_u32_e32 v20, vcc, s64, v21
	s_nop 1
	v_subbrev_co_u32_e32 v21, vcc, 0, v33, vcc
	flat_load_dword v20, v[20:21]
	s_or_b64 exec, exec, s[0:1]
                                        ; implicit-def: $vgpr21
	s_and_saveexec_b64 s[0:1], s[36:37]
	s_cbranch_execnz .LBB85_91
.LBB85_69:
	s_or_b64 exec, exec, s[0:1]
                                        ; implicit-def: $vgpr22
	s_and_saveexec_b64 s[0:1], s[38:39]
	s_cbranch_execz .LBB85_92
.LBB85_70:
	v_mov_b32_e32 v33, s65
	v_sub_co_u32_e32 v22, vcc, s64, v23
	s_nop 1
	v_subbrev_co_u32_e32 v23, vcc, 0, v33, vcc
	flat_load_dword v22, v[22:23]
	s_or_b64 exec, exec, s[0:1]
                                        ; implicit-def: $vgpr23
	s_and_saveexec_b64 s[0:1], s[40:41]
	s_cbranch_execnz .LBB85_93
.LBB85_71:
	s_or_b64 exec, exec, s[0:1]
                                        ; implicit-def: $vgpr24
	s_and_saveexec_b64 s[0:1], s[42:43]
	s_cbranch_execz .LBB85_94
.LBB85_72:
	v_mov_b32_e32 v33, s65
	v_sub_co_u32_e32 v24, vcc, s64, v25
	s_nop 1
	v_subbrev_co_u32_e32 v25, vcc, 0, v33, vcc
	flat_load_dword v24, v[24:25]
	s_or_b64 exec, exec, s[0:1]
                                        ; implicit-def: $vgpr25
	s_and_saveexec_b64 s[0:1], s[44:45]
	s_cbranch_execnz .LBB85_95
.LBB85_73:
	s_or_b64 exec, exec, s[0:1]
                                        ; implicit-def: $vgpr26
	s_and_saveexec_b64 s[0:1], s[46:47]
	s_cbranch_execz .LBB85_96
.LBB85_74:
	v_mov_b32_e32 v33, s65
	v_sub_co_u32_e32 v26, vcc, s64, v27
	s_nop 1
	v_subbrev_co_u32_e32 v27, vcc, 0, v33, vcc
	flat_load_dword v26, v[26:27]
	s_or_b64 exec, exec, s[0:1]
                                        ; implicit-def: $vgpr27
	s_and_saveexec_b64 s[0:1], s[48:49]
	s_cbranch_execz .LBB85_98
	s_branch .LBB85_97
.LBB85_75:
                                        ; implicit-def: $sgpr0_sgpr1
                                        ; implicit-def: $vgpr3
                                        ; implicit-def: $vgpr10_vgpr11
                                        ; implicit-def: $vgpr12_vgpr13
                                        ; implicit-def: $vgpr14_vgpr15
                                        ; implicit-def: $vgpr16_vgpr17
                                        ; implicit-def: $vgpr18_vgpr19
                                        ; implicit-def: $vgpr20_vgpr21
                                        ; implicit-def: $vgpr22_vgpr23
                                        ; implicit-def: $vgpr24_vgpr25
                                        ; implicit-def: $vgpr26_vgpr27
                                        ; implicit-def: $vgpr28_vgpr29
                                        ; implicit-def: $vgpr30_vgpr31
                                        ; implicit-def: $vgpr32_vgpr33
                                        ; implicit-def: $vgpr34_vgpr35
                                        ; implicit-def: $vgpr36_vgpr37
                                        ; implicit-def: $vgpr38_vgpr39
                                        ; implicit-def: $vgpr40_vgpr41
                                        ; implicit-def: $vgpr42_vgpr43
                                        ; implicit-def: $vgpr44_vgpr45
                                        ; implicit-def: $vgpr46_vgpr47
                                        ; implicit-def: $vgpr48_vgpr49
                                        ; implicit-def: $vgpr50_vgpr51
                                        ; implicit-def: $vgpr52_vgpr53
                                        ; implicit-def: $sgpr8_sgpr9
	s_and_b64 vcc, exec, s[6:7]
	v_lshlrev_b32_e32 v1, 2, v0
	s_cbranch_vccz .LBB85_148
	s_branch .LBB85_145
.LBB85_76:
	s_or_b64 exec, exec, s[0:1]
                                        ; implicit-def: $vgpr32
	s_and_saveexec_b64 s[0:1], s[6:7]
	s_cbranch_execz .LBB85_55
.LBB85_77:
	v_mov_b32_e32 v33, s65
	v_sub_co_u32_e32 v32, vcc, s64, v2
	s_nop 1
	v_subbrev_co_u32_e32 v33, vcc, 0, v33, vcc
	flat_load_dword v32, v[32:33]
	s_or_b64 exec, exec, s[0:1]
                                        ; implicit-def: $vgpr2
	s_and_saveexec_b64 s[0:1], s[8:9]
	s_cbranch_execnz .LBB85_56
.LBB85_78:
	s_or_b64 exec, exec, s[0:1]
                                        ; implicit-def: $vgpr3
	s_and_saveexec_b64 s[0:1], s[10:11]
	s_cbranch_execz .LBB85_57
.LBB85_79:
	v_mov_b32_e32 v3, s65
	v_sub_co_u32_e32 v34, vcc, s64, v10
	s_nop 1
	v_subbrev_co_u32_e32 v35, vcc, 0, v3, vcc
	flat_load_dword v3, v[34:35]
	s_or_b64 exec, exec, s[0:1]
                                        ; implicit-def: $vgpr10
	s_and_saveexec_b64 s[0:1], s[12:13]
	s_cbranch_execnz .LBB85_58
.LBB85_80:
	s_or_b64 exec, exec, s[0:1]
                                        ; implicit-def: $vgpr11
	s_and_saveexec_b64 s[0:1], s[14:15]
	s_cbranch_execz .LBB85_59
.LBB85_81:
	v_mov_b32_e32 v11, s65
	v_sub_co_u32_e32 v34, vcc, s64, v12
	s_nop 1
	v_subbrev_co_u32_e32 v35, vcc, 0, v11, vcc
	flat_load_dword v11, v[34:35]
	s_or_b64 exec, exec, s[0:1]
                                        ; implicit-def: $vgpr12
	s_and_saveexec_b64 s[0:1], s[16:17]
	s_cbranch_execnz .LBB85_60
.LBB85_82:
	s_or_b64 exec, exec, s[0:1]
                                        ; implicit-def: $vgpr13
	s_and_saveexec_b64 s[0:1], s[18:19]
	s_cbranch_execz .LBB85_61
.LBB85_83:
	v_mov_b32_e32 v13, s65
	v_sub_co_u32_e32 v34, vcc, s64, v14
	s_nop 1
	v_subbrev_co_u32_e32 v35, vcc, 0, v13, vcc
	flat_load_dword v13, v[34:35]
	s_or_b64 exec, exec, s[0:1]
                                        ; implicit-def: $vgpr14
	s_and_saveexec_b64 s[0:1], s[20:21]
	s_cbranch_execnz .LBB85_62
.LBB85_84:
	s_or_b64 exec, exec, s[0:1]
                                        ; implicit-def: $vgpr15
	s_and_saveexec_b64 s[0:1], s[22:23]
	s_cbranch_execz .LBB85_63
.LBB85_85:
	v_mov_b32_e32 v15, s65
	v_sub_co_u32_e32 v34, vcc, s64, v16
	s_nop 1
	v_subbrev_co_u32_e32 v35, vcc, 0, v15, vcc
	flat_load_dword v15, v[34:35]
	s_or_b64 exec, exec, s[0:1]
                                        ; implicit-def: $vgpr16
	s_and_saveexec_b64 s[0:1], s[24:25]
	s_cbranch_execnz .LBB85_64
.LBB85_86:
	s_or_b64 exec, exec, s[0:1]
                                        ; implicit-def: $vgpr17
	s_and_saveexec_b64 s[0:1], s[26:27]
	s_cbranch_execz .LBB85_65
.LBB85_87:
	v_mov_b32_e32 v17, s65
	v_sub_co_u32_e32 v34, vcc, s64, v18
	s_nop 1
	v_subbrev_co_u32_e32 v35, vcc, 0, v17, vcc
	flat_load_dword v17, v[34:35]
	s_or_b64 exec, exec, s[0:1]
                                        ; implicit-def: $vgpr18
	s_and_saveexec_b64 s[0:1], s[28:29]
	s_cbranch_execnz .LBB85_66
.LBB85_88:
	s_or_b64 exec, exec, s[0:1]
                                        ; implicit-def: $vgpr19
	s_and_saveexec_b64 s[0:1], s[30:31]
	s_cbranch_execz .LBB85_67
.LBB85_89:
	v_mov_b32_e32 v19, s65
	v_sub_co_u32_e32 v34, vcc, s64, v20
	s_nop 1
	v_subbrev_co_u32_e32 v35, vcc, 0, v19, vcc
	flat_load_dword v19, v[34:35]
	s_or_b64 exec, exec, s[0:1]
                                        ; implicit-def: $vgpr20
	s_and_saveexec_b64 s[0:1], s[34:35]
	s_cbranch_execnz .LBB85_68
.LBB85_90:
	s_or_b64 exec, exec, s[0:1]
                                        ; implicit-def: $vgpr21
	s_and_saveexec_b64 s[0:1], s[36:37]
	s_cbranch_execz .LBB85_69
.LBB85_91:
	v_mov_b32_e32 v21, s65
	v_sub_co_u32_e32 v34, vcc, s64, v22
	s_nop 1
	v_subbrev_co_u32_e32 v35, vcc, 0, v21, vcc
	flat_load_dword v21, v[34:35]
	s_or_b64 exec, exec, s[0:1]
                                        ; implicit-def: $vgpr22
	s_and_saveexec_b64 s[0:1], s[38:39]
	s_cbranch_execnz .LBB85_70
.LBB85_92:
	s_or_b64 exec, exec, s[0:1]
                                        ; implicit-def: $vgpr23
	s_and_saveexec_b64 s[0:1], s[40:41]
	s_cbranch_execz .LBB85_71
.LBB85_93:
	v_mov_b32_e32 v23, s65
	v_sub_co_u32_e32 v34, vcc, s64, v24
	s_nop 1
	v_subbrev_co_u32_e32 v35, vcc, 0, v23, vcc
	flat_load_dword v23, v[34:35]
	s_or_b64 exec, exec, s[0:1]
                                        ; implicit-def: $vgpr24
	s_and_saveexec_b64 s[0:1], s[42:43]
	s_cbranch_execnz .LBB85_72
.LBB85_94:
	s_or_b64 exec, exec, s[0:1]
                                        ; implicit-def: $vgpr25
	s_and_saveexec_b64 s[0:1], s[44:45]
	s_cbranch_execz .LBB85_73
.LBB85_95:
	v_mov_b32_e32 v25, s65
	v_sub_co_u32_e32 v34, vcc, s64, v26
	s_nop 1
	v_subbrev_co_u32_e32 v35, vcc, 0, v25, vcc
	flat_load_dword v25, v[34:35]
	s_or_b64 exec, exec, s[0:1]
                                        ; implicit-def: $vgpr26
	s_and_saveexec_b64 s[0:1], s[46:47]
	s_cbranch_execnz .LBB85_74
.LBB85_96:
	s_or_b64 exec, exec, s[0:1]
                                        ; implicit-def: $vgpr27
	s_and_saveexec_b64 s[0:1], s[48:49]
	s_cbranch_execz .LBB85_98
.LBB85_97:
	v_mov_b32_e32 v27, s65
	v_sub_co_u32_e32 v34, vcc, s64, v28
	s_nop 1
	v_subbrev_co_u32_e32 v35, vcc, 0, v27, vcc
	flat_load_dword v27, v[34:35]
.LBB85_98:
	s_or_b64 exec, exec, s[0:1]
	v_mul_u32_u24_e32 v73, 23, v0
                                        ; implicit-def: $vgpr28
	s_and_saveexec_b64 s[0:1], s[50:51]
	s_cbranch_execz .LBB85_100
; %bb.99:
	v_mov_b32_e32 v28, s65
	v_sub_co_u32_e32 v34, vcc, s64, v30
	s_nop 1
	v_subbrev_co_u32_e32 v35, vcc, 0, v28, vcc
	flat_load_dword v28, v[34:35]
.LBB85_100:
	s_or_b64 exec, exec, s[0:1]
	s_waitcnt vmcnt(0) lgkmcnt(0)
	ds_write2st64_b32 v29, v31, v32 offset1:4
	ds_write2st64_b32 v29, v2, v3 offset0:8 offset1:12
	ds_write2st64_b32 v29, v10, v11 offset0:16 offset1:20
	;; [unrolled: 1-line block ×10, first 2 shown]
	ds_write_b32 v29, v28 offset:22528
	v_mov_b64_e32 v[10:11], 0
	v_cmp_gt_u32_e32 vcc, s84, v73
	s_mov_b64 s[10:11], 0
	s_mov_b64 s[6:7], 0
	v_mov_b64_e32 v[12:13], v[10:11]
	v_mov_b64_e32 v[14:15], v[10:11]
	;; [unrolled: 1-line block ×21, first 2 shown]
	s_waitcnt lgkmcnt(0)
	s_barrier
	s_waitcnt lgkmcnt(0)
                                        ; implicit-def: $sgpr0_sgpr1
                                        ; implicit-def: $vgpr3
	s_and_saveexec_b64 s[8:9], vcc
	s_cbranch_execz .LBB85_144
; %bb.101:
	ds_read_b32 v10, v1
	v_add_u32_e32 v2, 1, v73
	v_cmp_ne_u32_e32 vcc, v70, v68
	v_mov_b64_e32 v[12:13], 0
	s_mov_b64 s[12:13], 0
	v_cndmask_b32_e64 v11, 0, 1, vcc
	v_cmp_gt_u32_e32 vcc, s84, v2
	s_mov_b64 s[0:1], 0
	v_mov_b64_e32 v[14:15], v[12:13]
	v_mov_b64_e32 v[16:17], v[12:13]
	;; [unrolled: 1-line block ×20, first 2 shown]
                                        ; implicit-def: $sgpr14_sgpr15
                                        ; implicit-def: $vgpr3
	s_and_saveexec_b64 s[10:11], vcc
	s_cbranch_execz .LBB85_143
; %bb.102:
	ds_read2_b32 v[70:71], v1 offset0:1 offset1:2
	v_add_u32_e32 v2, 2, v73
	v_cmp_ne_u32_e32 vcc, v68, v69
	v_mov_b64_e32 v[14:15], 0
	s_mov_b64 s[16:17], 0
	v_cndmask_b32_e64 v13, 0, 1, vcc
	v_cmp_gt_u32_e32 vcc, s84, v2
	s_waitcnt lgkmcnt(0)
	v_mov_b32_e32 v12, v70
	v_mov_b64_e32 v[16:17], v[14:15]
	v_mov_b64_e32 v[18:19], v[14:15]
	;; [unrolled: 1-line block ×19, first 2 shown]
                                        ; implicit-def: $sgpr14_sgpr15
                                        ; implicit-def: $vgpr3
	s_and_saveexec_b64 s[12:13], vcc
	s_cbranch_execz .LBB85_142
; %bb.103:
	v_add_u32_e32 v2, 3, v73
	v_cmp_ne_u32_e32 vcc, v69, v66
	v_mov_b64_e32 v[16:17], 0
	v_mov_b32_e32 v14, v71
	v_cndmask_b32_e64 v15, 0, 1, vcc
	v_cmp_gt_u32_e32 vcc, s84, v2
	v_mov_b64_e32 v[18:19], v[16:17]
	v_mov_b64_e32 v[20:21], v[16:17]
	;; [unrolled: 1-line block ×18, first 2 shown]
                                        ; implicit-def: $sgpr18_sgpr19
                                        ; implicit-def: $vgpr3
	s_and_saveexec_b64 s[14:15], vcc
	s_cbranch_execz .LBB85_141
; %bb.104:
	ds_read2_b32 v[68:69], v1 offset0:3 offset1:4
	v_add_u32_e32 v2, 4, v73
	v_cmp_ne_u32_e32 vcc, v66, v67
	v_mov_b64_e32 v[18:19], 0
	s_mov_b64 s[20:21], 0
	v_cndmask_b32_e64 v17, 0, 1, vcc
	v_cmp_gt_u32_e32 vcc, s84, v2
	s_waitcnt lgkmcnt(0)
	v_mov_b32_e32 v16, v68
	v_mov_b64_e32 v[20:21], v[18:19]
	v_mov_b64_e32 v[22:23], v[18:19]
	;; [unrolled: 1-line block ×17, first 2 shown]
                                        ; implicit-def: $sgpr18_sgpr19
                                        ; implicit-def: $vgpr3
	s_and_saveexec_b64 s[16:17], vcc
	s_cbranch_execz .LBB85_140
; %bb.105:
	v_add_u32_e32 v2, 5, v73
	v_cmp_ne_u32_e32 vcc, v67, v64
	v_mov_b64_e32 v[20:21], 0
	v_mov_b32_e32 v18, v69
	v_cndmask_b32_e64 v19, 0, 1, vcc
	v_cmp_gt_u32_e32 vcc, s84, v2
	v_mov_b64_e32 v[22:23], v[20:21]
	v_mov_b64_e32 v[24:25], v[20:21]
	;; [unrolled: 1-line block ×16, first 2 shown]
                                        ; implicit-def: $sgpr22_sgpr23
                                        ; implicit-def: $vgpr3
	s_and_saveexec_b64 s[18:19], vcc
	s_cbranch_execz .LBB85_139
; %bb.106:
	ds_read2_b32 v[66:67], v1 offset0:5 offset1:6
	v_add_u32_e32 v2, 6, v73
	v_cmp_ne_u32_e32 vcc, v64, v65
	v_mov_b64_e32 v[22:23], 0
	s_mov_b64 s[24:25], 0
	v_cndmask_b32_e64 v21, 0, 1, vcc
	v_cmp_gt_u32_e32 vcc, s84, v2
	s_waitcnt lgkmcnt(0)
	v_mov_b32_e32 v20, v66
	v_mov_b64_e32 v[24:25], v[22:23]
	v_mov_b64_e32 v[26:27], v[22:23]
	;; [unrolled: 1-line block ×15, first 2 shown]
                                        ; implicit-def: $sgpr22_sgpr23
                                        ; implicit-def: $vgpr3
	s_and_saveexec_b64 s[20:21], vcc
	s_cbranch_execz .LBB85_138
; %bb.107:
	v_add_u32_e32 v2, 7, v73
	v_cmp_ne_u32_e32 vcc, v65, v62
	v_mov_b64_e32 v[24:25], 0
	v_mov_b32_e32 v22, v67
	v_cndmask_b32_e64 v23, 0, 1, vcc
	v_cmp_gt_u32_e32 vcc, s84, v2
	v_mov_b64_e32 v[26:27], v[24:25]
	v_mov_b64_e32 v[28:29], v[24:25]
	;; [unrolled: 1-line block ×14, first 2 shown]
                                        ; implicit-def: $sgpr26_sgpr27
                                        ; implicit-def: $vgpr3
	s_and_saveexec_b64 s[22:23], vcc
	s_cbranch_execz .LBB85_137
; %bb.108:
	ds_read2_b32 v[64:65], v1 offset0:7 offset1:8
	v_add_u32_e32 v2, 8, v73
	v_cmp_ne_u32_e32 vcc, v62, v63
	v_mov_b64_e32 v[26:27], 0
	s_mov_b64 s[28:29], 0
	v_cndmask_b32_e64 v25, 0, 1, vcc
	v_cmp_gt_u32_e32 vcc, s84, v2
	s_waitcnt lgkmcnt(0)
	v_mov_b32_e32 v24, v64
	v_mov_b64_e32 v[28:29], v[26:27]
	v_mov_b64_e32 v[30:31], v[26:27]
	;; [unrolled: 1-line block ×13, first 2 shown]
                                        ; implicit-def: $sgpr26_sgpr27
                                        ; implicit-def: $vgpr3
	s_and_saveexec_b64 s[24:25], vcc
	s_cbranch_execz .LBB85_136
; %bb.109:
	v_add_u32_e32 v2, 9, v73
	v_cmp_ne_u32_e32 vcc, v63, v60
	v_mov_b64_e32 v[28:29], 0
	v_mov_b32_e32 v26, v65
	v_cndmask_b32_e64 v27, 0, 1, vcc
	v_cmp_gt_u32_e32 vcc, s84, v2
	v_mov_b64_e32 v[30:31], v[28:29]
	v_mov_b64_e32 v[32:33], v[28:29]
	;; [unrolled: 1-line block ×12, first 2 shown]
                                        ; implicit-def: $sgpr30_sgpr31
                                        ; implicit-def: $vgpr3
	s_and_saveexec_b64 s[26:27], vcc
	s_cbranch_execz .LBB85_135
; %bb.110:
	ds_read2_b32 v[62:63], v1 offset0:9 offset1:10
	v_add_u32_e32 v2, 10, v73
	v_cmp_ne_u32_e32 vcc, v60, v61
	v_mov_b64_e32 v[30:31], 0
	s_mov_b64 s[34:35], 0
	v_cndmask_b32_e64 v29, 0, 1, vcc
	v_cmp_gt_u32_e32 vcc, s84, v2
	s_waitcnt lgkmcnt(0)
	v_mov_b32_e32 v28, v62
	v_mov_b64_e32 v[32:33], v[30:31]
	v_mov_b64_e32 v[34:35], v[30:31]
	;; [unrolled: 1-line block ×11, first 2 shown]
                                        ; implicit-def: $sgpr30_sgpr31
                                        ; implicit-def: $vgpr3
	s_and_saveexec_b64 s[28:29], vcc
	s_cbranch_execz .LBB85_134
; %bb.111:
	v_add_u32_e32 v2, 11, v73
	v_cmp_ne_u32_e32 vcc, v61, v58
	v_mov_b64_e32 v[32:33], 0
	v_mov_b32_e32 v30, v63
	v_cndmask_b32_e64 v31, 0, 1, vcc
	v_cmp_gt_u32_e32 vcc, s84, v2
	v_mov_b64_e32 v[34:35], v[32:33]
	v_mov_b64_e32 v[36:37], v[32:33]
	;; [unrolled: 1-line block ×10, first 2 shown]
                                        ; implicit-def: $sgpr36_sgpr37
                                        ; implicit-def: $vgpr3
	s_and_saveexec_b64 s[30:31], vcc
	s_cbranch_execz .LBB85_133
; %bb.112:
	ds_read2_b32 v[60:61], v1 offset0:11 offset1:12
	v_add_u32_e32 v2, 12, v73
	v_cmp_ne_u32_e32 vcc, v58, v59
	v_mov_b64_e32 v[34:35], 0
	s_mov_b64 s[38:39], 0
	v_cndmask_b32_e64 v33, 0, 1, vcc
	v_cmp_gt_u32_e32 vcc, s84, v2
	s_waitcnt lgkmcnt(0)
	v_mov_b32_e32 v32, v60
	v_mov_b64_e32 v[36:37], v[34:35]
	v_mov_b64_e32 v[38:39], v[34:35]
	;; [unrolled: 1-line block ×9, first 2 shown]
                                        ; implicit-def: $sgpr36_sgpr37
                                        ; implicit-def: $vgpr3
	s_and_saveexec_b64 s[34:35], vcc
	s_cbranch_execz .LBB85_132
; %bb.113:
	v_add_u32_e32 v2, 13, v73
	v_cmp_ne_u32_e32 vcc, v59, v56
	v_mov_b64_e32 v[36:37], 0
	v_mov_b32_e32 v34, v61
	v_cndmask_b32_e64 v35, 0, 1, vcc
	v_cmp_gt_u32_e32 vcc, s84, v2
	v_mov_b64_e32 v[38:39], v[36:37]
	v_mov_b64_e32 v[40:41], v[36:37]
	;; [unrolled: 1-line block ×8, first 2 shown]
                                        ; implicit-def: $sgpr40_sgpr41
                                        ; implicit-def: $vgpr3
	s_and_saveexec_b64 s[36:37], vcc
	s_cbranch_execz .LBB85_131
; %bb.114:
	ds_read2_b32 v[58:59], v1 offset0:13 offset1:14
	v_add_u32_e32 v2, 14, v73
	v_cmp_ne_u32_e32 vcc, v56, v57
	v_mov_b64_e32 v[38:39], 0
	s_mov_b64 s[42:43], 0
	v_cndmask_b32_e64 v37, 0, 1, vcc
	v_cmp_gt_u32_e32 vcc, s84, v2
	s_waitcnt lgkmcnt(0)
	v_mov_b32_e32 v36, v58
	v_mov_b64_e32 v[40:41], v[38:39]
	v_mov_b64_e32 v[42:43], v[38:39]
	;; [unrolled: 1-line block ×7, first 2 shown]
                                        ; implicit-def: $sgpr40_sgpr41
                                        ; implicit-def: $vgpr3
	s_and_saveexec_b64 s[38:39], vcc
	s_cbranch_execz .LBB85_130
; %bb.115:
	v_add_u32_e32 v2, 15, v73
	v_cmp_ne_u32_e32 vcc, v57, v54
	v_mov_b64_e32 v[40:41], 0
	v_mov_b32_e32 v38, v59
	v_cndmask_b32_e64 v39, 0, 1, vcc
	v_cmp_gt_u32_e32 vcc, s84, v2
	v_mov_b64_e32 v[42:43], v[40:41]
	v_mov_b64_e32 v[44:45], v[40:41]
	;; [unrolled: 1-line block ×6, first 2 shown]
                                        ; implicit-def: $sgpr44_sgpr45
                                        ; implicit-def: $vgpr3
	s_and_saveexec_b64 s[40:41], vcc
	s_cbranch_execz .LBB85_129
; %bb.116:
	ds_read2_b32 v[56:57], v1 offset0:15 offset1:16
	v_add_u32_e32 v2, 16, v73
	v_cmp_ne_u32_e32 vcc, v54, v55
	v_mov_b64_e32 v[42:43], 0
	s_mov_b64 s[46:47], 0
	v_cndmask_b32_e64 v41, 0, 1, vcc
	v_cmp_gt_u32_e32 vcc, s84, v2
	s_waitcnt lgkmcnt(0)
	v_mov_b32_e32 v40, v56
	v_mov_b64_e32 v[44:45], v[42:43]
	v_mov_b64_e32 v[46:47], v[42:43]
	;; [unrolled: 1-line block ×5, first 2 shown]
                                        ; implicit-def: $sgpr44_sgpr45
                                        ; implicit-def: $vgpr3
	s_and_saveexec_b64 s[42:43], vcc
	s_cbranch_execz .LBB85_128
; %bb.117:
	v_add_u32_e32 v2, 17, v73
	v_cmp_ne_u32_e32 vcc, v55, v8
	v_mov_b64_e32 v[44:45], 0
	v_mov_b32_e32 v42, v57
	v_cndmask_b32_e64 v43, 0, 1, vcc
	v_cmp_gt_u32_e32 vcc, s84, v2
	v_mov_b64_e32 v[46:47], v[44:45]
	v_mov_b64_e32 v[48:49], v[44:45]
	;; [unrolled: 1-line block ×4, first 2 shown]
                                        ; implicit-def: $sgpr48_sgpr49
                                        ; implicit-def: $vgpr3
	s_and_saveexec_b64 s[44:45], vcc
	s_cbranch_execz .LBB85_127
; %bb.118:
	ds_read2_b32 v[54:55], v1 offset0:17 offset1:18
	v_add_u32_e32 v2, 18, v73
	v_cmp_ne_u32_e32 vcc, v8, v9
	v_mov_b64_e32 v[46:47], 0
	s_mov_b64 s[50:51], 0
	v_cndmask_b32_e64 v45, 0, 1, vcc
	v_cmp_gt_u32_e32 vcc, s84, v2
	s_waitcnt lgkmcnt(0)
	v_mov_b32_e32 v44, v54
	v_mov_b64_e32 v[48:49], v[46:47]
	v_mov_b64_e32 v[50:51], v[46:47]
	v_mov_b64_e32 v[52:53], v[46:47]
                                        ; implicit-def: $sgpr48_sgpr49
                                        ; implicit-def: $vgpr3
	s_and_saveexec_b64 s[46:47], vcc
	s_cbranch_execz .LBB85_126
; %bb.119:
	v_add_u32_e32 v2, 19, v73
	v_cmp_ne_u32_e32 vcc, v9, v6
	v_mov_b64_e32 v[48:49], 0
	v_mov_b32_e32 v46, v55
	v_cndmask_b32_e64 v47, 0, 1, vcc
	v_cmp_gt_u32_e32 vcc, s84, v2
	v_mov_b64_e32 v[50:51], v[48:49]
	v_mov_b64_e32 v[52:53], v[48:49]
                                        ; implicit-def: $sgpr64_sgpr65
                                        ; implicit-def: $vgpr3
	s_and_saveexec_b64 s[48:49], vcc
	s_cbranch_execz .LBB85_125
; %bb.120:
	ds_read2_b32 v[8:9], v1 offset0:19 offset1:20
	v_add_u32_e32 v2, 20, v73
	v_cmp_ne_u32_e32 vcc, v6, v7
	v_mov_b64_e32 v[50:51], 0
	s_mov_b64 s[64:65], 0
	v_cndmask_b32_e64 v49, 0, 1, vcc
	v_cmp_gt_u32_e32 vcc, s84, v2
	s_waitcnt lgkmcnt(0)
	v_mov_b32_e32 v48, v8
	v_mov_b64_e32 v[52:53], v[50:51]
                                        ; implicit-def: $sgpr68_sgpr69
                                        ; implicit-def: $vgpr3
	s_and_saveexec_b64 s[50:51], vcc
	s_cbranch_execz .LBB85_124
; %bb.121:
	v_add_u32_e32 v2, 21, v73
	v_cmp_ne_u32_e32 vcc, v7, v4
	v_mov_b32_e32 v50, v9
	v_mov_b64_e32 v[52:53], 0
	v_cndmask_b32_e64 v51, 0, 1, vcc
	v_cmp_gt_u32_e32 vcc, s84, v2
                                        ; implicit-def: $sgpr68_sgpr69
                                        ; implicit-def: $vgpr3
	s_and_saveexec_b64 s[0:1], vcc
	s_xor_b64 s[80:81], exec, s[0:1]
	s_cbranch_execz .LBB85_123
; %bb.122:
	ds_read2_b32 v[2:3], v1 offset0:21 offset1:22
	v_add_u32_e32 v1, 22, v73
	v_cmp_ne_u32_e64 s[0:1], v4, v5
	v_cmp_ne_u32_e32 vcc, v5, v72
	s_and_b64 s[68:69], vcc, exec
	v_cndmask_b32_e64 v53, 0, 1, s[0:1]
	v_cmp_gt_u32_e64 s[0:1], s84, v1
	s_waitcnt lgkmcnt(0)
	v_mov_b32_e32 v52, v2
	s_and_b64 s[64:65], s[0:1], exec
.LBB85_123:
	s_or_b64 exec, exec, s[80:81]
	s_and_b64 s[68:69], s[68:69], exec
	s_and_b64 s[0:1], s[64:65], exec
.LBB85_124:
	s_or_b64 exec, exec, s[50:51]
	s_and_b64 s[64:65], s[68:69], exec
	s_and_b64 s[50:51], s[0:1], exec
.LBB85_125:
	s_or_b64 exec, exec, s[48:49]
	s_and_b64 s[48:49], s[64:65], exec
	s_and_b64 s[0:1], s[50:51], exec
.LBB85_126:
	s_or_b64 exec, exec, s[46:47]
	s_and_b64 s[48:49], s[48:49], exec
	s_and_b64 s[46:47], s[0:1], exec
.LBB85_127:
	s_or_b64 exec, exec, s[44:45]
	s_and_b64 s[44:45], s[48:49], exec
	s_and_b64 s[0:1], s[46:47], exec
.LBB85_128:
	s_or_b64 exec, exec, s[42:43]
	s_and_b64 s[44:45], s[44:45], exec
	s_and_b64 s[42:43], s[0:1], exec
.LBB85_129:
	s_or_b64 exec, exec, s[40:41]
	s_and_b64 s[40:41], s[44:45], exec
	s_and_b64 s[0:1], s[42:43], exec
.LBB85_130:
	s_or_b64 exec, exec, s[38:39]
	s_and_b64 s[40:41], s[40:41], exec
	s_and_b64 s[38:39], s[0:1], exec
.LBB85_131:
	s_or_b64 exec, exec, s[36:37]
	s_and_b64 s[36:37], s[40:41], exec
	s_and_b64 s[0:1], s[38:39], exec
.LBB85_132:
	s_or_b64 exec, exec, s[34:35]
	s_and_b64 s[36:37], s[36:37], exec
	s_and_b64 s[34:35], s[0:1], exec
.LBB85_133:
	s_or_b64 exec, exec, s[30:31]
	s_and_b64 s[30:31], s[36:37], exec
	s_and_b64 s[0:1], s[34:35], exec
.LBB85_134:
	s_or_b64 exec, exec, s[28:29]
	s_and_b64 s[30:31], s[30:31], exec
	s_and_b64 s[28:29], s[0:1], exec
.LBB85_135:
	s_or_b64 exec, exec, s[26:27]
	s_and_b64 s[26:27], s[30:31], exec
	s_and_b64 s[0:1], s[28:29], exec
.LBB85_136:
	s_or_b64 exec, exec, s[24:25]
	s_and_b64 s[26:27], s[26:27], exec
	s_and_b64 s[24:25], s[0:1], exec
.LBB85_137:
	s_or_b64 exec, exec, s[22:23]
	s_and_b64 s[22:23], s[26:27], exec
	s_and_b64 s[0:1], s[24:25], exec
.LBB85_138:
	s_or_b64 exec, exec, s[20:21]
	s_and_b64 s[22:23], s[22:23], exec
	s_and_b64 s[20:21], s[0:1], exec
.LBB85_139:
	s_or_b64 exec, exec, s[18:19]
	s_and_b64 s[18:19], s[22:23], exec
	s_and_b64 s[0:1], s[20:21], exec
.LBB85_140:
	s_or_b64 exec, exec, s[16:17]
	s_and_b64 s[18:19], s[18:19], exec
	s_and_b64 s[16:17], s[0:1], exec
.LBB85_141:
	s_or_b64 exec, exec, s[14:15]
	s_and_b64 s[14:15], s[18:19], exec
	s_and_b64 s[0:1], s[16:17], exec
.LBB85_142:
	s_or_b64 exec, exec, s[12:13]
	s_and_b64 s[14:15], s[14:15], exec
	s_and_b64 s[12:13], s[0:1], exec
.LBB85_143:
	s_or_b64 exec, exec, s[10:11]
	s_and_b64 s[0:1], s[14:15], exec
	s_and_b64 s[10:11], s[12:13], exec
.LBB85_144:
	s_or_b64 exec, exec, s[8:9]
	s_mov_b64 s[8:9], 0
	s_and_b64 vcc, exec, s[6:7]
	v_lshlrev_b32_e32 v1, 2, v0
	s_cbranch_vccz .LBB85_148
.LBB85_145:
	v_mov_b32_e32 v2, s83
	v_sub_co_u32_e32 v18, vcc, s82, v1
	s_add_u32 s6, s82, -4
	s_nop 0
	v_subbrev_co_u32_e32 v19, vcc, 0, v2, vcc
	v_add_co_u32_e32 v2, vcc, -4, v18
	s_addc_u32 s7, s83, -1
	s_nop 0
	v_addc_co_u32_e32 v3, vcc, -1, v19, vcc
	v_add_co_u32_e32 v4, vcc, 0xfffffbfc, v18
	s_lshl_b64 s[0:1], s[60:61], 2
	s_nop 0
	v_addc_co_u32_e32 v5, vcc, -1, v19, vcc
	v_add_co_u32_e32 v6, vcc, 0xfffff7fc, v18
	s_add_u32 s0, s70, s0
	s_nop 0
	v_addc_co_u32_e32 v7, vcc, -1, v19, vcc
	v_add_co_u32_e32 v8, vcc, 0xfffff3fc, v18
	s_addc_u32 s1, s71, s1
	s_nop 0
	v_addc_co_u32_e32 v9, vcc, -1, v19, vcc
	s_waitcnt lgkmcnt(0)
	v_add_co_u32_e32 v10, vcc, 0xffffeffc, v18
	s_add_u32 s8, s0, -4
	s_nop 0
	v_addc_co_u32_e32 v11, vcc, -1, v19, vcc
	v_add_co_u32_e32 v12, vcc, 0xffffebfc, v18
	s_addc_u32 s9, s1, -1
	s_nop 0
	v_addc_co_u32_e32 v13, vcc, -1, v19, vcc
	v_add_co_u32_e32 v14, vcc, 0xffffe7fc, v18
	s_and_b64 s[0:1], s[58:59], exec
	s_nop 0
	v_addc_co_u32_e32 v15, vcc, -1, v19, vcc
	v_add_co_u32_e32 v16, vcc, 0xffffe3fc, v18
	s_cselect_b32 s0, s82, s8
	s_nop 0
	v_addc_co_u32_e32 v17, vcc, -1, v19, vcc
	flat_load_dword v20, v[2:3]
	flat_load_dword v21, v[4:5]
	;; [unrolled: 1-line block ×8, first 2 shown]
	v_add_co_u32_e32 v2, vcc, 0xffffdffc, v18
	s_cselect_b32 s1, s83, s9
	s_nop 0
	v_addc_co_u32_e32 v3, vcc, -1, v19, vcc
	v_add_co_u32_e32 v4, vcc, 0xffffdbfc, v18
	s_cmp_eq_u64 s[60:61], 0
	s_nop 0
	v_addc_co_u32_e32 v5, vcc, -1, v19, vcc
	v_add_co_u32_e32 v6, vcc, 0xffffd7fc, v18
	s_cselect_b32 s1, s7, s1
	s_nop 0
	v_addc_co_u32_e32 v7, vcc, -1, v19, vcc
	v_add_co_u32_e32 v8, vcc, 0xffffd3fc, v18
	s_cselect_b32 s0, s6, s0
	s_nop 0
	v_addc_co_u32_e32 v9, vcc, -1, v19, vcc
	v_add_co_u32_e32 v10, vcc, 0xffffcffc, v18
	s_movk_i32 s11, 0xf3fc
	s_nop 0
	v_addc_co_u32_e32 v11, vcc, -1, v19, vcc
	v_add_co_u32_e32 v12, vcc, 0xffffcbfc, v18
	s_movk_i32 s10, 0xe3fc
	;; [unrolled: 4-line block ×4, first 2 shown]
	s_nop 0
	v_addc_co_u32_e32 v17, vcc, -1, v19, vcc
	flat_load_dword v28, v[2:3]
	flat_load_dword v29, v[4:5]
	;; [unrolled: 1-line block ×8, first 2 shown]
	v_add_co_u32_e32 v2, vcc, 0xffffbffc, v18
	s_movk_i32 s7, 0xb3fc
	s_nop 0
	v_addc_co_u32_e32 v3, vcc, -1, v19, vcc
	v_add_co_u32_e32 v4, vcc, 0xffffbbfc, v18
	s_movk_i32 s6, 0xa7fc
	s_nop 0
	v_addc_co_u32_e32 v5, vcc, -1, v19, vcc
	v_add_co_u32_e32 v6, vcc, 0xffffb7fc, v18
	s_nop 1
	v_addc_co_u32_e32 v7, vcc, -1, v19, vcc
	v_add_co_u32_e32 v8, vcc, 0xffffb3fc, v18
	;; [unrolled: 3-line block ×5, first 2 shown]
	s_nop 1
	v_addc_co_u32_e32 v15, vcc, -1, v19, vcc
	flat_load_dword v16, v[2:3]
	flat_load_dword v17, v[4:5]
	;; [unrolled: 1-line block ×7, first 2 shown]
	v_mov_b32_e32 v2, s0
	v_mov_b32_e32 v3, s1
	v_sub_co_u32_e32 v10, vcc, 0, v0
	s_waitcnt vmcnt(0) lgkmcnt(0)
	ds_write2st64_b32 v1, v20, v21 offset1:4
	ds_write2st64_b32 v1, v22, v23 offset0:8 offset1:12
	ds_write2st64_b32 v1, v24, v25 offset0:16 offset1:20
	;; [unrolled: 1-line block ×10, first 2 shown]
	ds_write_b32 v1, v38 offset:22528
	s_waitcnt lgkmcnt(0)
	s_barrier
	flat_load_dword v13, v[2:3]
	v_subb_co_u32_e64 v11, s[0:1], 0, 0, vcc
	s_movk_i32 s0, 0x58
	s_nop 0
	v_mad_u32_u24 v12, v0, s0, v1
	s_movk_i32 s0, 0xffa8
	ds_read2_b32 v[2:3], v12 offset1:1
	ds_read2_b32 v[18:19], v12 offset0:2 offset1:3
	ds_read2_b32 v[22:23], v12 offset0:4 offset1:5
	ds_read2_b32 v[26:27], v12 offset0:6 offset1:7
	ds_read2_b32 v[8:9], v12 offset0:16 offset1:17
	ds_read2_b32 v[6:7], v12 offset0:18 offset1:19
	ds_read2_b32 v[4:5], v12 offset0:20 offset1:21
	ds_read_b32 v14, v12 offset:88
	ds_read2_b32 v[30:31], v12 offset0:8 offset1:9
	ds_read2_b32 v[34:35], v12 offset0:10 offset1:11
	;; [unrolled: 1-line block ×4, first 2 shown]
	v_mad_i32_i24 v15, v0, s0, v12
	s_waitcnt lgkmcnt(0)
	ds_write_b32 v15, v14 offset:23552
	s_waitcnt lgkmcnt(0)
	s_barrier
	s_and_saveexec_b64 s[0:1], s[4:5]
	s_cbranch_execz .LBB85_147
; %bb.146:
	s_waitcnt vmcnt(0)
	v_mul_i32_i24_e32 v13, 0xffffffa8, v0
	v_add_u32_e32 v13, v12, v13
	ds_read_b32 v13, v13 offset:23548
.LBB85_147:
	s_or_b64 exec, exec, s[0:1]
	v_lshl_add_u64 v[10:11], v[10:11], 2, s[52:53]
	v_add_co_u32_e32 v16, vcc, s11, v10
	s_waitcnt lgkmcnt(0)
	s_nop 0
	v_addc_co_u32_e32 v17, vcc, -1, v11, vcc
	v_add_co_u32_e32 v20, vcc, s10, v10
	s_barrier
	s_nop 0
	v_addc_co_u32_e32 v21, vcc, -1, v11, vcc
	flat_load_dword v24, v[20:21] offset:3072
	flat_load_dword v25, v[20:21] offset:2048
	;; [unrolled: 1-line block ×3, first 2 shown]
	flat_load_dword v29, v[20:21]
	flat_load_dword v32, v[16:17] offset:3072
	flat_load_dword v33, v[16:17] offset:2048
	;; [unrolled: 1-line block ×3, first 2 shown]
	flat_load_dword v37, v[16:17]
	v_add_co_u32_e32 v16, vcc, s9, v10
	v_cmp_ne_u32_e64 s[0:1], v5, v14
	s_nop 0
	v_addc_co_u32_e32 v17, vcc, -1, v11, vcc
	v_add_co_u32_e32 v20, vcc, s8, v10
	s_mov_b64 s[10:11], -1
	s_nop 0
	v_addc_co_u32_e32 v21, vcc, -1, v11, vcc
	flat_load_dword v40, v[20:21] offset:3072
	flat_load_dword v41, v[20:21] offset:2048
	;; [unrolled: 1-line block ×3, first 2 shown]
	flat_load_dword v45, v[20:21]
	flat_load_dword v46, v[16:17] offset:3072
	flat_load_dword v47, v[16:17] offset:2048
	;; [unrolled: 1-line block ×3, first 2 shown]
	flat_load_dword v49, v[16:17]
	v_add_co_u32_e32 v16, vcc, s7, v10
                                        ; implicit-def: $sgpr8_sgpr9
	s_nop 1
	v_addc_co_u32_e32 v17, vcc, -1, v11, vcc
	v_add_co_u32_e32 v10, vcc, s6, v10
	s_nop 1
	v_addc_co_u32_e32 v11, vcc, -1, v11, vcc
	flat_load_dword v20, v[10:11]
	flat_load_dword v21, v[16:17] offset:3072
	flat_load_dword v50, v[16:17] offset:2048
	;; [unrolled: 1-line block ×3, first 2 shown]
	flat_load_dword v52, v[16:17]
	flat_load_dword v53, v[10:11] offset:2048
	flat_load_dword v54, v[10:11] offset:1024
	s_waitcnt vmcnt(0)
	v_cmp_ne_u32_e32 vcc, v13, v2
	s_waitcnt lgkmcnt(0)
	ds_write2st64_b32 v1, v32, v33 offset1:4
	ds_write2st64_b32 v1, v36, v37 offset0:8 offset1:12
	ds_write2st64_b32 v1, v24, v25 offset0:16 offset1:20
	;; [unrolled: 1-line block ×10, first 2 shown]
	ds_write_b32 v1, v20 offset:22528
	v_cndmask_b32_e64 v11, 0, 1, vcc
	v_cmp_ne_u32_e32 vcc, v2, v3
	s_waitcnt lgkmcnt(0)
	s_barrier
	v_cndmask_b32_e64 v13, 0, 1, vcc
	v_cmp_ne_u32_e32 vcc, v3, v18
	ds_read2_b32 v[16:17], v12 offset1:1
	ds_read2_b32 v[20:21], v12 offset0:2 offset1:3
	ds_read2_b32 v[24:25], v12 offset0:4 offset1:5
	;; [unrolled: 1-line block ×10, first 2 shown]
	ds_read_b32 v3, v12 offset:88
	v_cndmask_b32_e64 v15, 0, 1, vcc
	v_cmp_ne_u32_e32 vcc, v18, v19
	s_waitcnt lgkmcnt(11)
	v_mov_b32_e32 v12, v17
	v_mov_b32_e32 v10, v16
	v_cndmask_b32_e64 v17, 0, 1, vcc
	v_cmp_ne_u32_e32 vcc, v19, v22
	s_waitcnt lgkmcnt(10)
	v_mov_b32_e32 v16, v21
	v_mov_b32_e32 v14, v20
	;; [unrolled: 5-line block ×5, first 2 shown]
	v_cndmask_b32_e64 v25, 0, 1, vcc
	v_cmp_ne_u32_e32 vcc, v27, v30
	s_waitcnt lgkmcnt(6)
	v_mov_b32_e32 v32, v37
	s_waitcnt lgkmcnt(2)
	v_mov_b32_e32 v48, v51
	v_cndmask_b32_e64 v27, 0, 1, vcc
	v_cmp_ne_u32_e32 vcc, v30, v31
	v_mov_b32_e32 v30, v36
	v_mov_b32_e32 v36, v41
	v_cndmask_b32_e64 v29, 0, 1, vcc
	v_cmp_ne_u32_e32 vcc, v31, v34
	s_waitcnt lgkmcnt(1)
	v_mov_b32_e32 v52, v55
	v_cndmask_b32_e64 v31, 0, 1, vcc
	v_cmp_ne_u32_e32 vcc, v34, v35
	v_mov_b32_e32 v34, v40
	v_mov_b32_e32 v40, v45
	v_cndmask_b32_e64 v33, 0, 1, vcc
	v_cmp_ne_u32_e32 vcc, v35, v38
	s_nop 1
	v_cndmask_b32_e64 v35, 0, 1, vcc
	v_cmp_ne_u32_e32 vcc, v38, v39
	v_mov_b32_e32 v38, v44
	v_mov_b32_e32 v44, v47
	v_cndmask_b32_e64 v37, 0, 1, vcc
	v_cmp_ne_u32_e32 vcc, v39, v42
	s_nop 1
	v_cndmask_b32_e64 v39, 0, 1, vcc
	v_cmp_ne_u32_e32 vcc, v42, v43
	v_mov_b32_e32 v42, v46
	v_mov_b32_e32 v46, v50
	v_cndmask_b32_e64 v41, 0, 1, vcc
	v_cmp_ne_u32_e32 vcc, v43, v8
	v_mov_b32_e32 v50, v54
	s_nop 0
	v_cndmask_b32_e64 v43, 0, 1, vcc
	v_cmp_ne_u32_e32 vcc, v8, v9
	s_nop 1
	v_cndmask_b32_e64 v45, 0, 1, vcc
	v_cmp_ne_u32_e32 vcc, v9, v6
	;; [unrolled: 3-line block ×5, first 2 shown]
	s_nop 1
	v_cndmask_b32_e64 v53, 0, 1, vcc
.LBB85_148:
	v_mov_b64_e32 v[54:55], s[8:9]
	s_and_saveexec_b64 s[6:7], s[10:11]
	s_cbranch_execz .LBB85_150
; %bb.149:
	v_cndmask_b32_e64 v55, 0, 1, s[0:1]
	s_waitcnt lgkmcnt(0)
	v_mov_b32_e32 v54, v3
.LBB85_150:
	s_or_b64 exec, exec, s[6:7]
	s_mov_b32 s0, 0
	s_cmp_lg_u32 s75, 0
	v_or_b32_e32 v61, v55, v53
	v_lshrrev_b32_e32 v60, 5, v0
	v_cmp_gt_u32_e32 vcc, 64, v0
	s_waitcnt lgkmcnt(0)
	s_barrier
	s_cbranch_scc0 .LBB85_209
; %bb.151:
	s_mov_b32 s1, 1
	v_max_i32_e32 v2, v12, v10
	v_cmp_gt_u64_e64 s[6:7], s[0:1], v[12:13]
	v_cmp_gt_u64_e64 s[8:9], s[0:1], v[14:15]
	v_cmp_gt_u64_e64 s[10:11], s[0:1], v[16:17]
	v_cndmask_b32_e64 v2, v12, v2, s[6:7]
	v_max_i32_e32 v2, v14, v2
	v_cndmask_b32_e64 v2, v14, v2, s[8:9]
	v_max_i32_e32 v2, v16, v2
	v_cndmask_b32_e64 v2, v16, v2, s[10:11]
	v_max_i32_e32 v2, v18, v2
	v_cmp_gt_u64_e64 s[12:13], s[0:1], v[18:19]
	v_cmp_gt_u64_e64 s[14:15], s[0:1], v[20:21]
	v_cmp_gt_u64_e64 s[16:17], s[0:1], v[22:23]
	v_cndmask_b32_e64 v2, v18, v2, s[12:13]
	v_max_i32_e32 v2, v20, v2
	v_cndmask_b32_e64 v2, v20, v2, s[14:15]
	v_max_i32_e32 v2, v22, v2
	v_cndmask_b32_e64 v2, v22, v2, s[16:17]
	;; [unrolled: 9-line block ×7, first 2 shown]
	v_max_i32_e32 v2, v54, v2
	v_cmp_gt_u64_e64 s[50:51], s[0:1], v[54:55]
	s_nop 1
	v_cndmask_b32_e64 v62, v54, v2, s[50:51]
	v_or3_b32 v2, v61, v51, v49
	v_or3_b32 v2, v2, v47, v45
	;; [unrolled: 1-line block ×10, first 2 shown]
	v_and_b32_e32 v2, 1, v2
	v_cmp_eq_u32_e64 s[0:1], 1, v2
	v_add_lshl_u32 v2, v60, v0, 3
	s_nop 0
	v_cndmask_b32_e64 v63, v11, 1, s[0:1]
	ds_write_b32 v2, v62
	ds_write_b8 v2, v63 offset:4
	s_waitcnt lgkmcnt(0)
	s_barrier
	s_and_saveexec_b64 s[52:53], vcc
	s_cbranch_execz .LBB85_165
; %bb.152:
	v_lshrrev_b32_e32 v2, 3, v0
	v_add_lshl_u32 v4, v2, v1, 3
	ds_read2_b32 v[6:7], v4 offset0:2 offset1:4
	ds_read_b64 v[2:3], v4
	ds_read_u8 v8, v4 offset:12
	ds_read_u8 v9, v4 offset:20
	ds_read_b32 v56, v4 offset:24
	ds_read_u8 v57, v4 offset:28
	v_mov_b32_e32 v58, 0
	s_waitcnt lgkmcnt(4)
	v_max_i32_e32 v59, v6, v2
	s_waitcnt lgkmcnt(3)
	v_cmp_eq_u16_sdwa s[0:1], v8, v58 src0_sel:BYTE_0 src1_sel:DWORD
	v_and_b32_e32 v5, 1, v3
	s_nop 0
	v_cndmask_b32_e64 v6, v6, v59, s[0:1]
	v_max_i32_e32 v6, v7, v6
	s_waitcnt lgkmcnt(2)
	v_cmp_eq_u16_sdwa s[0:1], v9, v58 src0_sel:BYTE_0 src1_sel:DWORD
	s_nop 1
	v_cndmask_b32_e64 v6, v7, v6, s[0:1]
	s_waitcnt lgkmcnt(0)
	v_or_b32_e32 v7, v57, v9
	v_or_b32_e32 v7, v7, v8
	v_max_i32_e32 v6, v56, v6
	v_cmp_eq_u16_e64 s[0:1], 0, v57
	v_and_b32_e32 v7, 1, v7
	v_mbcnt_lo_u32_b32 v8, -1, 0
	v_cndmask_b32_e64 v6, v56, v6, s[0:1]
	v_cmp_eq_u32_e64 s[0:1], 1, v7
	v_and_b32_e32 v7, 0xffffff00, v3
	v_mbcnt_hi_u32_b32 v8, -1, v8
	v_cndmask_b32_e64 v9, v5, 1, s[0:1]
	v_and_b32_e32 v57, 15, v8
	v_or_b32_sdwa v56, v7, v9 dst_sel:DWORD dst_unused:UNUSED_PAD src0_sel:DWORD src1_sel:WORD_0
	v_mov_b32_dpp v59, v6 row_shr:1 row_mask:0xf bank_mask:0xf
	v_cmp_ne_u32_e64 s[0:1], 0, v57
	v_mov_b32_dpp v58, v56 row_shr:1 row_mask:0xf bank_mask:0xf
	s_and_saveexec_b64 s[58:59], s[0:1]
; %bb.153:
	v_max_i32_e32 v56, v6, v59
	v_cmp_eq_u16_e64 s[0:1], 0, v9
	v_and_b32_e32 v9, 1, v9
	s_nop 0
	v_cndmask_b32_e64 v6, v6, v56, s[0:1]
	v_and_b32_e32 v56, 1, v58
	v_cmp_eq_u32_e64 s[0:1], 1, v9
	s_nop 1
	v_cndmask_b32_e64 v9, v56, 1, s[0:1]
	v_or_b32_sdwa v56, v7, v9 dst_sel:DWORD dst_unused:UNUSED_PAD src0_sel:DWORD src1_sel:WORD_0
; %bb.154:
	s_or_b64 exec, exec, s[58:59]
	v_mov_b32_dpp v59, v6 row_shr:2 row_mask:0xf bank_mask:0xf
	v_mov_b32_dpp v58, v56 row_shr:2 row_mask:0xf bank_mask:0xf
	v_cmp_lt_u32_e64 s[0:1], 1, v57
	s_and_saveexec_b64 s[58:59], s[0:1]
; %bb.155:
	v_max_i32_e32 v56, v6, v59
	v_cmp_eq_u16_e64 s[0:1], 0, v9
	v_and_b32_e32 v9, 1, v9
	s_nop 0
	v_cndmask_b32_e64 v6, v6, v56, s[0:1]
	v_and_b32_e32 v56, 1, v58
	v_cmp_eq_u32_e64 s[0:1], 1, v9
	s_nop 1
	v_cndmask_b32_e64 v9, v56, 1, s[0:1]
	v_or_b32_sdwa v56, v7, v9 dst_sel:DWORD dst_unused:UNUSED_PAD src0_sel:DWORD src1_sel:WORD_0
; %bb.156:
	s_or_b64 exec, exec, s[58:59]
	v_mov_b32_dpp v59, v6 row_shr:4 row_mask:0xf bank_mask:0xf
	v_mov_b32_dpp v58, v56 row_shr:4 row_mask:0xf bank_mask:0xf
	v_cmp_lt_u32_e64 s[0:1], 3, v57
	;; [unrolled: 17-line block ×3, first 2 shown]
	s_and_saveexec_b64 s[58:59], s[0:1]
; %bb.159:
	v_max_i32_e32 v56, v6, v59
	v_cmp_eq_u16_e64 s[0:1], 0, v9
	v_and_b32_e32 v9, 1, v9
	s_nop 0
	v_cndmask_b32_e64 v6, v6, v56, s[0:1]
	v_and_b32_e32 v56, 1, v58
	v_cmp_eq_u32_e64 s[0:1], 1, v9
	s_nop 1
	v_cndmask_b32_e64 v9, v56, 1, s[0:1]
	v_or_b32_sdwa v56, v7, v9 dst_sel:DWORD dst_unused:UNUSED_PAD src0_sel:DWORD src1_sel:WORD_0
; %bb.160:
	s_or_b64 exec, exec, s[58:59]
	v_and_b32_e32 v59, 16, v8
	v_mov_b32_dpp v58, v6 row_bcast:15 row_mask:0xf bank_mask:0xf
	v_mov_b32_dpp v57, v56 row_bcast:15 row_mask:0xf bank_mask:0xf
	v_cmp_ne_u32_e64 s[0:1], 0, v59
	s_and_saveexec_b64 s[58:59], s[0:1]
; %bb.161:
	v_max_i32_e32 v56, v6, v58
	v_cmp_eq_u16_e64 s[0:1], 0, v9
	v_and_b32_e32 v9, 1, v9
	s_nop 0
	v_cndmask_b32_e64 v6, v6, v56, s[0:1]
	v_and_b32_e32 v56, 1, v57
	v_cmp_eq_u32_e64 s[0:1], 1, v9
	s_nop 1
	v_cndmask_b32_e64 v9, v56, 1, s[0:1]
	v_or_b32_sdwa v56, v7, v9 dst_sel:DWORD dst_unused:UNUSED_PAD src0_sel:DWORD src1_sel:WORD_0
; %bb.162:
	s_or_b64 exec, exec, s[58:59]
	v_mov_b32_dpp v57, v6 row_bcast:31 row_mask:0xf bank_mask:0xf
	v_mov_b32_dpp v56, v56 row_bcast:31 row_mask:0xf bank_mask:0xf
	v_cmp_lt_u32_e64 s[0:1], 31, v8
	s_and_saveexec_b64 s[58:59], s[0:1]
; %bb.163:
	v_max_i32_e32 v57, v6, v57
	v_cmp_eq_u16_e64 s[0:1], 0, v9
	v_and_b32_e32 v9, 1, v9
	v_and_b32_e32 v56, 1, v56
	v_cndmask_b32_e64 v6, v6, v57, s[0:1]
	v_cmp_eq_u32_e64 s[0:1], 1, v9
	s_nop 1
	v_cndmask_b32_e64 v9, v56, 1, s[0:1]
; %bb.164:
	s_or_b64 exec, exec, s[58:59]
	v_add_u32_e32 v56, -1, v8
	v_and_b32_e32 v57, 64, v8
	v_cmp_lt_i32_e64 s[0:1], v56, v57
	v_or_b32_sdwa v7, v7, v9 dst_sel:DWORD dst_unused:UNUSED_PAD src0_sel:DWORD src1_sel:WORD_0
	s_nop 0
	v_cndmask_b32_e64 v8, v56, v8, s[0:1]
	v_lshlrev_b32_e32 v8, 2, v8
	ds_bpermute_b32 v6, v8, v6
	ds_bpermute_b32 v7, v8, v7
	v_mov_b32_e32 v8, 0
	v_cmp_eq_u16_sdwa s[0:1], v3, v8 src0_sel:BYTE_0 src1_sel:DWORD
	; wave barrier
	s_waitcnt lgkmcnt(1)
	v_max_i32_e32 v6, v2, v6
	v_cndmask_b32_e64 v2, v2, v6, s[0:1]
	s_waitcnt lgkmcnt(0)
	v_and_b32_e32 v3, 1, v7
	v_cmp_eq_u32_e64 s[0:1], 1, v5
	v_cndmask_b32_e64 v5, v2, v62, s[54:55]
	s_nop 0
	v_cndmask_b32_e64 v3, v3, 1, s[0:1]
	v_cndmask_b32_e64 v6, v3, v63, s[54:55]
	ds_write_b32 v4, v5
	ds_write_b8 v4, v6 offset:4
	; wave barrier
	ds_read2_b32 v[2:3], v4 offset0:2 offset1:4
	ds_read_u8 v7, v4 offset:12
	ds_read_u8 v8, v4 offset:20
	ds_read_b32 v9, v4 offset:24
	ds_read_u8 v56, v4 offset:28
	s_waitcnt lgkmcnt(4)
	v_max_i32_e32 v5, v2, v5
	s_waitcnt lgkmcnt(3)
	v_cmp_eq_u16_e64 s[0:1], 0, v7
	s_nop 1
	v_cndmask_b32_e64 v2, v2, v5, s[0:1]
	v_and_b32_e32 v5, 1, v7
	v_cmp_eq_u32_e64 s[0:1], 1, v5
	s_nop 1
	v_cndmask_b32_e64 v5, v6, 1, s[0:1]
	v_max_i32_e32 v6, v3, v2
	s_waitcnt lgkmcnt(2)
	v_cmp_eq_u16_e64 s[0:1], 0, v8
	ds_write_b8 v4, v5 offset:12
	s_nop 0
	v_cndmask_b32_e64 v3, v3, v6, s[0:1]
	v_and_b32_e32 v6, 1, v8
	v_cmp_eq_u32_e64 s[0:1], 1, v6
	s_nop 1
	v_cndmask_b32_e64 v5, v5, 1, s[0:1]
	ds_write2_b32 v4, v2, v3 offset0:2 offset1:4
	ds_write_b8 v4, v5 offset:20
	s_waitcnt lgkmcnt(4)
	v_max_i32_e32 v2, v9, v3
	s_waitcnt lgkmcnt(3)
	v_cmp_eq_u16_e64 s[0:1], 0, v56
	v_and_b32_e32 v3, 1, v56
	s_nop 0
	v_cndmask_b32_e64 v2, v9, v2, s[0:1]
	v_cmp_eq_u32_e64 s[0:1], 1, v3
	s_nop 1
	v_cndmask_b32_e64 v3, v5, 1, s[0:1]
	ds_write_b32 v4, v2 offset:24
	ds_write_b8 v4, v3 offset:28
.LBB85_165:
	s_or_b64 exec, exec, s[52:53]
	s_waitcnt lgkmcnt(0)
	s_barrier
	s_and_saveexec_b64 s[0:1], s[4:5]
	s_cbranch_execz .LBB85_167
; %bb.166:
	v_add_u32_e32 v2, -1, v0
	v_lshrrev_b32_e32 v3, 5, v2
	v_add_lshl_u32 v2, v3, v2, 3
	ds_read_b32 v62, v2
	ds_read_u8 v63, v2 offset:4
.LBB85_167:
	s_or_b64 exec, exec, s[0:1]
	s_and_saveexec_b64 s[0:1], vcc
	s_cbranch_execz .LBB85_208
; %bb.168:
	v_mov_b32_e32 v5, 0
	ds_read_b64 v[2:3], v5 offset:2096
	v_mbcnt_lo_u32_b32 v4, -1, 0
	v_mbcnt_hi_u32_b32 v57, -1, v4
	s_mov_b32 s61, 0
	v_cmp_eq_u32_e64 s[52:53], 0, v57
	s_waitcnt lgkmcnt(0)
	v_readfirstlane_b32 s68, v3
	s_and_saveexec_b64 s[58:59], s[52:53]
	s_cbranch_execz .LBB85_170
; %bb.169:
	s_add_i32 s60, s75, 64
	s_lshl_b64 s[64:65], s[60:61], 4
	s_add_u32 s64, s72, s64
	s_addc_u32 s65, s73, s65
	s_and_b32 s71, s68, 0xff000000
	s_mov_b32 s70, s61
	s_and_b32 s81, s68, 0xff0000
	s_mov_b32 s80, s61
	s_or_b64 s[70:71], s[80:81], s[70:71]
	s_and_b32 s81, s68, 0xff00
	s_or_b64 s[70:71], s[70:71], s[80:81]
	s_and_b32 s81, s68, 0xff
	s_or_b64 s[60:61], s[70:71], s[80:81]
	v_mov_b32_e32 v3, s61
	v_mov_b32_e32 v4, 1
	v_mov_b64_e32 v[6:7], s[64:65]
	;;#ASMSTART
	global_store_dwordx4 v[6:7], v[2:5] off sc1	
s_waitcnt vmcnt(0)
	;;#ASMEND
.LBB85_170:
	s_or_b64 exec, exec, s[58:59]
	v_xad_u32 v56, v57, -1, s75
	v_add_u32_e32 v4, 64, v56
	v_lshl_add_u64 v[58:59], v[4:5], 4, s[72:73]
	;;#ASMSTART
	global_load_dwordx4 v[6:9], v[58:59] off sc1	
s_waitcnt vmcnt(0)
	;;#ASMEND
	s_nop 0
	v_and_b32_e32 v3, 0xff0000, v6
	v_and_b32_e32 v4, 0xff000000, v6
	;; [unrolled: 1-line block ×3, first 2 shown]
	v_or_b32_sdwa v3, v6, v3 dst_sel:DWORD dst_unused:UNUSED_PAD src0_sel:WORD_0 src1_sel:DWORD
	v_or3_b32 v7, 0, 0, v7
	v_or3_b32 v6, v3, v4, 0
	v_cmp_eq_u16_sdwa s[60:61], v8, v5 src0_sel:BYTE_0 src1_sel:DWORD
	s_and_saveexec_b64 s[58:59], s[60:61]
	s_cbranch_execz .LBB85_174
; %bb.171:
	s_mov_b64 s[60:61], 0
	v_mov_b32_e32 v3, 0
.LBB85_172:                             ; =>This Inner Loop Header: Depth=1
	;;#ASMSTART
	global_load_dwordx4 v[6:9], v[58:59] off sc1	
s_waitcnt vmcnt(0)
	;;#ASMEND
	s_nop 0
	v_cmp_ne_u16_sdwa s[64:65], v8, v3 src0_sel:BYTE_0 src1_sel:DWORD
	s_or_b64 s[60:61], s[64:65], s[60:61]
	s_andn2_b64 exec, exec, s[60:61]
	s_cbranch_execnz .LBB85_172
; %bb.173:
	s_or_b64 exec, exec, s[60:61]
	v_and_b32_e32 v7, 0xff, v7
.LBB85_174:
	s_or_b64 exec, exec, s[58:59]
	v_mov_b32_e32 v3, 2
	v_cmp_eq_u16_sdwa s[58:59], v8, v3 src0_sel:BYTE_0 src1_sel:DWORD
	v_lshlrev_b64 v[4:5], v57, -1
	s_mov_b32 s60, 0
	v_and_b32_e32 v3, s59, v5
	v_or_b32_e32 v3, 0x80000000, v3
	v_ffbl_b32_e32 v3, v3
	v_add_u32_e32 v58, 32, v3
	v_and_b32_e32 v3, 63, v57
	v_cmp_ne_u32_e32 vcc, 63, v3
	v_and_b32_e32 v9, s58, v4
	v_ffbl_b32_e32 v9, v9
	v_addc_co_u32_e32 v59, vcc, 0, v57, vcc
	v_lshlrev_b32_e32 v64, 2, v59
	ds_bpermute_b32 v65, v64, v6
	ds_bpermute_b32 v59, v64, v7
	v_min_u32_e32 v9, v9, v58
	v_cmp_lt_u32_e32 vcc, v3, v9
	v_mov_b32_e32 v58, v7
	s_and_saveexec_b64 s[58:59], vcc
	s_cbranch_execz .LBB85_176
; %bb.175:
	s_mov_b32 s61, 1
	s_waitcnt lgkmcnt(1)
	v_max_i32_e32 v58, v6, v65
	v_cmp_gt_u64_e32 vcc, s[60:61], v[6:7]
	v_and_b32_e32 v7, 1, v7
	s_nop 0
	v_cndmask_b32_e32 v6, v6, v58, vcc
	s_waitcnt lgkmcnt(0)
	v_and_b32_e32 v58, 1, v59
	v_cmp_eq_u32_e32 vcc, 1, v7
	s_nop 1
	v_cndmask_b32_e64 v7, v58, 1, vcc
	v_and_b32_e32 v58, 0xffff, v7
.LBB85_176:
	s_or_b64 exec, exec, s[58:59]
	v_cmp_gt_u32_e32 vcc, 62, v3
	v_add_u32_e32 v66, 2, v3
	s_waitcnt lgkmcnt(0)
	v_cndmask_b32_e64 v59, 0, 1, vcc
	v_lshlrev_b32_e32 v59, 1, v59
	v_add_lshl_u32 v65, v59, v57, 2
	ds_bpermute_b32 v67, v65, v6
	ds_bpermute_b32 v59, v65, v58
	v_cmp_le_u32_e32 vcc, v66, v9
	s_and_saveexec_b64 s[58:59], vcc
	s_cbranch_execz .LBB85_178
; %bb.177:
	s_waitcnt lgkmcnt(1)
	v_max_i32_e32 v58, v6, v67
	v_cmp_eq_u16_e32 vcc, 0, v7
	v_and_b32_e32 v7, 1, v7
	s_nop 0
	v_cndmask_b32_e32 v6, v6, v58, vcc
	s_waitcnt lgkmcnt(0)
	v_and_b32_e32 v58, 1, v59
	v_cmp_eq_u32_e32 vcc, 1, v7
	s_nop 1
	v_cndmask_b32_e64 v7, v58, 1, vcc
	v_and_b32_e32 v58, 0xffff, v7
.LBB85_178:
	s_or_b64 exec, exec, s[58:59]
	v_cmp_gt_u32_e32 vcc, 60, v3
	v_add_u32_e32 v68, 4, v3
	s_waitcnt lgkmcnt(0)
	v_cndmask_b32_e64 v59, 0, 1, vcc
	v_lshlrev_b32_e32 v59, 2, v59
	v_add_lshl_u32 v67, v59, v57, 2
	ds_bpermute_b32 v69, v67, v6
	ds_bpermute_b32 v59, v67, v58
	v_cmp_le_u32_e32 vcc, v68, v9
	s_and_saveexec_b64 s[58:59], vcc
	s_cbranch_execz .LBB85_180
; %bb.179:
	s_waitcnt lgkmcnt(1)
	v_max_i32_e32 v58, v6, v69
	v_cmp_eq_u16_e32 vcc, 0, v7
	v_and_b32_e32 v7, 1, v7
	s_nop 0
	v_cndmask_b32_e32 v6, v6, v58, vcc
	s_waitcnt lgkmcnt(0)
	v_and_b32_e32 v58, 1, v59
	v_cmp_eq_u32_e32 vcc, 1, v7
	s_nop 1
	v_cndmask_b32_e64 v7, v58, 1, vcc
	v_and_b32_e32 v58, 0xffff, v7
.LBB85_180:
	;; [unrolled: 26-line block ×4, first 2 shown]
	s_or_b64 exec, exec, s[58:59]
	v_cmp_gt_u32_e32 vcc, 32, v3
	v_add_u32_e32 v75, 32, v3
	s_waitcnt lgkmcnt(0)
	v_cndmask_b32_e64 v59, 0, 1, vcc
	v_lshlrev_b32_e32 v59, 5, v59
	v_add_lshl_u32 v74, v59, v57, 2
	ds_bpermute_b32 v59, v74, v6
	ds_bpermute_b32 v57, v74, v58
	v_cmp_le_u32_e32 vcc, v75, v9
	s_and_saveexec_b64 s[58:59], vcc
	s_cbranch_execz .LBB85_186
; %bb.185:
	s_waitcnt lgkmcnt(1)
	v_max_i32_e32 v9, v6, v59
	v_cmp_eq_u16_e32 vcc, 0, v7
	v_and_b32_e32 v7, 1, v7
	s_nop 0
	v_cndmask_b32_e32 v6, v6, v9, vcc
	s_waitcnt lgkmcnt(0)
	v_and_b32_e32 v9, 1, v57
	v_cmp_eq_u32_e32 vcc, 1, v7
	s_nop 1
	v_cndmask_b32_e64 v7, v9, 1, vcc
.LBB85_186:
	s_or_b64 exec, exec, s[58:59]
	s_mov_b32 s58, 0
	s_mov_b32 s59, 1
	s_waitcnt lgkmcnt(0)
	v_mov_b32_e32 v57, 0
	v_mov_b32_e32 v77, 2
	s_branch .LBB85_188
.LBB85_187:                             ;   in Loop: Header=BB85_188 Depth=1
	s_or_b64 exec, exec, s[60:61]
	s_waitcnt lgkmcnt(0)
	ds_bpermute_b32 v59, v74, v6
	ds_bpermute_b32 v58, v74, v58
	v_and_b32_e32 v78, 1, v7
	v_cmp_eq_u16_e32 vcc, 0, v7
	v_subrev_u32_e32 v56, 64, v56
	s_waitcnt lgkmcnt(1)
	v_max_i32_e32 v59, v6, v59
	v_cndmask_b32_e32 v59, v6, v59, vcc
	v_cmp_eq_u32_e32 vcc, 1, v78
	s_waitcnt lgkmcnt(0)
	s_nop 0
	v_cndmask_b32_e64 v58, v58, 1, vcc
	v_cmp_gt_u32_e32 vcc, v75, v9
	v_and_b32_e32 v9, 1, v73
	s_nop 0
	v_cndmask_b32_e32 v6, v59, v6, vcc
	v_cndmask_b32_e32 v7, v58, v7, vcc
	v_max_i32_e32 v6, v76, v6
	v_cmp_eq_u16_sdwa vcc, v73, v57 src0_sel:BYTE_0 src1_sel:DWORD
	v_and_b32_e32 v7, 1, v7
	s_nop 0
	v_cndmask_b32_e32 v6, v76, v6, vcc
	v_cmp_eq_u32_e32 vcc, 1, v9
	s_nop 1
	v_cndmask_b32_e64 v7, v7, 1, vcc
.LBB85_188:                             ; =>This Loop Header: Depth=1
                                        ;     Child Loop BB85_191 Depth 2
	v_cmp_ne_u16_sdwa s[60:61], v8, v77 src0_sel:BYTE_0 src1_sel:DWORD
	v_mov_b32_e32 v73, v7
	v_mov_b32_e32 v76, v6
	v_cndmask_b32_e64 v7, 0, 1, s[60:61]
	;;#ASMSTART
	;;#ASMEND
	s_nop 0
	v_cmp_ne_u32_e32 vcc, 0, v7
	s_cmp_lg_u64 vcc, exec
	s_cbranch_scc1 .LBB85_203
; %bb.189:                              ;   in Loop: Header=BB85_188 Depth=1
	v_lshl_add_u64 v[58:59], v[56:57], 4, s[72:73]
	;;#ASMSTART
	global_load_dwordx4 v[6:9], v[58:59] off sc1	
s_waitcnt vmcnt(0)
	;;#ASMEND
	s_nop 0
	v_and_b32_e32 v9, 0xff0000, v6
	v_and_b32_e32 v78, 0xff000000, v6
	;; [unrolled: 1-line block ×3, first 2 shown]
	v_or_b32_sdwa v6, v6, v9 dst_sel:DWORD dst_unused:UNUSED_PAD src0_sel:WORD_0 src1_sel:DWORD
	v_or3_b32 v7, 0, 0, v7
	v_or3_b32 v6, v6, v78, 0
	v_cmp_eq_u16_sdwa s[64:65], v8, v57 src0_sel:BYTE_0 src1_sel:DWORD
	s_and_saveexec_b64 s[60:61], s[64:65]
	s_cbranch_execz .LBB85_193
; %bb.190:                              ;   in Loop: Header=BB85_188 Depth=1
	s_mov_b64 s[64:65], 0
.LBB85_191:                             ;   Parent Loop BB85_188 Depth=1
                                        ; =>  This Inner Loop Header: Depth=2
	;;#ASMSTART
	global_load_dwordx4 v[6:9], v[58:59] off sc1	
s_waitcnt vmcnt(0)
	;;#ASMEND
	s_nop 0
	v_cmp_ne_u16_sdwa s[70:71], v8, v57 src0_sel:BYTE_0 src1_sel:DWORD
	s_or_b64 s[64:65], s[70:71], s[64:65]
	s_andn2_b64 exec, exec, s[64:65]
	s_cbranch_execnz .LBB85_191
; %bb.192:                              ;   in Loop: Header=BB85_188 Depth=1
	s_or_b64 exec, exec, s[64:65]
	v_and_b32_e32 v7, 0xff, v7
.LBB85_193:                             ;   in Loop: Header=BB85_188 Depth=1
	s_or_b64 exec, exec, s[60:61]
	v_cmp_eq_u16_sdwa s[60:61], v8, v77 src0_sel:BYTE_0 src1_sel:DWORD
	ds_bpermute_b32 v78, v64, v6
	ds_bpermute_b32 v59, v64, v7
	v_and_b32_e32 v9, s61, v5
	v_or_b32_e32 v9, 0x80000000, v9
	v_and_b32_e32 v58, s60, v4
	v_ffbl_b32_e32 v9, v9
	v_add_u32_e32 v9, 32, v9
	v_ffbl_b32_e32 v58, v58
	v_min_u32_e32 v9, v58, v9
	v_cmp_lt_u32_e32 vcc, v3, v9
	v_mov_b32_e32 v58, v7
	s_and_saveexec_b64 s[60:61], vcc
	s_cbranch_execz .LBB85_195
; %bb.194:                              ;   in Loop: Header=BB85_188 Depth=1
	s_waitcnt lgkmcnt(1)
	v_max_i32_e32 v58, v6, v78
	v_cmp_gt_u64_e32 vcc, s[58:59], v[6:7]
	v_and_b32_e32 v7, 1, v7
	s_nop 0
	v_cndmask_b32_e32 v6, v6, v58, vcc
	s_waitcnt lgkmcnt(0)
	v_and_b32_e32 v58, 1, v59
	v_cmp_eq_u32_e32 vcc, 1, v7
	s_nop 1
	v_cndmask_b32_e64 v7, v58, 1, vcc
	v_and_b32_e32 v58, 0xffff, v7
.LBB85_195:                             ;   in Loop: Header=BB85_188 Depth=1
	s_or_b64 exec, exec, s[60:61]
	s_waitcnt lgkmcnt(1)
	ds_bpermute_b32 v78, v65, v6
	s_waitcnt lgkmcnt(1)
	ds_bpermute_b32 v59, v65, v58
	v_cmp_le_u32_e32 vcc, v66, v9
	s_and_saveexec_b64 s[60:61], vcc
	s_cbranch_execz .LBB85_197
; %bb.196:                              ;   in Loop: Header=BB85_188 Depth=1
	s_waitcnt lgkmcnt(1)
	v_max_i32_e32 v58, v6, v78
	v_cmp_eq_u16_e32 vcc, 0, v7
	v_and_b32_e32 v7, 1, v7
	s_nop 0
	v_cndmask_b32_e32 v6, v6, v58, vcc
	s_waitcnt lgkmcnt(0)
	v_and_b32_e32 v58, 1, v59
	v_cmp_eq_u32_e32 vcc, 1, v7
	s_nop 1
	v_cndmask_b32_e64 v7, v58, 1, vcc
	v_and_b32_e32 v58, 0xffff, v7
.LBB85_197:                             ;   in Loop: Header=BB85_188 Depth=1
	s_or_b64 exec, exec, s[60:61]
	s_waitcnt lgkmcnt(1)
	ds_bpermute_b32 v78, v67, v6
	s_waitcnt lgkmcnt(1)
	ds_bpermute_b32 v59, v67, v58
	v_cmp_le_u32_e32 vcc, v68, v9
	s_and_saveexec_b64 s[60:61], vcc
	s_cbranch_execz .LBB85_199
; %bb.198:                              ;   in Loop: Header=BB85_188 Depth=1
	s_waitcnt lgkmcnt(1)
	v_max_i32_e32 v58, v6, v78
	v_cmp_eq_u16_e32 vcc, 0, v7
	v_and_b32_e32 v7, 1, v7
	s_nop 0
	v_cndmask_b32_e32 v6, v6, v58, vcc
	s_waitcnt lgkmcnt(0)
	v_and_b32_e32 v58, 1, v59
	v_cmp_eq_u32_e32 vcc, 1, v7
	s_nop 1
	v_cndmask_b32_e64 v7, v58, 1, vcc
	v_and_b32_e32 v58, 0xffff, v7
.LBB85_199:                             ;   in Loop: Header=BB85_188 Depth=1
	;; [unrolled: 22-line block ×3, first 2 shown]
	s_or_b64 exec, exec, s[60:61]
	s_waitcnt lgkmcnt(1)
	ds_bpermute_b32 v78, v71, v6
	s_waitcnt lgkmcnt(1)
	ds_bpermute_b32 v59, v71, v58
	v_cmp_le_u32_e32 vcc, v72, v9
	s_and_saveexec_b64 s[60:61], vcc
	s_cbranch_execz .LBB85_187
; %bb.202:                              ;   in Loop: Header=BB85_188 Depth=1
	s_waitcnt lgkmcnt(1)
	v_max_i32_e32 v58, v6, v78
	v_cmp_eq_u16_e32 vcc, 0, v7
	v_and_b32_e32 v7, 1, v7
	s_nop 0
	v_cndmask_b32_e32 v6, v6, v58, vcc
	s_waitcnt lgkmcnt(0)
	v_and_b32_e32 v58, 1, v59
	v_cmp_eq_u32_e32 vcc, 1, v7
	s_nop 1
	v_cndmask_b32_e64 v7, v58, 1, vcc
	v_and_b32_e32 v58, 0xffff, v7
	s_branch .LBB85_187
.LBB85_203:                             ;   in Loop: Header=BB85_188 Depth=1
                                        ; implicit-def: $vgpr7
	s_cbranch_execz .LBB85_188
; %bb.204:
	s_and_saveexec_b64 s[58:59], s[52:53]
	s_cbranch_execz .LBB85_206
; %bb.205:
	s_and_b32 s52, s68, 0xff
	s_cmp_eq_u32 s52, 0
	s_cselect_b64 vcc, -1, 0
	s_bitcmp1_b32 s68, 0
	s_mov_b32 s53, 0
	s_cselect_b64 s[60:61], -1, 0
	s_add_i32 s52, s75, 64
	s_lshl_b64 s[52:53], s[52:53], 4
	v_max_i32_e32 v3, v2, v76
	s_add_u32 s52, s72, s52
	v_cndmask_b32_e32 v2, v2, v3, vcc
	v_and_b32_e32 v3, 1, v73
	s_addc_u32 s53, s73, s53
	v_cndmask_b32_e64 v3, v3, 1, s[60:61]
	v_mov_b32_e32 v4, 2
	v_mov_b32_e32 v5, 0
	v_mov_b64_e32 v[6:7], s[52:53]
	;;#ASMSTART
	global_store_dwordx4 v[6:7], v[2:5] off sc1	
s_waitcnt vmcnt(0)
	;;#ASMEND
.LBB85_206:
	s_or_b64 exec, exec, s[58:59]
	s_and_b64 exec, exec, s[54:55]
	s_cbranch_execz .LBB85_208
; %bb.207:
	v_mov_b32_e32 v2, 0
	ds_write_b32 v2, v76
	ds_write_b8 v2, v73 offset:4
.LBB85_208:
	s_or_b64 exec, exec, s[0:1]
	v_mov_b32_e32 v2, 0
	s_waitcnt lgkmcnt(0)
	s_barrier
	ds_read_b32 v3, v2
	s_mov_b32 s0, 0
	v_and_b32_e32 v4, 1, v11
	s_mov_b32 s1, 1
	v_and_b32_e32 v5, 1, v63
	v_cmp_eq_u32_e32 vcc, 1, v4
	s_nop 1
	v_cndmask_b32_e64 v4, v5, 1, vcc
	v_max_i32_e32 v5, v10, v62
	v_cmp_gt_u64_e32 vcc, s[0:1], v[10:11]
	v_cndmask_b32_e64 v4, v4, v11, s[54:55]
	s_nop 0
	v_cndmask_b32_e32 v5, v10, v5, vcc
	v_cndmask_b32_e64 v5, v5, v10, s[54:55]
	s_waitcnt lgkmcnt(0)
	v_max_i32_e32 v3, v5, v3
	v_cmp_eq_u16_sdwa vcc, v4, v2 src0_sel:BYTE_0 src1_sel:DWORD
	s_nop 1
	v_cndmask_b32_e32 v80, v5, v3, vcc
	v_max_i32_e32 v2, v12, v80
	v_cndmask_b32_e64 v56, v12, v2, s[6:7]
	v_max_i32_e32 v2, v14, v56
	v_cndmask_b32_e64 v57, v14, v2, s[8:9]
	;; [unrolled: 2-line block ×22, first 2 shown]
	s_branch .LBB85_231
.LBB85_209:
                                        ; implicit-def: $vgpr78
                                        ; implicit-def: $vgpr77
                                        ; implicit-def: $vgpr76
                                        ; implicit-def: $vgpr75
                                        ; implicit-def: $vgpr74
                                        ; implicit-def: $vgpr73
                                        ; implicit-def: $vgpr72
                                        ; implicit-def: $vgpr71
                                        ; implicit-def: $vgpr70
                                        ; implicit-def: $vgpr69
                                        ; implicit-def: $vgpr68
                                        ; implicit-def: $vgpr67
                                        ; implicit-def: $vgpr66
                                        ; implicit-def: $vgpr65
                                        ; implicit-def: $vgpr64
                                        ; implicit-def: $vgpr63
                                        ; implicit-def: $vgpr62
                                        ; implicit-def: $vgpr59
                                        ; implicit-def: $vgpr58
                                        ; implicit-def: $vgpr57
                                        ; implicit-def: $vgpr56
                                        ; implicit-def: $vgpr80
                                        ; implicit-def: $vgpr79
	s_cbranch_execz .LBB85_231
; %bb.210:
	s_cmp_lg_u64 s[78:79], 0
	s_cselect_b32 s9, s67, 0
	s_cselect_b32 s8, s66, 0
	s_cmp_lg_u64 s[8:9], 0
	s_cselect_b64 s[6:7], -1, 0
	s_mov_b32 s0, 0
	s_and_b64 s[10:11], s[54:55], s[6:7]
	s_and_saveexec_b64 s[6:7], s[10:11]
	s_cbranch_execz .LBB85_212
; %bb.211:
	v_mov_b32_e32 v2, 0
	global_load_dword v4, v2, s[8:9]
	global_load_ubyte v5, v2, s[8:9] offset:4
	s_mov_b32 s1, 1
	v_and_b32_e32 v3, 1, v11
	v_cmp_gt_u64_e32 vcc, s[0:1], v[10:11]
	s_waitcnt vmcnt(1)
	v_max_i32_e32 v4, v10, v4
	s_waitcnt vmcnt(0)
	v_and_b32_e32 v5, 1, v5
	v_cndmask_b32_e32 v10, v10, v4, vcc
	v_cmp_eq_u64_e32 vcc, 0, v[2:3]
	s_nop 1
	v_cndmask_b32_e32 v11, 1, v5, vcc
.LBB85_212:
	s_or_b64 exec, exec, s[6:7]
	s_mov_b32 s1, 1
	v_max_i32_e32 v2, v12, v10
	v_cmp_gt_u64_e32 vcc, s[0:1], v[12:13]
	v_cmp_gt_u64_e64 s[6:7], s[0:1], v[14:15]
	v_cmp_gt_u64_e64 s[8:9], s[0:1], v[16:17]
	v_cndmask_b32_e32 v56, v12, v2, vcc
	v_max_i32_e32 v2, v14, v56
	v_cndmask_b32_e64 v57, v14, v2, s[6:7]
	v_max_i32_e32 v2, v16, v57
	v_cndmask_b32_e64 v58, v16, v2, s[8:9]
	v_max_i32_e32 v2, v18, v58
	v_cmp_gt_u64_e64 s[10:11], s[0:1], v[18:19]
	v_cmp_gt_u64_e64 s[12:13], s[0:1], v[20:21]
	v_cmp_gt_u64_e64 s[14:15], s[0:1], v[22:23]
	v_cndmask_b32_e64 v59, v18, v2, s[10:11]
	v_max_i32_e32 v2, v20, v59
	v_cndmask_b32_e64 v62, v20, v2, s[12:13]
	v_max_i32_e32 v2, v22, v62
	v_cndmask_b32_e64 v63, v22, v2, s[14:15]
	v_max_i32_e32 v2, v24, v63
	v_cmp_gt_u64_e64 s[16:17], s[0:1], v[24:25]
	v_cmp_gt_u64_e64 s[18:19], s[0:1], v[26:27]
	v_cmp_gt_u64_e64 s[20:21], s[0:1], v[28:29]
	v_cndmask_b32_e64 v64, v24, v2, s[16:17]
	;; [unrolled: 9-line block ×6, first 2 shown]
	v_max_i32_e32 v2, v50, v76
	v_cndmask_b32_e64 v77, v50, v2, s[44:45]
	v_max_i32_e32 v2, v52, v77
	v_cndmask_b32_e64 v78, v52, v2, s[46:47]
	v_max_i32_e32 v2, v54, v78
	v_cmp_gt_u64_e64 s[48:49], s[0:1], v[54:55]
	s_nop 1
	v_cndmask_b32_e64 v79, v54, v2, s[48:49]
	v_or3_b32 v2, v61, v51, v49
	v_or3_b32 v2, v2, v47, v45
	;; [unrolled: 1-line block ×10, first 2 shown]
	v_and_b32_e32 v2, 1, v2
	v_cmp_eq_u32_e64 s[0:1], 1, v2
	v_add_lshl_u32 v2, v60, v0, 3
	s_nop 0
	v_cndmask_b32_e64 v5, v11, 1, s[0:1]
	v_cmp_gt_u32_e64 s[0:1], 64, v0
	ds_write_b32 v2, v79
	ds_write_b8 v2, v5 offset:4
	s_waitcnt lgkmcnt(0)
	s_barrier
	s_and_saveexec_b64 s[50:51], s[0:1]
	s_cbranch_execz .LBB85_226
; %bb.213:
	v_lshrrev_b32_e32 v2, 3, v0
	v_add_lshl_u32 v4, v2, v1, 3
	ds_read2_b32 v[8:9], v4 offset0:2 offset1:4
	ds_read_b64 v[2:3], v4
	ds_read_u8 v13, v4 offset:12
	ds_read_u8 v15, v4 offset:20
	ds_read_b32 v7, v4 offset:24
	ds_read_u8 v17, v4 offset:28
	v_mov_b32_e32 v19, 0
	s_waitcnt lgkmcnt(4)
	v_max_i32_e32 v21, v8, v2
	s_waitcnt lgkmcnt(3)
	v_cmp_eq_u16_sdwa s[0:1], v13, v19 src0_sel:BYTE_0 src1_sel:DWORD
	v_and_b32_e32 v6, 1, v3
	s_nop 0
	v_cndmask_b32_e64 v8, v8, v21, s[0:1]
	v_max_i32_e32 v8, v9, v8
	s_waitcnt lgkmcnt(2)
	v_cmp_eq_u16_sdwa s[0:1], v15, v19 src0_sel:BYTE_0 src1_sel:DWORD
	s_nop 1
	v_cndmask_b32_e64 v8, v9, v8, s[0:1]
	s_waitcnt lgkmcnt(1)
	v_max_i32_e32 v8, v7, v8
	s_waitcnt lgkmcnt(0)
	v_cmp_eq_u16_e64 s[0:1], 0, v17
	v_mbcnt_lo_u32_b32 v9, -1, 0
	v_mbcnt_hi_u32_b32 v9, -1, v9
	v_cndmask_b32_e64 v7, v7, v8, s[0:1]
	v_or_b32_e32 v8, v17, v15
	v_or_b32_e32 v8, v8, v13
	v_and_b32_e32 v8, 1, v8
	v_cmp_eq_u32_e64 s[0:1], 1, v8
	v_and_b32_e32 v8, 0xffffff00, v3
	v_and_b32_e32 v17, 15, v9
	v_cndmask_b32_e64 v13, v6, 1, s[0:1]
	v_or_b32_sdwa v15, v8, v13 dst_sel:DWORD dst_unused:UNUSED_PAD src0_sel:DWORD src1_sel:WORD_0
	v_mov_b32_dpp v21, v7 row_shr:1 row_mask:0xf bank_mask:0xf
	v_cmp_ne_u32_e64 s[0:1], 0, v17
	v_mov_b32_dpp v19, v15 row_shr:1 row_mask:0xf bank_mask:0xf
	s_and_saveexec_b64 s[52:53], s[0:1]
; %bb.214:
	v_max_i32_e32 v15, v7, v21
	v_cmp_eq_u16_e64 s[0:1], 0, v13
	v_and_b32_e32 v13, 1, v13
	s_nop 0
	v_cndmask_b32_e64 v7, v7, v15, s[0:1]
	v_and_b32_e32 v15, 1, v19
	v_cmp_eq_u32_e64 s[0:1], 1, v13
	s_nop 1
	v_cndmask_b32_e64 v13, v15, 1, s[0:1]
	v_or_b32_sdwa v15, v8, v13 dst_sel:DWORD dst_unused:UNUSED_PAD src0_sel:DWORD src1_sel:WORD_0
; %bb.215:
	s_or_b64 exec, exec, s[52:53]
	v_mov_b32_dpp v21, v7 row_shr:2 row_mask:0xf bank_mask:0xf
	v_mov_b32_dpp v19, v15 row_shr:2 row_mask:0xf bank_mask:0xf
	v_cmp_lt_u32_e64 s[0:1], 1, v17
	s_and_saveexec_b64 s[52:53], s[0:1]
; %bb.216:
	v_max_i32_e32 v15, v7, v21
	v_cmp_eq_u16_e64 s[0:1], 0, v13
	v_and_b32_e32 v13, 1, v13
	s_nop 0
	v_cndmask_b32_e64 v7, v7, v15, s[0:1]
	v_and_b32_e32 v15, 1, v19
	v_cmp_eq_u32_e64 s[0:1], 1, v13
	s_nop 1
	v_cndmask_b32_e64 v13, v15, 1, s[0:1]
	v_or_b32_sdwa v15, v8, v13 dst_sel:DWORD dst_unused:UNUSED_PAD src0_sel:DWORD src1_sel:WORD_0
; %bb.217:
	s_or_b64 exec, exec, s[52:53]
	v_mov_b32_dpp v21, v7 row_shr:4 row_mask:0xf bank_mask:0xf
	v_mov_b32_dpp v19, v15 row_shr:4 row_mask:0xf bank_mask:0xf
	v_cmp_lt_u32_e64 s[0:1], 3, v17
	;; [unrolled: 17-line block ×3, first 2 shown]
	s_and_saveexec_b64 s[52:53], s[0:1]
; %bb.220:
	v_max_i32_e32 v15, v7, v21
	v_cmp_eq_u16_e64 s[0:1], 0, v13
	v_and_b32_e32 v13, 1, v13
	s_nop 0
	v_cndmask_b32_e64 v7, v7, v15, s[0:1]
	v_and_b32_e32 v15, 1, v19
	v_cmp_eq_u32_e64 s[0:1], 1, v13
	s_nop 1
	v_cndmask_b32_e64 v13, v15, 1, s[0:1]
	v_or_b32_sdwa v15, v8, v13 dst_sel:DWORD dst_unused:UNUSED_PAD src0_sel:DWORD src1_sel:WORD_0
; %bb.221:
	s_or_b64 exec, exec, s[52:53]
	v_and_b32_e32 v21, 16, v9
	v_mov_b32_dpp v19, v7 row_bcast:15 row_mask:0xf bank_mask:0xf
	v_mov_b32_dpp v17, v15 row_bcast:15 row_mask:0xf bank_mask:0xf
	v_cmp_ne_u32_e64 s[0:1], 0, v21
	s_and_saveexec_b64 s[52:53], s[0:1]
; %bb.222:
	v_max_i32_e32 v15, v7, v19
	v_cmp_eq_u16_e64 s[0:1], 0, v13
	v_and_b32_e32 v13, 1, v13
	s_nop 0
	v_cndmask_b32_e64 v7, v7, v15, s[0:1]
	v_and_b32_e32 v15, 1, v17
	v_cmp_eq_u32_e64 s[0:1], 1, v13
	s_nop 1
	v_cndmask_b32_e64 v13, v15, 1, s[0:1]
	v_or_b32_sdwa v15, v8, v13 dst_sel:DWORD dst_unused:UNUSED_PAD src0_sel:DWORD src1_sel:WORD_0
; %bb.223:
	s_or_b64 exec, exec, s[52:53]
	v_mov_b32_dpp v17, v7 row_bcast:31 row_mask:0xf bank_mask:0xf
	v_mov_b32_dpp v15, v15 row_bcast:31 row_mask:0xf bank_mask:0xf
	v_cmp_lt_u32_e64 s[0:1], 31, v9
	s_and_saveexec_b64 s[52:53], s[0:1]
; %bb.224:
	v_max_i32_e32 v17, v7, v17
	v_cmp_eq_u16_e64 s[0:1], 0, v13
	v_and_b32_e32 v13, 1, v13
	v_and_b32_e32 v15, 1, v15
	v_cndmask_b32_e64 v7, v7, v17, s[0:1]
	v_cmp_eq_u32_e64 s[0:1], 1, v13
	s_nop 1
	v_cndmask_b32_e64 v13, v15, 1, s[0:1]
; %bb.225:
	s_or_b64 exec, exec, s[52:53]
	v_add_u32_e32 v15, -1, v9
	v_and_b32_e32 v17, 64, v9
	v_cmp_lt_i32_e64 s[0:1], v15, v17
	v_or_b32_sdwa v8, v8, v13 dst_sel:DWORD dst_unused:UNUSED_PAD src0_sel:DWORD src1_sel:WORD_0
	s_nop 0
	v_cndmask_b32_e64 v9, v15, v9, s[0:1]
	v_lshlrev_b32_e32 v9, 2, v9
	ds_bpermute_b32 v7, v9, v7
	ds_bpermute_b32 v8, v9, v8
	v_mov_b32_e32 v9, 0
	v_cmp_eq_u16_sdwa s[0:1], v3, v9 src0_sel:BYTE_0 src1_sel:DWORD
	; wave barrier
	s_waitcnt lgkmcnt(1)
	v_max_i32_e32 v7, v2, v7
	v_cndmask_b32_e64 v2, v2, v7, s[0:1]
	s_waitcnt lgkmcnt(0)
	v_and_b32_e32 v3, 1, v8
	v_cmp_eq_u32_e64 s[0:1], 1, v6
	v_cndmask_b32_e64 v6, v2, v79, s[54:55]
	s_nop 0
	v_cndmask_b32_e64 v3, v3, 1, s[0:1]
	v_cndmask_b32_e64 v5, v3, v5, s[54:55]
	ds_write_b32 v4, v6
	ds_write_b8 v4, v5 offset:4
	; wave barrier
	ds_read2_b32 v[2:3], v4 offset0:2 offset1:4
	ds_read_u8 v7, v4 offset:12
	ds_read_u8 v8, v4 offset:20
	ds_read_b32 v9, v4 offset:24
	ds_read_u8 v13, v4 offset:28
	s_waitcnt lgkmcnt(4)
	v_max_i32_e32 v6, v2, v6
	s_waitcnt lgkmcnt(3)
	v_cmp_eq_u16_e64 s[0:1], 0, v7
	s_nop 1
	v_cndmask_b32_e64 v2, v2, v6, s[0:1]
	v_and_b32_e32 v6, 1, v7
	v_cmp_eq_u32_e64 s[0:1], 1, v6
	v_max_i32_e32 v6, v3, v2
	s_nop 0
	v_cndmask_b32_e64 v5, v5, 1, s[0:1]
	s_waitcnt lgkmcnt(2)
	v_cmp_eq_u16_e64 s[0:1], 0, v8
	ds_write_b8 v4, v5 offset:12
	s_nop 0
	v_cndmask_b32_e64 v3, v3, v6, s[0:1]
	v_and_b32_e32 v6, 1, v8
	v_cmp_eq_u32_e64 s[0:1], 1, v6
	s_nop 1
	v_cndmask_b32_e64 v5, v5, 1, s[0:1]
	ds_write2_b32 v4, v2, v3 offset0:2 offset1:4
	ds_write_b8 v4, v5 offset:20
	s_waitcnt lgkmcnt(4)
	v_max_i32_e32 v2, v9, v3
	s_waitcnt lgkmcnt(3)
	v_cmp_eq_u16_e64 s[0:1], 0, v13
	v_and_b32_e32 v3, 1, v13
	s_nop 0
	v_cndmask_b32_e64 v2, v9, v2, s[0:1]
	v_cmp_eq_u32_e64 s[0:1], 1, v3
	s_nop 1
	v_cndmask_b32_e64 v3, v5, 1, s[0:1]
	ds_write_b32 v4, v2 offset:24
	ds_write_b8 v4, v3 offset:28
.LBB85_226:
	s_or_b64 exec, exec, s[50:51]
	v_mov_b32_e32 v2, v79
	s_waitcnt lgkmcnt(0)
	s_barrier
	s_and_saveexec_b64 s[0:1], s[4:5]
	s_cbranch_execz .LBB85_277
; %bb.227:
	v_add_u32_e32 v2, -1, v0
	v_lshrrev_b32_e32 v3, 5, v2
	v_add_lshl_u32 v2, v3, v2, 3
	ds_read_b32 v2, v2
	s_or_b64 exec, exec, s[0:1]
	s_and_saveexec_b64 s[50:51], s[4:5]
	s_cbranch_execnz .LBB85_278
.LBB85_228:
	s_or_b64 exec, exec, s[50:51]
	s_and_saveexec_b64 s[0:1], s[54:55]
	s_cbranch_execz .LBB85_230
.LBB85_229:
	v_mov_b32_e32 v5, 0
	s_waitcnt lgkmcnt(0)
	ds_read_b32 v2, v5 offset:2096
	ds_read_u8 v3, v5 offset:2100
	s_add_u32 s4, s72, 0x400
	s_addc_u32 s5, s73, 0
	v_mov_b32_e32 v4, 2
	v_mov_b64_e32 v[6:7], s[4:5]
	s_waitcnt lgkmcnt(0)
	;;#ASMSTART
	global_store_dwordx4 v[6:7], v[2:5] off sc1	
s_waitcnt vmcnt(0)
	;;#ASMEND
.LBB85_230:
	s_or_b64 exec, exec, s[0:1]
	v_mov_b32_e32 v80, v10
.LBB85_231:
	s_lshl_b64 s[0:1], s[76:77], 2
	s_add_u32 s4, s62, s0
	s_addc_u32 s5, s63, s1
	s_lshl_b64 s[0:1], s[56:57], 2
	s_add_u32 s0, s4, s0
	s_addc_u32 s1, s5, s1
	s_and_b64 vcc, exec, s[2:3]
	s_cbranch_vccz .LBB85_279
; %bb.232:
	s_movk_i32 s2, 0x5c
	v_mul_i32_i24_e32 v27, 0xffffffa8, v0
	v_mul_u32_u24_e32 v26, 0x5c, v0
	s_waitcnt lgkmcnt(0)
	v_mad_u32_u24 v2, v0, s2, v27
	s_barrier
	ds_write2_b32 v26, v80, v56 offset1:1
	ds_write2_b32 v26, v57, v58 offset0:2 offset1:3
	ds_write2_b32 v26, v59, v62 offset0:4 offset1:5
	;; [unrolled: 1-line block ×10, first 2 shown]
	ds_write_b32 v26, v79 offset:88
	s_waitcnt lgkmcnt(0)
	s_barrier
	ds_read2st64_b32 v[22:23], v2 offset0:4 offset1:8
	ds_read2st64_b32 v[20:21], v2 offset0:12 offset1:16
	;; [unrolled: 1-line block ×11, first 2 shown]
	v_mov_b32_e32 v24, s1
	v_sub_co_u32_e32 v25, vcc, s0, v1
	s_add_i32 s33, s33, s74
	s_nop 0
	v_subbrev_co_u32_e32 v24, vcc, 0, v24, vcc
	v_cmp_gt_u32_e32 vcc, s33, v0
	s_and_saveexec_b64 s[2:3], vcc
	s_cbranch_execz .LBB85_234
; %bb.233:
	v_add_u32_e32 v26, v26, v27
	ds_read_b32 v28, v26
	v_add_co_u32_e32 v26, vcc, -4, v25
	s_nop 1
	v_addc_co_u32_e32 v27, vcc, -1, v24, vcc
	s_waitcnt lgkmcnt(0)
	flat_store_dword v[26:27], v28
.LBB85_234:
	s_or_b64 exec, exec, s[2:3]
	v_or_b32_e32 v26, 0x100, v0
	v_cmp_gt_u32_e32 vcc, s33, v26
	s_and_saveexec_b64 s[2:3], vcc
	s_cbranch_execz .LBB85_236
; %bb.235:
	v_add_co_u32_e32 v26, vcc, 0xfffffbfc, v25
	s_nop 1
	v_addc_co_u32_e32 v27, vcc, -1, v24, vcc
	s_waitcnt lgkmcnt(0)
	flat_store_dword v[26:27], v22
.LBB85_236:
	s_or_b64 exec, exec, s[2:3]
	s_waitcnt lgkmcnt(0)
	v_or_b32_e32 v22, 0x200, v0
	v_cmp_gt_u32_e32 vcc, s33, v22
	s_and_saveexec_b64 s[2:3], vcc
	s_cbranch_execz .LBB85_238
; %bb.237:
	v_add_co_u32_e32 v26, vcc, 0xfffff7fc, v25
	s_nop 1
	v_addc_co_u32_e32 v27, vcc, -1, v24, vcc
	flat_store_dword v[26:27], v23
.LBB85_238:
	s_or_b64 exec, exec, s[2:3]
	v_or_b32_e32 v22, 0x300, v0
	v_cmp_gt_u32_e32 vcc, s33, v22
	s_and_saveexec_b64 s[2:3], vcc
	s_cbranch_execz .LBB85_240
; %bb.239:
	v_add_co_u32_e32 v22, vcc, 0xfffff3fc, v25
	s_nop 1
	v_addc_co_u32_e32 v23, vcc, -1, v24, vcc
	flat_store_dword v[22:23], v20
.LBB85_240:
	s_or_b64 exec, exec, s[2:3]
	;; [unrolled: 11-line block ×19, first 2 shown]
	v_sub_co_u32_e32 v4, vcc, 0, v0
	v_or_b32_e32 v6, 0x1500, v0
	s_nop 0
	v_subb_co_u32_e64 v5, s[2:3], 0, 0, vcc
	v_cmp_gt_u32_e32 vcc, s33, v6
	s_and_saveexec_b64 s[2:3], vcc
	s_cbranch_execz .LBB85_276
; %bb.275:
	v_add_co_u32_e32 v6, vcc, 0xffffabfc, v25
	s_nop 1
	v_addc_co_u32_e32 v7, vcc, -1, v24, vcc
	flat_store_dword v[6:7], v2
.LBB85_276:
	s_or_b64 exec, exec, s[2:3]
	v_or_b32_e32 v2, 0x1600, v0
	v_cmp_gt_u32_e64 s[2:3], s33, v2
	s_branch .LBB85_281
.LBB85_277:
	s_or_b64 exec, exec, s[0:1]
	s_and_saveexec_b64 s[50:51], s[4:5]
	s_cbranch_execz .LBB85_228
.LBB85_278:
	v_and_b32_e32 v5, 0xff, v11
	v_mov_b32_e32 v4, 0
	s_waitcnt lgkmcnt(0)
	v_max_i32_e32 v2, v10, v2
	v_cmp_eq_u64_e64 s[0:1], 0, v[4:5]
	;;#ASMSTART
	;;#ASMEND
	s_nop 1
	v_cndmask_b32_e64 v10, v10, v2, s[0:1]
	v_max_i32_e32 v2, v12, v10
	v_cndmask_b32_e32 v56, v12, v2, vcc
	v_max_i32_e32 v2, v14, v56
	v_cndmask_b32_e64 v57, v14, v2, s[6:7]
	v_max_i32_e32 v2, v16, v57
	v_cndmask_b32_e64 v58, v16, v2, s[8:9]
	;; [unrolled: 2-line block ×21, first 2 shown]
	s_or_b64 exec, exec, s[50:51]
	s_and_saveexec_b64 s[0:1], s[54:55]
	s_cbranch_execnz .LBB85_229
	s_branch .LBB85_230
.LBB85_279:
	s_mov_b64 s[2:3], 0
                                        ; implicit-def: $vgpr3
                                        ; implicit-def: $vgpr4_vgpr5
	s_cbranch_execz .LBB85_281
; %bb.280:
	s_waitcnt lgkmcnt(0)
	v_mul_u32_u24_e32 v2, 0x5c, v0
	s_barrier
	s_movk_i32 s4, 0x5c
	ds_write2_b32 v2, v80, v56 offset1:1
	ds_write2_b32 v2, v57, v58 offset0:2 offset1:3
	ds_write2_b32 v2, v59, v62 offset0:4 offset1:5
	;; [unrolled: 1-line block ×10, first 2 shown]
	ds_write_b32 v2, v79 offset:88
	v_mul_i32_i24_e32 v2, 0xffffffa8, v0
	v_mad_u32_u24 v2, v0, s4, v2
	v_sub_co_u32_e32 v4, vcc, 0, v0
	s_waitcnt lgkmcnt(0)
	s_barrier
	ds_read2st64_b32 v[6:7], v2 offset1:4
	ds_read2st64_b32 v[8:9], v2 offset0:8 offset1:12
	ds_read2st64_b32 v[10:11], v2 offset0:16 offset1:20
	;; [unrolled: 1-line block ×10, first 2 shown]
	ds_read_b32 v3, v2 offset:22528
	v_subb_co_u32_e64 v5, s[4:5], 0, 0, vcc
	v_mov_b32_e32 v0, s1
	v_sub_co_u32_e32 v2, vcc, s0, v1
	s_movk_i32 s4, 0xf3fc
	s_nop 0
	v_subbrev_co_u32_e32 v28, vcc, 0, v0, vcc
	v_add_co_u32_e32 v0, vcc, s4, v2
	s_movk_i32 s4, 0xe3fc
	s_nop 0
	v_addc_co_u32_e32 v1, vcc, -1, v28, vcc
	s_waitcnt lgkmcnt(0)
	flat_store_dword v[0:1], v6 offset:3072
	flat_store_dword v[0:1], v7 offset:2048
	flat_store_dword v[0:1], v8 offset:1024
	flat_store_dword v[0:1], v9
	v_add_co_u32_e32 v0, vcc, s4, v2
	s_movk_i32 s4, 0xd3fc
	s_nop 0
	v_addc_co_u32_e32 v1, vcc, -1, v28, vcc
	flat_store_dword v[0:1], v10 offset:3072
	flat_store_dword v[0:1], v11 offset:2048
	flat_store_dword v[0:1], v12 offset:1024
	flat_store_dword v[0:1], v13
	v_add_co_u32_e32 v0, vcc, s4, v2
	s_movk_i32 s4, 0xc3fc
	s_nop 0
	v_addc_co_u32_e32 v1, vcc, -1, v28, vcc
	;; [unrolled: 8-line block ×3, first 2 shown]
	flat_store_dword v[0:1], v18 offset:3072
	flat_store_dword v[0:1], v19 offset:2048
	;; [unrolled: 1-line block ×3, first 2 shown]
	flat_store_dword v[0:1], v21
	v_add_co_u32_e32 v0, vcc, s4, v2
	s_or_b64 s[2:3], s[2:3], exec
	s_nop 0
	v_addc_co_u32_e32 v1, vcc, -1, v28, vcc
	flat_store_dword v[0:1], v22 offset:2048
	flat_store_dword v[0:1], v23 offset:1024
	flat_store_dword v[0:1], v24
	v_add_co_u32_e32 v0, vcc, 0xffffb3fc, v2
	s_nop 1
	v_addc_co_u32_e32 v1, vcc, -1, v28, vcc
	flat_store_dword v[0:1], v25
	v_add_co_u32_e32 v0, vcc, 0xffffaffc, v2
	s_nop 1
	v_addc_co_u32_e32 v1, vcc, -1, v28, vcc
	;; [unrolled: 4-line block ×3, first 2 shown]
	flat_store_dword v[0:1], v27
.LBB85_281:
	s_and_saveexec_b64 s[4:5], s[2:3]
	s_cbranch_execz .LBB85_283
; %bb.282:
	v_lshl_add_u64 v[0:1], v[4:5], 2, s[0:1]
	v_add_co_u32_e32 v0, vcc, 0xffffa7fc, v0
	s_nop 1
	v_addc_co_u32_e32 v1, vcc, -1, v1, vcc
	flat_store_dword v[0:1], v3
	s_endpgm
.LBB85_283:
	s_endpgm
	.section	.rodata,"a",@progbits
	.p2align	6, 0x0
	.amdhsa_kernel _ZN7rocprim17ROCPRIM_400000_NS6detail17trampoline_kernelINS0_14default_configENS1_27scan_by_key_config_selectorIiiEEZZNS1_16scan_by_key_implILNS1_25lookback_scan_determinismE0ELb0ES3_N6thrust23THRUST_200600_302600_NS16reverse_iteratorIPKiEESD_NSA_IPiEEiN6hipcub16HIPCUB_304000_NS3MaxENSH_8EqualityEiEE10hipError_tPvRmT2_T3_T4_T5_mT6_T7_P12ihipStream_tbENKUlT_T0_E_clISt17integral_constantIbLb0EESZ_IbLb1EEEEDaSV_SW_EUlSV_E_NS1_11comp_targetILNS1_3genE5ELNS1_11target_archE942ELNS1_3gpuE9ELNS1_3repE0EEENS1_30default_config_static_selectorELNS0_4arch9wavefront6targetE1EEEvT1_
		.amdhsa_group_segment_fixed_size 25600
		.amdhsa_private_segment_fixed_size 0
		.amdhsa_kernarg_size 112
		.amdhsa_user_sgpr_count 2
		.amdhsa_user_sgpr_dispatch_ptr 0
		.amdhsa_user_sgpr_queue_ptr 0
		.amdhsa_user_sgpr_kernarg_segment_ptr 1
		.amdhsa_user_sgpr_dispatch_id 0
		.amdhsa_user_sgpr_kernarg_preload_length 0
		.amdhsa_user_sgpr_kernarg_preload_offset 0
		.amdhsa_user_sgpr_private_segment_size 0
		.amdhsa_uses_dynamic_stack 0
		.amdhsa_enable_private_segment 0
		.amdhsa_system_sgpr_workgroup_id_x 1
		.amdhsa_system_sgpr_workgroup_id_y 0
		.amdhsa_system_sgpr_workgroup_id_z 0
		.amdhsa_system_sgpr_workgroup_info 0
		.amdhsa_system_vgpr_workitem_id 0
		.amdhsa_next_free_vgpr 81
		.amdhsa_next_free_sgpr 85
		.amdhsa_accum_offset 84
		.amdhsa_reserve_vcc 1
		.amdhsa_float_round_mode_32 0
		.amdhsa_float_round_mode_16_64 0
		.amdhsa_float_denorm_mode_32 3
		.amdhsa_float_denorm_mode_16_64 3
		.amdhsa_dx10_clamp 1
		.amdhsa_ieee_mode 1
		.amdhsa_fp16_overflow 0
		.amdhsa_tg_split 0
		.amdhsa_exception_fp_ieee_invalid_op 0
		.amdhsa_exception_fp_denorm_src 0
		.amdhsa_exception_fp_ieee_div_zero 0
		.amdhsa_exception_fp_ieee_overflow 0
		.amdhsa_exception_fp_ieee_underflow 0
		.amdhsa_exception_fp_ieee_inexact 0
		.amdhsa_exception_int_div_zero 0
	.end_amdhsa_kernel
	.section	.text._ZN7rocprim17ROCPRIM_400000_NS6detail17trampoline_kernelINS0_14default_configENS1_27scan_by_key_config_selectorIiiEEZZNS1_16scan_by_key_implILNS1_25lookback_scan_determinismE0ELb0ES3_N6thrust23THRUST_200600_302600_NS16reverse_iteratorIPKiEESD_NSA_IPiEEiN6hipcub16HIPCUB_304000_NS3MaxENSH_8EqualityEiEE10hipError_tPvRmT2_T3_T4_T5_mT6_T7_P12ihipStream_tbENKUlT_T0_E_clISt17integral_constantIbLb0EESZ_IbLb1EEEEDaSV_SW_EUlSV_E_NS1_11comp_targetILNS1_3genE5ELNS1_11target_archE942ELNS1_3gpuE9ELNS1_3repE0EEENS1_30default_config_static_selectorELNS0_4arch9wavefront6targetE1EEEvT1_,"axG",@progbits,_ZN7rocprim17ROCPRIM_400000_NS6detail17trampoline_kernelINS0_14default_configENS1_27scan_by_key_config_selectorIiiEEZZNS1_16scan_by_key_implILNS1_25lookback_scan_determinismE0ELb0ES3_N6thrust23THRUST_200600_302600_NS16reverse_iteratorIPKiEESD_NSA_IPiEEiN6hipcub16HIPCUB_304000_NS3MaxENSH_8EqualityEiEE10hipError_tPvRmT2_T3_T4_T5_mT6_T7_P12ihipStream_tbENKUlT_T0_E_clISt17integral_constantIbLb0EESZ_IbLb1EEEEDaSV_SW_EUlSV_E_NS1_11comp_targetILNS1_3genE5ELNS1_11target_archE942ELNS1_3gpuE9ELNS1_3repE0EEENS1_30default_config_static_selectorELNS0_4arch9wavefront6targetE1EEEvT1_,comdat
.Lfunc_end85:
	.size	_ZN7rocprim17ROCPRIM_400000_NS6detail17trampoline_kernelINS0_14default_configENS1_27scan_by_key_config_selectorIiiEEZZNS1_16scan_by_key_implILNS1_25lookback_scan_determinismE0ELb0ES3_N6thrust23THRUST_200600_302600_NS16reverse_iteratorIPKiEESD_NSA_IPiEEiN6hipcub16HIPCUB_304000_NS3MaxENSH_8EqualityEiEE10hipError_tPvRmT2_T3_T4_T5_mT6_T7_P12ihipStream_tbENKUlT_T0_E_clISt17integral_constantIbLb0EESZ_IbLb1EEEEDaSV_SW_EUlSV_E_NS1_11comp_targetILNS1_3genE5ELNS1_11target_archE942ELNS1_3gpuE9ELNS1_3repE0EEENS1_30default_config_static_selectorELNS0_4arch9wavefront6targetE1EEEvT1_, .Lfunc_end85-_ZN7rocprim17ROCPRIM_400000_NS6detail17trampoline_kernelINS0_14default_configENS1_27scan_by_key_config_selectorIiiEEZZNS1_16scan_by_key_implILNS1_25lookback_scan_determinismE0ELb0ES3_N6thrust23THRUST_200600_302600_NS16reverse_iteratorIPKiEESD_NSA_IPiEEiN6hipcub16HIPCUB_304000_NS3MaxENSH_8EqualityEiEE10hipError_tPvRmT2_T3_T4_T5_mT6_T7_P12ihipStream_tbENKUlT_T0_E_clISt17integral_constantIbLb0EESZ_IbLb1EEEEDaSV_SW_EUlSV_E_NS1_11comp_targetILNS1_3genE5ELNS1_11target_archE942ELNS1_3gpuE9ELNS1_3repE0EEENS1_30default_config_static_selectorELNS0_4arch9wavefront6targetE1EEEvT1_
                                        ; -- End function
	.section	.AMDGPU.csdata,"",@progbits
; Kernel info:
; codeLenInByte = 16264
; NumSgprs: 91
; NumVgprs: 81
; NumAgprs: 0
; TotalNumVgprs: 81
; ScratchSize: 0
; MemoryBound: 0
; FloatMode: 240
; IeeeMode: 1
; LDSByteSize: 25600 bytes/workgroup (compile time only)
; SGPRBlocks: 11
; VGPRBlocks: 10
; NumSGPRsForWavesPerEU: 91
; NumVGPRsForWavesPerEU: 81
; AccumOffset: 84
; Occupancy: 2
; WaveLimiterHint : 1
; COMPUTE_PGM_RSRC2:SCRATCH_EN: 0
; COMPUTE_PGM_RSRC2:USER_SGPR: 2
; COMPUTE_PGM_RSRC2:TRAP_HANDLER: 0
; COMPUTE_PGM_RSRC2:TGID_X_EN: 1
; COMPUTE_PGM_RSRC2:TGID_Y_EN: 0
; COMPUTE_PGM_RSRC2:TGID_Z_EN: 0
; COMPUTE_PGM_RSRC2:TIDIG_COMP_CNT: 0
; COMPUTE_PGM_RSRC3_GFX90A:ACCUM_OFFSET: 20
; COMPUTE_PGM_RSRC3_GFX90A:TG_SPLIT: 0
	.section	.text._ZN7rocprim17ROCPRIM_400000_NS6detail17trampoline_kernelINS0_14default_configENS1_27scan_by_key_config_selectorIiiEEZZNS1_16scan_by_key_implILNS1_25lookback_scan_determinismE0ELb0ES3_N6thrust23THRUST_200600_302600_NS16reverse_iteratorIPKiEESD_NSA_IPiEEiN6hipcub16HIPCUB_304000_NS3MaxENSH_8EqualityEiEE10hipError_tPvRmT2_T3_T4_T5_mT6_T7_P12ihipStream_tbENKUlT_T0_E_clISt17integral_constantIbLb0EESZ_IbLb1EEEEDaSV_SW_EUlSV_E_NS1_11comp_targetILNS1_3genE4ELNS1_11target_archE910ELNS1_3gpuE8ELNS1_3repE0EEENS1_30default_config_static_selectorELNS0_4arch9wavefront6targetE1EEEvT1_,"axG",@progbits,_ZN7rocprim17ROCPRIM_400000_NS6detail17trampoline_kernelINS0_14default_configENS1_27scan_by_key_config_selectorIiiEEZZNS1_16scan_by_key_implILNS1_25lookback_scan_determinismE0ELb0ES3_N6thrust23THRUST_200600_302600_NS16reverse_iteratorIPKiEESD_NSA_IPiEEiN6hipcub16HIPCUB_304000_NS3MaxENSH_8EqualityEiEE10hipError_tPvRmT2_T3_T4_T5_mT6_T7_P12ihipStream_tbENKUlT_T0_E_clISt17integral_constantIbLb0EESZ_IbLb1EEEEDaSV_SW_EUlSV_E_NS1_11comp_targetILNS1_3genE4ELNS1_11target_archE910ELNS1_3gpuE8ELNS1_3repE0EEENS1_30default_config_static_selectorELNS0_4arch9wavefront6targetE1EEEvT1_,comdat
	.protected	_ZN7rocprim17ROCPRIM_400000_NS6detail17trampoline_kernelINS0_14default_configENS1_27scan_by_key_config_selectorIiiEEZZNS1_16scan_by_key_implILNS1_25lookback_scan_determinismE0ELb0ES3_N6thrust23THRUST_200600_302600_NS16reverse_iteratorIPKiEESD_NSA_IPiEEiN6hipcub16HIPCUB_304000_NS3MaxENSH_8EqualityEiEE10hipError_tPvRmT2_T3_T4_T5_mT6_T7_P12ihipStream_tbENKUlT_T0_E_clISt17integral_constantIbLb0EESZ_IbLb1EEEEDaSV_SW_EUlSV_E_NS1_11comp_targetILNS1_3genE4ELNS1_11target_archE910ELNS1_3gpuE8ELNS1_3repE0EEENS1_30default_config_static_selectorELNS0_4arch9wavefront6targetE1EEEvT1_ ; -- Begin function _ZN7rocprim17ROCPRIM_400000_NS6detail17trampoline_kernelINS0_14default_configENS1_27scan_by_key_config_selectorIiiEEZZNS1_16scan_by_key_implILNS1_25lookback_scan_determinismE0ELb0ES3_N6thrust23THRUST_200600_302600_NS16reverse_iteratorIPKiEESD_NSA_IPiEEiN6hipcub16HIPCUB_304000_NS3MaxENSH_8EqualityEiEE10hipError_tPvRmT2_T3_T4_T5_mT6_T7_P12ihipStream_tbENKUlT_T0_E_clISt17integral_constantIbLb0EESZ_IbLb1EEEEDaSV_SW_EUlSV_E_NS1_11comp_targetILNS1_3genE4ELNS1_11target_archE910ELNS1_3gpuE8ELNS1_3repE0EEENS1_30default_config_static_selectorELNS0_4arch9wavefront6targetE1EEEvT1_
	.globl	_ZN7rocprim17ROCPRIM_400000_NS6detail17trampoline_kernelINS0_14default_configENS1_27scan_by_key_config_selectorIiiEEZZNS1_16scan_by_key_implILNS1_25lookback_scan_determinismE0ELb0ES3_N6thrust23THRUST_200600_302600_NS16reverse_iteratorIPKiEESD_NSA_IPiEEiN6hipcub16HIPCUB_304000_NS3MaxENSH_8EqualityEiEE10hipError_tPvRmT2_T3_T4_T5_mT6_T7_P12ihipStream_tbENKUlT_T0_E_clISt17integral_constantIbLb0EESZ_IbLb1EEEEDaSV_SW_EUlSV_E_NS1_11comp_targetILNS1_3genE4ELNS1_11target_archE910ELNS1_3gpuE8ELNS1_3repE0EEENS1_30default_config_static_selectorELNS0_4arch9wavefront6targetE1EEEvT1_
	.p2align	8
	.type	_ZN7rocprim17ROCPRIM_400000_NS6detail17trampoline_kernelINS0_14default_configENS1_27scan_by_key_config_selectorIiiEEZZNS1_16scan_by_key_implILNS1_25lookback_scan_determinismE0ELb0ES3_N6thrust23THRUST_200600_302600_NS16reverse_iteratorIPKiEESD_NSA_IPiEEiN6hipcub16HIPCUB_304000_NS3MaxENSH_8EqualityEiEE10hipError_tPvRmT2_T3_T4_T5_mT6_T7_P12ihipStream_tbENKUlT_T0_E_clISt17integral_constantIbLb0EESZ_IbLb1EEEEDaSV_SW_EUlSV_E_NS1_11comp_targetILNS1_3genE4ELNS1_11target_archE910ELNS1_3gpuE8ELNS1_3repE0EEENS1_30default_config_static_selectorELNS0_4arch9wavefront6targetE1EEEvT1_,@function
_ZN7rocprim17ROCPRIM_400000_NS6detail17trampoline_kernelINS0_14default_configENS1_27scan_by_key_config_selectorIiiEEZZNS1_16scan_by_key_implILNS1_25lookback_scan_determinismE0ELb0ES3_N6thrust23THRUST_200600_302600_NS16reverse_iteratorIPKiEESD_NSA_IPiEEiN6hipcub16HIPCUB_304000_NS3MaxENSH_8EqualityEiEE10hipError_tPvRmT2_T3_T4_T5_mT6_T7_P12ihipStream_tbENKUlT_T0_E_clISt17integral_constantIbLb0EESZ_IbLb1EEEEDaSV_SW_EUlSV_E_NS1_11comp_targetILNS1_3genE4ELNS1_11target_archE910ELNS1_3gpuE8ELNS1_3repE0EEENS1_30default_config_static_selectorELNS0_4arch9wavefront6targetE1EEEvT1_: ; @_ZN7rocprim17ROCPRIM_400000_NS6detail17trampoline_kernelINS0_14default_configENS1_27scan_by_key_config_selectorIiiEEZZNS1_16scan_by_key_implILNS1_25lookback_scan_determinismE0ELb0ES3_N6thrust23THRUST_200600_302600_NS16reverse_iteratorIPKiEESD_NSA_IPiEEiN6hipcub16HIPCUB_304000_NS3MaxENSH_8EqualityEiEE10hipError_tPvRmT2_T3_T4_T5_mT6_T7_P12ihipStream_tbENKUlT_T0_E_clISt17integral_constantIbLb0EESZ_IbLb1EEEEDaSV_SW_EUlSV_E_NS1_11comp_targetILNS1_3genE4ELNS1_11target_archE910ELNS1_3gpuE8ELNS1_3repE0EEENS1_30default_config_static_selectorELNS0_4arch9wavefront6targetE1EEEvT1_
; %bb.0:
	.section	.rodata,"a",@progbits
	.p2align	6, 0x0
	.amdhsa_kernel _ZN7rocprim17ROCPRIM_400000_NS6detail17trampoline_kernelINS0_14default_configENS1_27scan_by_key_config_selectorIiiEEZZNS1_16scan_by_key_implILNS1_25lookback_scan_determinismE0ELb0ES3_N6thrust23THRUST_200600_302600_NS16reverse_iteratorIPKiEESD_NSA_IPiEEiN6hipcub16HIPCUB_304000_NS3MaxENSH_8EqualityEiEE10hipError_tPvRmT2_T3_T4_T5_mT6_T7_P12ihipStream_tbENKUlT_T0_E_clISt17integral_constantIbLb0EESZ_IbLb1EEEEDaSV_SW_EUlSV_E_NS1_11comp_targetILNS1_3genE4ELNS1_11target_archE910ELNS1_3gpuE8ELNS1_3repE0EEENS1_30default_config_static_selectorELNS0_4arch9wavefront6targetE1EEEvT1_
		.amdhsa_group_segment_fixed_size 0
		.amdhsa_private_segment_fixed_size 0
		.amdhsa_kernarg_size 112
		.amdhsa_user_sgpr_count 2
		.amdhsa_user_sgpr_dispatch_ptr 0
		.amdhsa_user_sgpr_queue_ptr 0
		.amdhsa_user_sgpr_kernarg_segment_ptr 1
		.amdhsa_user_sgpr_dispatch_id 0
		.amdhsa_user_sgpr_kernarg_preload_length 0
		.amdhsa_user_sgpr_kernarg_preload_offset 0
		.amdhsa_user_sgpr_private_segment_size 0
		.amdhsa_uses_dynamic_stack 0
		.amdhsa_enable_private_segment 0
		.amdhsa_system_sgpr_workgroup_id_x 1
		.amdhsa_system_sgpr_workgroup_id_y 0
		.amdhsa_system_sgpr_workgroup_id_z 0
		.amdhsa_system_sgpr_workgroup_info 0
		.amdhsa_system_vgpr_workitem_id 0
		.amdhsa_next_free_vgpr 1
		.amdhsa_next_free_sgpr 0
		.amdhsa_accum_offset 4
		.amdhsa_reserve_vcc 0
		.amdhsa_float_round_mode_32 0
		.amdhsa_float_round_mode_16_64 0
		.amdhsa_float_denorm_mode_32 3
		.amdhsa_float_denorm_mode_16_64 3
		.amdhsa_dx10_clamp 1
		.amdhsa_ieee_mode 1
		.amdhsa_fp16_overflow 0
		.amdhsa_tg_split 0
		.amdhsa_exception_fp_ieee_invalid_op 0
		.amdhsa_exception_fp_denorm_src 0
		.amdhsa_exception_fp_ieee_div_zero 0
		.amdhsa_exception_fp_ieee_overflow 0
		.amdhsa_exception_fp_ieee_underflow 0
		.amdhsa_exception_fp_ieee_inexact 0
		.amdhsa_exception_int_div_zero 0
	.end_amdhsa_kernel
	.section	.text._ZN7rocprim17ROCPRIM_400000_NS6detail17trampoline_kernelINS0_14default_configENS1_27scan_by_key_config_selectorIiiEEZZNS1_16scan_by_key_implILNS1_25lookback_scan_determinismE0ELb0ES3_N6thrust23THRUST_200600_302600_NS16reverse_iteratorIPKiEESD_NSA_IPiEEiN6hipcub16HIPCUB_304000_NS3MaxENSH_8EqualityEiEE10hipError_tPvRmT2_T3_T4_T5_mT6_T7_P12ihipStream_tbENKUlT_T0_E_clISt17integral_constantIbLb0EESZ_IbLb1EEEEDaSV_SW_EUlSV_E_NS1_11comp_targetILNS1_3genE4ELNS1_11target_archE910ELNS1_3gpuE8ELNS1_3repE0EEENS1_30default_config_static_selectorELNS0_4arch9wavefront6targetE1EEEvT1_,"axG",@progbits,_ZN7rocprim17ROCPRIM_400000_NS6detail17trampoline_kernelINS0_14default_configENS1_27scan_by_key_config_selectorIiiEEZZNS1_16scan_by_key_implILNS1_25lookback_scan_determinismE0ELb0ES3_N6thrust23THRUST_200600_302600_NS16reverse_iteratorIPKiEESD_NSA_IPiEEiN6hipcub16HIPCUB_304000_NS3MaxENSH_8EqualityEiEE10hipError_tPvRmT2_T3_T4_T5_mT6_T7_P12ihipStream_tbENKUlT_T0_E_clISt17integral_constantIbLb0EESZ_IbLb1EEEEDaSV_SW_EUlSV_E_NS1_11comp_targetILNS1_3genE4ELNS1_11target_archE910ELNS1_3gpuE8ELNS1_3repE0EEENS1_30default_config_static_selectorELNS0_4arch9wavefront6targetE1EEEvT1_,comdat
.Lfunc_end86:
	.size	_ZN7rocprim17ROCPRIM_400000_NS6detail17trampoline_kernelINS0_14default_configENS1_27scan_by_key_config_selectorIiiEEZZNS1_16scan_by_key_implILNS1_25lookback_scan_determinismE0ELb0ES3_N6thrust23THRUST_200600_302600_NS16reverse_iteratorIPKiEESD_NSA_IPiEEiN6hipcub16HIPCUB_304000_NS3MaxENSH_8EqualityEiEE10hipError_tPvRmT2_T3_T4_T5_mT6_T7_P12ihipStream_tbENKUlT_T0_E_clISt17integral_constantIbLb0EESZ_IbLb1EEEEDaSV_SW_EUlSV_E_NS1_11comp_targetILNS1_3genE4ELNS1_11target_archE910ELNS1_3gpuE8ELNS1_3repE0EEENS1_30default_config_static_selectorELNS0_4arch9wavefront6targetE1EEEvT1_, .Lfunc_end86-_ZN7rocprim17ROCPRIM_400000_NS6detail17trampoline_kernelINS0_14default_configENS1_27scan_by_key_config_selectorIiiEEZZNS1_16scan_by_key_implILNS1_25lookback_scan_determinismE0ELb0ES3_N6thrust23THRUST_200600_302600_NS16reverse_iteratorIPKiEESD_NSA_IPiEEiN6hipcub16HIPCUB_304000_NS3MaxENSH_8EqualityEiEE10hipError_tPvRmT2_T3_T4_T5_mT6_T7_P12ihipStream_tbENKUlT_T0_E_clISt17integral_constantIbLb0EESZ_IbLb1EEEEDaSV_SW_EUlSV_E_NS1_11comp_targetILNS1_3genE4ELNS1_11target_archE910ELNS1_3gpuE8ELNS1_3repE0EEENS1_30default_config_static_selectorELNS0_4arch9wavefront6targetE1EEEvT1_
                                        ; -- End function
	.section	.AMDGPU.csdata,"",@progbits
; Kernel info:
; codeLenInByte = 0
; NumSgprs: 6
; NumVgprs: 0
; NumAgprs: 0
; TotalNumVgprs: 0
; ScratchSize: 0
; MemoryBound: 0
; FloatMode: 240
; IeeeMode: 1
; LDSByteSize: 0 bytes/workgroup (compile time only)
; SGPRBlocks: 0
; VGPRBlocks: 0
; NumSGPRsForWavesPerEU: 6
; NumVGPRsForWavesPerEU: 1
; AccumOffset: 4
; Occupancy: 8
; WaveLimiterHint : 0
; COMPUTE_PGM_RSRC2:SCRATCH_EN: 0
; COMPUTE_PGM_RSRC2:USER_SGPR: 2
; COMPUTE_PGM_RSRC2:TRAP_HANDLER: 0
; COMPUTE_PGM_RSRC2:TGID_X_EN: 1
; COMPUTE_PGM_RSRC2:TGID_Y_EN: 0
; COMPUTE_PGM_RSRC2:TGID_Z_EN: 0
; COMPUTE_PGM_RSRC2:TIDIG_COMP_CNT: 0
; COMPUTE_PGM_RSRC3_GFX90A:ACCUM_OFFSET: 0
; COMPUTE_PGM_RSRC3_GFX90A:TG_SPLIT: 0
	.section	.text._ZN7rocprim17ROCPRIM_400000_NS6detail17trampoline_kernelINS0_14default_configENS1_27scan_by_key_config_selectorIiiEEZZNS1_16scan_by_key_implILNS1_25lookback_scan_determinismE0ELb0ES3_N6thrust23THRUST_200600_302600_NS16reverse_iteratorIPKiEESD_NSA_IPiEEiN6hipcub16HIPCUB_304000_NS3MaxENSH_8EqualityEiEE10hipError_tPvRmT2_T3_T4_T5_mT6_T7_P12ihipStream_tbENKUlT_T0_E_clISt17integral_constantIbLb0EESZ_IbLb1EEEEDaSV_SW_EUlSV_E_NS1_11comp_targetILNS1_3genE3ELNS1_11target_archE908ELNS1_3gpuE7ELNS1_3repE0EEENS1_30default_config_static_selectorELNS0_4arch9wavefront6targetE1EEEvT1_,"axG",@progbits,_ZN7rocprim17ROCPRIM_400000_NS6detail17trampoline_kernelINS0_14default_configENS1_27scan_by_key_config_selectorIiiEEZZNS1_16scan_by_key_implILNS1_25lookback_scan_determinismE0ELb0ES3_N6thrust23THRUST_200600_302600_NS16reverse_iteratorIPKiEESD_NSA_IPiEEiN6hipcub16HIPCUB_304000_NS3MaxENSH_8EqualityEiEE10hipError_tPvRmT2_T3_T4_T5_mT6_T7_P12ihipStream_tbENKUlT_T0_E_clISt17integral_constantIbLb0EESZ_IbLb1EEEEDaSV_SW_EUlSV_E_NS1_11comp_targetILNS1_3genE3ELNS1_11target_archE908ELNS1_3gpuE7ELNS1_3repE0EEENS1_30default_config_static_selectorELNS0_4arch9wavefront6targetE1EEEvT1_,comdat
	.protected	_ZN7rocprim17ROCPRIM_400000_NS6detail17trampoline_kernelINS0_14default_configENS1_27scan_by_key_config_selectorIiiEEZZNS1_16scan_by_key_implILNS1_25lookback_scan_determinismE0ELb0ES3_N6thrust23THRUST_200600_302600_NS16reverse_iteratorIPKiEESD_NSA_IPiEEiN6hipcub16HIPCUB_304000_NS3MaxENSH_8EqualityEiEE10hipError_tPvRmT2_T3_T4_T5_mT6_T7_P12ihipStream_tbENKUlT_T0_E_clISt17integral_constantIbLb0EESZ_IbLb1EEEEDaSV_SW_EUlSV_E_NS1_11comp_targetILNS1_3genE3ELNS1_11target_archE908ELNS1_3gpuE7ELNS1_3repE0EEENS1_30default_config_static_selectorELNS0_4arch9wavefront6targetE1EEEvT1_ ; -- Begin function _ZN7rocprim17ROCPRIM_400000_NS6detail17trampoline_kernelINS0_14default_configENS1_27scan_by_key_config_selectorIiiEEZZNS1_16scan_by_key_implILNS1_25lookback_scan_determinismE0ELb0ES3_N6thrust23THRUST_200600_302600_NS16reverse_iteratorIPKiEESD_NSA_IPiEEiN6hipcub16HIPCUB_304000_NS3MaxENSH_8EqualityEiEE10hipError_tPvRmT2_T3_T4_T5_mT6_T7_P12ihipStream_tbENKUlT_T0_E_clISt17integral_constantIbLb0EESZ_IbLb1EEEEDaSV_SW_EUlSV_E_NS1_11comp_targetILNS1_3genE3ELNS1_11target_archE908ELNS1_3gpuE7ELNS1_3repE0EEENS1_30default_config_static_selectorELNS0_4arch9wavefront6targetE1EEEvT1_
	.globl	_ZN7rocprim17ROCPRIM_400000_NS6detail17trampoline_kernelINS0_14default_configENS1_27scan_by_key_config_selectorIiiEEZZNS1_16scan_by_key_implILNS1_25lookback_scan_determinismE0ELb0ES3_N6thrust23THRUST_200600_302600_NS16reverse_iteratorIPKiEESD_NSA_IPiEEiN6hipcub16HIPCUB_304000_NS3MaxENSH_8EqualityEiEE10hipError_tPvRmT2_T3_T4_T5_mT6_T7_P12ihipStream_tbENKUlT_T0_E_clISt17integral_constantIbLb0EESZ_IbLb1EEEEDaSV_SW_EUlSV_E_NS1_11comp_targetILNS1_3genE3ELNS1_11target_archE908ELNS1_3gpuE7ELNS1_3repE0EEENS1_30default_config_static_selectorELNS0_4arch9wavefront6targetE1EEEvT1_
	.p2align	8
	.type	_ZN7rocprim17ROCPRIM_400000_NS6detail17trampoline_kernelINS0_14default_configENS1_27scan_by_key_config_selectorIiiEEZZNS1_16scan_by_key_implILNS1_25lookback_scan_determinismE0ELb0ES3_N6thrust23THRUST_200600_302600_NS16reverse_iteratorIPKiEESD_NSA_IPiEEiN6hipcub16HIPCUB_304000_NS3MaxENSH_8EqualityEiEE10hipError_tPvRmT2_T3_T4_T5_mT6_T7_P12ihipStream_tbENKUlT_T0_E_clISt17integral_constantIbLb0EESZ_IbLb1EEEEDaSV_SW_EUlSV_E_NS1_11comp_targetILNS1_3genE3ELNS1_11target_archE908ELNS1_3gpuE7ELNS1_3repE0EEENS1_30default_config_static_selectorELNS0_4arch9wavefront6targetE1EEEvT1_,@function
_ZN7rocprim17ROCPRIM_400000_NS6detail17trampoline_kernelINS0_14default_configENS1_27scan_by_key_config_selectorIiiEEZZNS1_16scan_by_key_implILNS1_25lookback_scan_determinismE0ELb0ES3_N6thrust23THRUST_200600_302600_NS16reverse_iteratorIPKiEESD_NSA_IPiEEiN6hipcub16HIPCUB_304000_NS3MaxENSH_8EqualityEiEE10hipError_tPvRmT2_T3_T4_T5_mT6_T7_P12ihipStream_tbENKUlT_T0_E_clISt17integral_constantIbLb0EESZ_IbLb1EEEEDaSV_SW_EUlSV_E_NS1_11comp_targetILNS1_3genE3ELNS1_11target_archE908ELNS1_3gpuE7ELNS1_3repE0EEENS1_30default_config_static_selectorELNS0_4arch9wavefront6targetE1EEEvT1_: ; @_ZN7rocprim17ROCPRIM_400000_NS6detail17trampoline_kernelINS0_14default_configENS1_27scan_by_key_config_selectorIiiEEZZNS1_16scan_by_key_implILNS1_25lookback_scan_determinismE0ELb0ES3_N6thrust23THRUST_200600_302600_NS16reverse_iteratorIPKiEESD_NSA_IPiEEiN6hipcub16HIPCUB_304000_NS3MaxENSH_8EqualityEiEE10hipError_tPvRmT2_T3_T4_T5_mT6_T7_P12ihipStream_tbENKUlT_T0_E_clISt17integral_constantIbLb0EESZ_IbLb1EEEEDaSV_SW_EUlSV_E_NS1_11comp_targetILNS1_3genE3ELNS1_11target_archE908ELNS1_3gpuE7ELNS1_3repE0EEENS1_30default_config_static_selectorELNS0_4arch9wavefront6targetE1EEEvT1_
; %bb.0:
	.section	.rodata,"a",@progbits
	.p2align	6, 0x0
	.amdhsa_kernel _ZN7rocprim17ROCPRIM_400000_NS6detail17trampoline_kernelINS0_14default_configENS1_27scan_by_key_config_selectorIiiEEZZNS1_16scan_by_key_implILNS1_25lookback_scan_determinismE0ELb0ES3_N6thrust23THRUST_200600_302600_NS16reverse_iteratorIPKiEESD_NSA_IPiEEiN6hipcub16HIPCUB_304000_NS3MaxENSH_8EqualityEiEE10hipError_tPvRmT2_T3_T4_T5_mT6_T7_P12ihipStream_tbENKUlT_T0_E_clISt17integral_constantIbLb0EESZ_IbLb1EEEEDaSV_SW_EUlSV_E_NS1_11comp_targetILNS1_3genE3ELNS1_11target_archE908ELNS1_3gpuE7ELNS1_3repE0EEENS1_30default_config_static_selectorELNS0_4arch9wavefront6targetE1EEEvT1_
		.amdhsa_group_segment_fixed_size 0
		.amdhsa_private_segment_fixed_size 0
		.amdhsa_kernarg_size 112
		.amdhsa_user_sgpr_count 2
		.amdhsa_user_sgpr_dispatch_ptr 0
		.amdhsa_user_sgpr_queue_ptr 0
		.amdhsa_user_sgpr_kernarg_segment_ptr 1
		.amdhsa_user_sgpr_dispatch_id 0
		.amdhsa_user_sgpr_kernarg_preload_length 0
		.amdhsa_user_sgpr_kernarg_preload_offset 0
		.amdhsa_user_sgpr_private_segment_size 0
		.amdhsa_uses_dynamic_stack 0
		.amdhsa_enable_private_segment 0
		.amdhsa_system_sgpr_workgroup_id_x 1
		.amdhsa_system_sgpr_workgroup_id_y 0
		.amdhsa_system_sgpr_workgroup_id_z 0
		.amdhsa_system_sgpr_workgroup_info 0
		.amdhsa_system_vgpr_workitem_id 0
		.amdhsa_next_free_vgpr 1
		.amdhsa_next_free_sgpr 0
		.amdhsa_accum_offset 4
		.amdhsa_reserve_vcc 0
		.amdhsa_float_round_mode_32 0
		.amdhsa_float_round_mode_16_64 0
		.amdhsa_float_denorm_mode_32 3
		.amdhsa_float_denorm_mode_16_64 3
		.amdhsa_dx10_clamp 1
		.amdhsa_ieee_mode 1
		.amdhsa_fp16_overflow 0
		.amdhsa_tg_split 0
		.amdhsa_exception_fp_ieee_invalid_op 0
		.amdhsa_exception_fp_denorm_src 0
		.amdhsa_exception_fp_ieee_div_zero 0
		.amdhsa_exception_fp_ieee_overflow 0
		.amdhsa_exception_fp_ieee_underflow 0
		.amdhsa_exception_fp_ieee_inexact 0
		.amdhsa_exception_int_div_zero 0
	.end_amdhsa_kernel
	.section	.text._ZN7rocprim17ROCPRIM_400000_NS6detail17trampoline_kernelINS0_14default_configENS1_27scan_by_key_config_selectorIiiEEZZNS1_16scan_by_key_implILNS1_25lookback_scan_determinismE0ELb0ES3_N6thrust23THRUST_200600_302600_NS16reverse_iteratorIPKiEESD_NSA_IPiEEiN6hipcub16HIPCUB_304000_NS3MaxENSH_8EqualityEiEE10hipError_tPvRmT2_T3_T4_T5_mT6_T7_P12ihipStream_tbENKUlT_T0_E_clISt17integral_constantIbLb0EESZ_IbLb1EEEEDaSV_SW_EUlSV_E_NS1_11comp_targetILNS1_3genE3ELNS1_11target_archE908ELNS1_3gpuE7ELNS1_3repE0EEENS1_30default_config_static_selectorELNS0_4arch9wavefront6targetE1EEEvT1_,"axG",@progbits,_ZN7rocprim17ROCPRIM_400000_NS6detail17trampoline_kernelINS0_14default_configENS1_27scan_by_key_config_selectorIiiEEZZNS1_16scan_by_key_implILNS1_25lookback_scan_determinismE0ELb0ES3_N6thrust23THRUST_200600_302600_NS16reverse_iteratorIPKiEESD_NSA_IPiEEiN6hipcub16HIPCUB_304000_NS3MaxENSH_8EqualityEiEE10hipError_tPvRmT2_T3_T4_T5_mT6_T7_P12ihipStream_tbENKUlT_T0_E_clISt17integral_constantIbLb0EESZ_IbLb1EEEEDaSV_SW_EUlSV_E_NS1_11comp_targetILNS1_3genE3ELNS1_11target_archE908ELNS1_3gpuE7ELNS1_3repE0EEENS1_30default_config_static_selectorELNS0_4arch9wavefront6targetE1EEEvT1_,comdat
.Lfunc_end87:
	.size	_ZN7rocprim17ROCPRIM_400000_NS6detail17trampoline_kernelINS0_14default_configENS1_27scan_by_key_config_selectorIiiEEZZNS1_16scan_by_key_implILNS1_25lookback_scan_determinismE0ELb0ES3_N6thrust23THRUST_200600_302600_NS16reverse_iteratorIPKiEESD_NSA_IPiEEiN6hipcub16HIPCUB_304000_NS3MaxENSH_8EqualityEiEE10hipError_tPvRmT2_T3_T4_T5_mT6_T7_P12ihipStream_tbENKUlT_T0_E_clISt17integral_constantIbLb0EESZ_IbLb1EEEEDaSV_SW_EUlSV_E_NS1_11comp_targetILNS1_3genE3ELNS1_11target_archE908ELNS1_3gpuE7ELNS1_3repE0EEENS1_30default_config_static_selectorELNS0_4arch9wavefront6targetE1EEEvT1_, .Lfunc_end87-_ZN7rocprim17ROCPRIM_400000_NS6detail17trampoline_kernelINS0_14default_configENS1_27scan_by_key_config_selectorIiiEEZZNS1_16scan_by_key_implILNS1_25lookback_scan_determinismE0ELb0ES3_N6thrust23THRUST_200600_302600_NS16reverse_iteratorIPKiEESD_NSA_IPiEEiN6hipcub16HIPCUB_304000_NS3MaxENSH_8EqualityEiEE10hipError_tPvRmT2_T3_T4_T5_mT6_T7_P12ihipStream_tbENKUlT_T0_E_clISt17integral_constantIbLb0EESZ_IbLb1EEEEDaSV_SW_EUlSV_E_NS1_11comp_targetILNS1_3genE3ELNS1_11target_archE908ELNS1_3gpuE7ELNS1_3repE0EEENS1_30default_config_static_selectorELNS0_4arch9wavefront6targetE1EEEvT1_
                                        ; -- End function
	.section	.AMDGPU.csdata,"",@progbits
; Kernel info:
; codeLenInByte = 0
; NumSgprs: 6
; NumVgprs: 0
; NumAgprs: 0
; TotalNumVgprs: 0
; ScratchSize: 0
; MemoryBound: 0
; FloatMode: 240
; IeeeMode: 1
; LDSByteSize: 0 bytes/workgroup (compile time only)
; SGPRBlocks: 0
; VGPRBlocks: 0
; NumSGPRsForWavesPerEU: 6
; NumVGPRsForWavesPerEU: 1
; AccumOffset: 4
; Occupancy: 8
; WaveLimiterHint : 0
; COMPUTE_PGM_RSRC2:SCRATCH_EN: 0
; COMPUTE_PGM_RSRC2:USER_SGPR: 2
; COMPUTE_PGM_RSRC2:TRAP_HANDLER: 0
; COMPUTE_PGM_RSRC2:TGID_X_EN: 1
; COMPUTE_PGM_RSRC2:TGID_Y_EN: 0
; COMPUTE_PGM_RSRC2:TGID_Z_EN: 0
; COMPUTE_PGM_RSRC2:TIDIG_COMP_CNT: 0
; COMPUTE_PGM_RSRC3_GFX90A:ACCUM_OFFSET: 0
; COMPUTE_PGM_RSRC3_GFX90A:TG_SPLIT: 0
	.section	.text._ZN7rocprim17ROCPRIM_400000_NS6detail17trampoline_kernelINS0_14default_configENS1_27scan_by_key_config_selectorIiiEEZZNS1_16scan_by_key_implILNS1_25lookback_scan_determinismE0ELb0ES3_N6thrust23THRUST_200600_302600_NS16reverse_iteratorIPKiEESD_NSA_IPiEEiN6hipcub16HIPCUB_304000_NS3MaxENSH_8EqualityEiEE10hipError_tPvRmT2_T3_T4_T5_mT6_T7_P12ihipStream_tbENKUlT_T0_E_clISt17integral_constantIbLb0EESZ_IbLb1EEEEDaSV_SW_EUlSV_E_NS1_11comp_targetILNS1_3genE2ELNS1_11target_archE906ELNS1_3gpuE6ELNS1_3repE0EEENS1_30default_config_static_selectorELNS0_4arch9wavefront6targetE1EEEvT1_,"axG",@progbits,_ZN7rocprim17ROCPRIM_400000_NS6detail17trampoline_kernelINS0_14default_configENS1_27scan_by_key_config_selectorIiiEEZZNS1_16scan_by_key_implILNS1_25lookback_scan_determinismE0ELb0ES3_N6thrust23THRUST_200600_302600_NS16reverse_iteratorIPKiEESD_NSA_IPiEEiN6hipcub16HIPCUB_304000_NS3MaxENSH_8EqualityEiEE10hipError_tPvRmT2_T3_T4_T5_mT6_T7_P12ihipStream_tbENKUlT_T0_E_clISt17integral_constantIbLb0EESZ_IbLb1EEEEDaSV_SW_EUlSV_E_NS1_11comp_targetILNS1_3genE2ELNS1_11target_archE906ELNS1_3gpuE6ELNS1_3repE0EEENS1_30default_config_static_selectorELNS0_4arch9wavefront6targetE1EEEvT1_,comdat
	.protected	_ZN7rocprim17ROCPRIM_400000_NS6detail17trampoline_kernelINS0_14default_configENS1_27scan_by_key_config_selectorIiiEEZZNS1_16scan_by_key_implILNS1_25lookback_scan_determinismE0ELb0ES3_N6thrust23THRUST_200600_302600_NS16reverse_iteratorIPKiEESD_NSA_IPiEEiN6hipcub16HIPCUB_304000_NS3MaxENSH_8EqualityEiEE10hipError_tPvRmT2_T3_T4_T5_mT6_T7_P12ihipStream_tbENKUlT_T0_E_clISt17integral_constantIbLb0EESZ_IbLb1EEEEDaSV_SW_EUlSV_E_NS1_11comp_targetILNS1_3genE2ELNS1_11target_archE906ELNS1_3gpuE6ELNS1_3repE0EEENS1_30default_config_static_selectorELNS0_4arch9wavefront6targetE1EEEvT1_ ; -- Begin function _ZN7rocprim17ROCPRIM_400000_NS6detail17trampoline_kernelINS0_14default_configENS1_27scan_by_key_config_selectorIiiEEZZNS1_16scan_by_key_implILNS1_25lookback_scan_determinismE0ELb0ES3_N6thrust23THRUST_200600_302600_NS16reverse_iteratorIPKiEESD_NSA_IPiEEiN6hipcub16HIPCUB_304000_NS3MaxENSH_8EqualityEiEE10hipError_tPvRmT2_T3_T4_T5_mT6_T7_P12ihipStream_tbENKUlT_T0_E_clISt17integral_constantIbLb0EESZ_IbLb1EEEEDaSV_SW_EUlSV_E_NS1_11comp_targetILNS1_3genE2ELNS1_11target_archE906ELNS1_3gpuE6ELNS1_3repE0EEENS1_30default_config_static_selectorELNS0_4arch9wavefront6targetE1EEEvT1_
	.globl	_ZN7rocprim17ROCPRIM_400000_NS6detail17trampoline_kernelINS0_14default_configENS1_27scan_by_key_config_selectorIiiEEZZNS1_16scan_by_key_implILNS1_25lookback_scan_determinismE0ELb0ES3_N6thrust23THRUST_200600_302600_NS16reverse_iteratorIPKiEESD_NSA_IPiEEiN6hipcub16HIPCUB_304000_NS3MaxENSH_8EqualityEiEE10hipError_tPvRmT2_T3_T4_T5_mT6_T7_P12ihipStream_tbENKUlT_T0_E_clISt17integral_constantIbLb0EESZ_IbLb1EEEEDaSV_SW_EUlSV_E_NS1_11comp_targetILNS1_3genE2ELNS1_11target_archE906ELNS1_3gpuE6ELNS1_3repE0EEENS1_30default_config_static_selectorELNS0_4arch9wavefront6targetE1EEEvT1_
	.p2align	8
	.type	_ZN7rocprim17ROCPRIM_400000_NS6detail17trampoline_kernelINS0_14default_configENS1_27scan_by_key_config_selectorIiiEEZZNS1_16scan_by_key_implILNS1_25lookback_scan_determinismE0ELb0ES3_N6thrust23THRUST_200600_302600_NS16reverse_iteratorIPKiEESD_NSA_IPiEEiN6hipcub16HIPCUB_304000_NS3MaxENSH_8EqualityEiEE10hipError_tPvRmT2_T3_T4_T5_mT6_T7_P12ihipStream_tbENKUlT_T0_E_clISt17integral_constantIbLb0EESZ_IbLb1EEEEDaSV_SW_EUlSV_E_NS1_11comp_targetILNS1_3genE2ELNS1_11target_archE906ELNS1_3gpuE6ELNS1_3repE0EEENS1_30default_config_static_selectorELNS0_4arch9wavefront6targetE1EEEvT1_,@function
_ZN7rocprim17ROCPRIM_400000_NS6detail17trampoline_kernelINS0_14default_configENS1_27scan_by_key_config_selectorIiiEEZZNS1_16scan_by_key_implILNS1_25lookback_scan_determinismE0ELb0ES3_N6thrust23THRUST_200600_302600_NS16reverse_iteratorIPKiEESD_NSA_IPiEEiN6hipcub16HIPCUB_304000_NS3MaxENSH_8EqualityEiEE10hipError_tPvRmT2_T3_T4_T5_mT6_T7_P12ihipStream_tbENKUlT_T0_E_clISt17integral_constantIbLb0EESZ_IbLb1EEEEDaSV_SW_EUlSV_E_NS1_11comp_targetILNS1_3genE2ELNS1_11target_archE906ELNS1_3gpuE6ELNS1_3repE0EEENS1_30default_config_static_selectorELNS0_4arch9wavefront6targetE1EEEvT1_: ; @_ZN7rocprim17ROCPRIM_400000_NS6detail17trampoline_kernelINS0_14default_configENS1_27scan_by_key_config_selectorIiiEEZZNS1_16scan_by_key_implILNS1_25lookback_scan_determinismE0ELb0ES3_N6thrust23THRUST_200600_302600_NS16reverse_iteratorIPKiEESD_NSA_IPiEEiN6hipcub16HIPCUB_304000_NS3MaxENSH_8EqualityEiEE10hipError_tPvRmT2_T3_T4_T5_mT6_T7_P12ihipStream_tbENKUlT_T0_E_clISt17integral_constantIbLb0EESZ_IbLb1EEEEDaSV_SW_EUlSV_E_NS1_11comp_targetILNS1_3genE2ELNS1_11target_archE906ELNS1_3gpuE6ELNS1_3repE0EEENS1_30default_config_static_selectorELNS0_4arch9wavefront6targetE1EEEvT1_
; %bb.0:
	.section	.rodata,"a",@progbits
	.p2align	6, 0x0
	.amdhsa_kernel _ZN7rocprim17ROCPRIM_400000_NS6detail17trampoline_kernelINS0_14default_configENS1_27scan_by_key_config_selectorIiiEEZZNS1_16scan_by_key_implILNS1_25lookback_scan_determinismE0ELb0ES3_N6thrust23THRUST_200600_302600_NS16reverse_iteratorIPKiEESD_NSA_IPiEEiN6hipcub16HIPCUB_304000_NS3MaxENSH_8EqualityEiEE10hipError_tPvRmT2_T3_T4_T5_mT6_T7_P12ihipStream_tbENKUlT_T0_E_clISt17integral_constantIbLb0EESZ_IbLb1EEEEDaSV_SW_EUlSV_E_NS1_11comp_targetILNS1_3genE2ELNS1_11target_archE906ELNS1_3gpuE6ELNS1_3repE0EEENS1_30default_config_static_selectorELNS0_4arch9wavefront6targetE1EEEvT1_
		.amdhsa_group_segment_fixed_size 0
		.amdhsa_private_segment_fixed_size 0
		.amdhsa_kernarg_size 112
		.amdhsa_user_sgpr_count 2
		.amdhsa_user_sgpr_dispatch_ptr 0
		.amdhsa_user_sgpr_queue_ptr 0
		.amdhsa_user_sgpr_kernarg_segment_ptr 1
		.amdhsa_user_sgpr_dispatch_id 0
		.amdhsa_user_sgpr_kernarg_preload_length 0
		.amdhsa_user_sgpr_kernarg_preload_offset 0
		.amdhsa_user_sgpr_private_segment_size 0
		.amdhsa_uses_dynamic_stack 0
		.amdhsa_enable_private_segment 0
		.amdhsa_system_sgpr_workgroup_id_x 1
		.amdhsa_system_sgpr_workgroup_id_y 0
		.amdhsa_system_sgpr_workgroup_id_z 0
		.amdhsa_system_sgpr_workgroup_info 0
		.amdhsa_system_vgpr_workitem_id 0
		.amdhsa_next_free_vgpr 1
		.amdhsa_next_free_sgpr 0
		.amdhsa_accum_offset 4
		.amdhsa_reserve_vcc 0
		.amdhsa_float_round_mode_32 0
		.amdhsa_float_round_mode_16_64 0
		.amdhsa_float_denorm_mode_32 3
		.amdhsa_float_denorm_mode_16_64 3
		.amdhsa_dx10_clamp 1
		.amdhsa_ieee_mode 1
		.amdhsa_fp16_overflow 0
		.amdhsa_tg_split 0
		.amdhsa_exception_fp_ieee_invalid_op 0
		.amdhsa_exception_fp_denorm_src 0
		.amdhsa_exception_fp_ieee_div_zero 0
		.amdhsa_exception_fp_ieee_overflow 0
		.amdhsa_exception_fp_ieee_underflow 0
		.amdhsa_exception_fp_ieee_inexact 0
		.amdhsa_exception_int_div_zero 0
	.end_amdhsa_kernel
	.section	.text._ZN7rocprim17ROCPRIM_400000_NS6detail17trampoline_kernelINS0_14default_configENS1_27scan_by_key_config_selectorIiiEEZZNS1_16scan_by_key_implILNS1_25lookback_scan_determinismE0ELb0ES3_N6thrust23THRUST_200600_302600_NS16reverse_iteratorIPKiEESD_NSA_IPiEEiN6hipcub16HIPCUB_304000_NS3MaxENSH_8EqualityEiEE10hipError_tPvRmT2_T3_T4_T5_mT6_T7_P12ihipStream_tbENKUlT_T0_E_clISt17integral_constantIbLb0EESZ_IbLb1EEEEDaSV_SW_EUlSV_E_NS1_11comp_targetILNS1_3genE2ELNS1_11target_archE906ELNS1_3gpuE6ELNS1_3repE0EEENS1_30default_config_static_selectorELNS0_4arch9wavefront6targetE1EEEvT1_,"axG",@progbits,_ZN7rocprim17ROCPRIM_400000_NS6detail17trampoline_kernelINS0_14default_configENS1_27scan_by_key_config_selectorIiiEEZZNS1_16scan_by_key_implILNS1_25lookback_scan_determinismE0ELb0ES3_N6thrust23THRUST_200600_302600_NS16reverse_iteratorIPKiEESD_NSA_IPiEEiN6hipcub16HIPCUB_304000_NS3MaxENSH_8EqualityEiEE10hipError_tPvRmT2_T3_T4_T5_mT6_T7_P12ihipStream_tbENKUlT_T0_E_clISt17integral_constantIbLb0EESZ_IbLb1EEEEDaSV_SW_EUlSV_E_NS1_11comp_targetILNS1_3genE2ELNS1_11target_archE906ELNS1_3gpuE6ELNS1_3repE0EEENS1_30default_config_static_selectorELNS0_4arch9wavefront6targetE1EEEvT1_,comdat
.Lfunc_end88:
	.size	_ZN7rocprim17ROCPRIM_400000_NS6detail17trampoline_kernelINS0_14default_configENS1_27scan_by_key_config_selectorIiiEEZZNS1_16scan_by_key_implILNS1_25lookback_scan_determinismE0ELb0ES3_N6thrust23THRUST_200600_302600_NS16reverse_iteratorIPKiEESD_NSA_IPiEEiN6hipcub16HIPCUB_304000_NS3MaxENSH_8EqualityEiEE10hipError_tPvRmT2_T3_T4_T5_mT6_T7_P12ihipStream_tbENKUlT_T0_E_clISt17integral_constantIbLb0EESZ_IbLb1EEEEDaSV_SW_EUlSV_E_NS1_11comp_targetILNS1_3genE2ELNS1_11target_archE906ELNS1_3gpuE6ELNS1_3repE0EEENS1_30default_config_static_selectorELNS0_4arch9wavefront6targetE1EEEvT1_, .Lfunc_end88-_ZN7rocprim17ROCPRIM_400000_NS6detail17trampoline_kernelINS0_14default_configENS1_27scan_by_key_config_selectorIiiEEZZNS1_16scan_by_key_implILNS1_25lookback_scan_determinismE0ELb0ES3_N6thrust23THRUST_200600_302600_NS16reverse_iteratorIPKiEESD_NSA_IPiEEiN6hipcub16HIPCUB_304000_NS3MaxENSH_8EqualityEiEE10hipError_tPvRmT2_T3_T4_T5_mT6_T7_P12ihipStream_tbENKUlT_T0_E_clISt17integral_constantIbLb0EESZ_IbLb1EEEEDaSV_SW_EUlSV_E_NS1_11comp_targetILNS1_3genE2ELNS1_11target_archE906ELNS1_3gpuE6ELNS1_3repE0EEENS1_30default_config_static_selectorELNS0_4arch9wavefront6targetE1EEEvT1_
                                        ; -- End function
	.section	.AMDGPU.csdata,"",@progbits
; Kernel info:
; codeLenInByte = 0
; NumSgprs: 6
; NumVgprs: 0
; NumAgprs: 0
; TotalNumVgprs: 0
; ScratchSize: 0
; MemoryBound: 0
; FloatMode: 240
; IeeeMode: 1
; LDSByteSize: 0 bytes/workgroup (compile time only)
; SGPRBlocks: 0
; VGPRBlocks: 0
; NumSGPRsForWavesPerEU: 6
; NumVGPRsForWavesPerEU: 1
; AccumOffset: 4
; Occupancy: 8
; WaveLimiterHint : 0
; COMPUTE_PGM_RSRC2:SCRATCH_EN: 0
; COMPUTE_PGM_RSRC2:USER_SGPR: 2
; COMPUTE_PGM_RSRC2:TRAP_HANDLER: 0
; COMPUTE_PGM_RSRC2:TGID_X_EN: 1
; COMPUTE_PGM_RSRC2:TGID_Y_EN: 0
; COMPUTE_PGM_RSRC2:TGID_Z_EN: 0
; COMPUTE_PGM_RSRC2:TIDIG_COMP_CNT: 0
; COMPUTE_PGM_RSRC3_GFX90A:ACCUM_OFFSET: 0
; COMPUTE_PGM_RSRC3_GFX90A:TG_SPLIT: 0
	.section	.text._ZN7rocprim17ROCPRIM_400000_NS6detail17trampoline_kernelINS0_14default_configENS1_27scan_by_key_config_selectorIiiEEZZNS1_16scan_by_key_implILNS1_25lookback_scan_determinismE0ELb0ES3_N6thrust23THRUST_200600_302600_NS16reverse_iteratorIPKiEESD_NSA_IPiEEiN6hipcub16HIPCUB_304000_NS3MaxENSH_8EqualityEiEE10hipError_tPvRmT2_T3_T4_T5_mT6_T7_P12ihipStream_tbENKUlT_T0_E_clISt17integral_constantIbLb0EESZ_IbLb1EEEEDaSV_SW_EUlSV_E_NS1_11comp_targetILNS1_3genE10ELNS1_11target_archE1200ELNS1_3gpuE4ELNS1_3repE0EEENS1_30default_config_static_selectorELNS0_4arch9wavefront6targetE1EEEvT1_,"axG",@progbits,_ZN7rocprim17ROCPRIM_400000_NS6detail17trampoline_kernelINS0_14default_configENS1_27scan_by_key_config_selectorIiiEEZZNS1_16scan_by_key_implILNS1_25lookback_scan_determinismE0ELb0ES3_N6thrust23THRUST_200600_302600_NS16reverse_iteratorIPKiEESD_NSA_IPiEEiN6hipcub16HIPCUB_304000_NS3MaxENSH_8EqualityEiEE10hipError_tPvRmT2_T3_T4_T5_mT6_T7_P12ihipStream_tbENKUlT_T0_E_clISt17integral_constantIbLb0EESZ_IbLb1EEEEDaSV_SW_EUlSV_E_NS1_11comp_targetILNS1_3genE10ELNS1_11target_archE1200ELNS1_3gpuE4ELNS1_3repE0EEENS1_30default_config_static_selectorELNS0_4arch9wavefront6targetE1EEEvT1_,comdat
	.protected	_ZN7rocprim17ROCPRIM_400000_NS6detail17trampoline_kernelINS0_14default_configENS1_27scan_by_key_config_selectorIiiEEZZNS1_16scan_by_key_implILNS1_25lookback_scan_determinismE0ELb0ES3_N6thrust23THRUST_200600_302600_NS16reverse_iteratorIPKiEESD_NSA_IPiEEiN6hipcub16HIPCUB_304000_NS3MaxENSH_8EqualityEiEE10hipError_tPvRmT2_T3_T4_T5_mT6_T7_P12ihipStream_tbENKUlT_T0_E_clISt17integral_constantIbLb0EESZ_IbLb1EEEEDaSV_SW_EUlSV_E_NS1_11comp_targetILNS1_3genE10ELNS1_11target_archE1200ELNS1_3gpuE4ELNS1_3repE0EEENS1_30default_config_static_selectorELNS0_4arch9wavefront6targetE1EEEvT1_ ; -- Begin function _ZN7rocprim17ROCPRIM_400000_NS6detail17trampoline_kernelINS0_14default_configENS1_27scan_by_key_config_selectorIiiEEZZNS1_16scan_by_key_implILNS1_25lookback_scan_determinismE0ELb0ES3_N6thrust23THRUST_200600_302600_NS16reverse_iteratorIPKiEESD_NSA_IPiEEiN6hipcub16HIPCUB_304000_NS3MaxENSH_8EqualityEiEE10hipError_tPvRmT2_T3_T4_T5_mT6_T7_P12ihipStream_tbENKUlT_T0_E_clISt17integral_constantIbLb0EESZ_IbLb1EEEEDaSV_SW_EUlSV_E_NS1_11comp_targetILNS1_3genE10ELNS1_11target_archE1200ELNS1_3gpuE4ELNS1_3repE0EEENS1_30default_config_static_selectorELNS0_4arch9wavefront6targetE1EEEvT1_
	.globl	_ZN7rocprim17ROCPRIM_400000_NS6detail17trampoline_kernelINS0_14default_configENS1_27scan_by_key_config_selectorIiiEEZZNS1_16scan_by_key_implILNS1_25lookback_scan_determinismE0ELb0ES3_N6thrust23THRUST_200600_302600_NS16reverse_iteratorIPKiEESD_NSA_IPiEEiN6hipcub16HIPCUB_304000_NS3MaxENSH_8EqualityEiEE10hipError_tPvRmT2_T3_T4_T5_mT6_T7_P12ihipStream_tbENKUlT_T0_E_clISt17integral_constantIbLb0EESZ_IbLb1EEEEDaSV_SW_EUlSV_E_NS1_11comp_targetILNS1_3genE10ELNS1_11target_archE1200ELNS1_3gpuE4ELNS1_3repE0EEENS1_30default_config_static_selectorELNS0_4arch9wavefront6targetE1EEEvT1_
	.p2align	8
	.type	_ZN7rocprim17ROCPRIM_400000_NS6detail17trampoline_kernelINS0_14default_configENS1_27scan_by_key_config_selectorIiiEEZZNS1_16scan_by_key_implILNS1_25lookback_scan_determinismE0ELb0ES3_N6thrust23THRUST_200600_302600_NS16reverse_iteratorIPKiEESD_NSA_IPiEEiN6hipcub16HIPCUB_304000_NS3MaxENSH_8EqualityEiEE10hipError_tPvRmT2_T3_T4_T5_mT6_T7_P12ihipStream_tbENKUlT_T0_E_clISt17integral_constantIbLb0EESZ_IbLb1EEEEDaSV_SW_EUlSV_E_NS1_11comp_targetILNS1_3genE10ELNS1_11target_archE1200ELNS1_3gpuE4ELNS1_3repE0EEENS1_30default_config_static_selectorELNS0_4arch9wavefront6targetE1EEEvT1_,@function
_ZN7rocprim17ROCPRIM_400000_NS6detail17trampoline_kernelINS0_14default_configENS1_27scan_by_key_config_selectorIiiEEZZNS1_16scan_by_key_implILNS1_25lookback_scan_determinismE0ELb0ES3_N6thrust23THRUST_200600_302600_NS16reverse_iteratorIPKiEESD_NSA_IPiEEiN6hipcub16HIPCUB_304000_NS3MaxENSH_8EqualityEiEE10hipError_tPvRmT2_T3_T4_T5_mT6_T7_P12ihipStream_tbENKUlT_T0_E_clISt17integral_constantIbLb0EESZ_IbLb1EEEEDaSV_SW_EUlSV_E_NS1_11comp_targetILNS1_3genE10ELNS1_11target_archE1200ELNS1_3gpuE4ELNS1_3repE0EEENS1_30default_config_static_selectorELNS0_4arch9wavefront6targetE1EEEvT1_: ; @_ZN7rocprim17ROCPRIM_400000_NS6detail17trampoline_kernelINS0_14default_configENS1_27scan_by_key_config_selectorIiiEEZZNS1_16scan_by_key_implILNS1_25lookback_scan_determinismE0ELb0ES3_N6thrust23THRUST_200600_302600_NS16reverse_iteratorIPKiEESD_NSA_IPiEEiN6hipcub16HIPCUB_304000_NS3MaxENSH_8EqualityEiEE10hipError_tPvRmT2_T3_T4_T5_mT6_T7_P12ihipStream_tbENKUlT_T0_E_clISt17integral_constantIbLb0EESZ_IbLb1EEEEDaSV_SW_EUlSV_E_NS1_11comp_targetILNS1_3genE10ELNS1_11target_archE1200ELNS1_3gpuE4ELNS1_3repE0EEENS1_30default_config_static_selectorELNS0_4arch9wavefront6targetE1EEEvT1_
; %bb.0:
	.section	.rodata,"a",@progbits
	.p2align	6, 0x0
	.amdhsa_kernel _ZN7rocprim17ROCPRIM_400000_NS6detail17trampoline_kernelINS0_14default_configENS1_27scan_by_key_config_selectorIiiEEZZNS1_16scan_by_key_implILNS1_25lookback_scan_determinismE0ELb0ES3_N6thrust23THRUST_200600_302600_NS16reverse_iteratorIPKiEESD_NSA_IPiEEiN6hipcub16HIPCUB_304000_NS3MaxENSH_8EqualityEiEE10hipError_tPvRmT2_T3_T4_T5_mT6_T7_P12ihipStream_tbENKUlT_T0_E_clISt17integral_constantIbLb0EESZ_IbLb1EEEEDaSV_SW_EUlSV_E_NS1_11comp_targetILNS1_3genE10ELNS1_11target_archE1200ELNS1_3gpuE4ELNS1_3repE0EEENS1_30default_config_static_selectorELNS0_4arch9wavefront6targetE1EEEvT1_
		.amdhsa_group_segment_fixed_size 0
		.amdhsa_private_segment_fixed_size 0
		.amdhsa_kernarg_size 112
		.amdhsa_user_sgpr_count 2
		.amdhsa_user_sgpr_dispatch_ptr 0
		.amdhsa_user_sgpr_queue_ptr 0
		.amdhsa_user_sgpr_kernarg_segment_ptr 1
		.amdhsa_user_sgpr_dispatch_id 0
		.amdhsa_user_sgpr_kernarg_preload_length 0
		.amdhsa_user_sgpr_kernarg_preload_offset 0
		.amdhsa_user_sgpr_private_segment_size 0
		.amdhsa_uses_dynamic_stack 0
		.amdhsa_enable_private_segment 0
		.amdhsa_system_sgpr_workgroup_id_x 1
		.amdhsa_system_sgpr_workgroup_id_y 0
		.amdhsa_system_sgpr_workgroup_id_z 0
		.amdhsa_system_sgpr_workgroup_info 0
		.amdhsa_system_vgpr_workitem_id 0
		.amdhsa_next_free_vgpr 1
		.amdhsa_next_free_sgpr 0
		.amdhsa_accum_offset 4
		.amdhsa_reserve_vcc 0
		.amdhsa_float_round_mode_32 0
		.amdhsa_float_round_mode_16_64 0
		.amdhsa_float_denorm_mode_32 3
		.amdhsa_float_denorm_mode_16_64 3
		.amdhsa_dx10_clamp 1
		.amdhsa_ieee_mode 1
		.amdhsa_fp16_overflow 0
		.amdhsa_tg_split 0
		.amdhsa_exception_fp_ieee_invalid_op 0
		.amdhsa_exception_fp_denorm_src 0
		.amdhsa_exception_fp_ieee_div_zero 0
		.amdhsa_exception_fp_ieee_overflow 0
		.amdhsa_exception_fp_ieee_underflow 0
		.amdhsa_exception_fp_ieee_inexact 0
		.amdhsa_exception_int_div_zero 0
	.end_amdhsa_kernel
	.section	.text._ZN7rocprim17ROCPRIM_400000_NS6detail17trampoline_kernelINS0_14default_configENS1_27scan_by_key_config_selectorIiiEEZZNS1_16scan_by_key_implILNS1_25lookback_scan_determinismE0ELb0ES3_N6thrust23THRUST_200600_302600_NS16reverse_iteratorIPKiEESD_NSA_IPiEEiN6hipcub16HIPCUB_304000_NS3MaxENSH_8EqualityEiEE10hipError_tPvRmT2_T3_T4_T5_mT6_T7_P12ihipStream_tbENKUlT_T0_E_clISt17integral_constantIbLb0EESZ_IbLb1EEEEDaSV_SW_EUlSV_E_NS1_11comp_targetILNS1_3genE10ELNS1_11target_archE1200ELNS1_3gpuE4ELNS1_3repE0EEENS1_30default_config_static_selectorELNS0_4arch9wavefront6targetE1EEEvT1_,"axG",@progbits,_ZN7rocprim17ROCPRIM_400000_NS6detail17trampoline_kernelINS0_14default_configENS1_27scan_by_key_config_selectorIiiEEZZNS1_16scan_by_key_implILNS1_25lookback_scan_determinismE0ELb0ES3_N6thrust23THRUST_200600_302600_NS16reverse_iteratorIPKiEESD_NSA_IPiEEiN6hipcub16HIPCUB_304000_NS3MaxENSH_8EqualityEiEE10hipError_tPvRmT2_T3_T4_T5_mT6_T7_P12ihipStream_tbENKUlT_T0_E_clISt17integral_constantIbLb0EESZ_IbLb1EEEEDaSV_SW_EUlSV_E_NS1_11comp_targetILNS1_3genE10ELNS1_11target_archE1200ELNS1_3gpuE4ELNS1_3repE0EEENS1_30default_config_static_selectorELNS0_4arch9wavefront6targetE1EEEvT1_,comdat
.Lfunc_end89:
	.size	_ZN7rocprim17ROCPRIM_400000_NS6detail17trampoline_kernelINS0_14default_configENS1_27scan_by_key_config_selectorIiiEEZZNS1_16scan_by_key_implILNS1_25lookback_scan_determinismE0ELb0ES3_N6thrust23THRUST_200600_302600_NS16reverse_iteratorIPKiEESD_NSA_IPiEEiN6hipcub16HIPCUB_304000_NS3MaxENSH_8EqualityEiEE10hipError_tPvRmT2_T3_T4_T5_mT6_T7_P12ihipStream_tbENKUlT_T0_E_clISt17integral_constantIbLb0EESZ_IbLb1EEEEDaSV_SW_EUlSV_E_NS1_11comp_targetILNS1_3genE10ELNS1_11target_archE1200ELNS1_3gpuE4ELNS1_3repE0EEENS1_30default_config_static_selectorELNS0_4arch9wavefront6targetE1EEEvT1_, .Lfunc_end89-_ZN7rocprim17ROCPRIM_400000_NS6detail17trampoline_kernelINS0_14default_configENS1_27scan_by_key_config_selectorIiiEEZZNS1_16scan_by_key_implILNS1_25lookback_scan_determinismE0ELb0ES3_N6thrust23THRUST_200600_302600_NS16reverse_iteratorIPKiEESD_NSA_IPiEEiN6hipcub16HIPCUB_304000_NS3MaxENSH_8EqualityEiEE10hipError_tPvRmT2_T3_T4_T5_mT6_T7_P12ihipStream_tbENKUlT_T0_E_clISt17integral_constantIbLb0EESZ_IbLb1EEEEDaSV_SW_EUlSV_E_NS1_11comp_targetILNS1_3genE10ELNS1_11target_archE1200ELNS1_3gpuE4ELNS1_3repE0EEENS1_30default_config_static_selectorELNS0_4arch9wavefront6targetE1EEEvT1_
                                        ; -- End function
	.section	.AMDGPU.csdata,"",@progbits
; Kernel info:
; codeLenInByte = 0
; NumSgprs: 6
; NumVgprs: 0
; NumAgprs: 0
; TotalNumVgprs: 0
; ScratchSize: 0
; MemoryBound: 0
; FloatMode: 240
; IeeeMode: 1
; LDSByteSize: 0 bytes/workgroup (compile time only)
; SGPRBlocks: 0
; VGPRBlocks: 0
; NumSGPRsForWavesPerEU: 6
; NumVGPRsForWavesPerEU: 1
; AccumOffset: 4
; Occupancy: 8
; WaveLimiterHint : 0
; COMPUTE_PGM_RSRC2:SCRATCH_EN: 0
; COMPUTE_PGM_RSRC2:USER_SGPR: 2
; COMPUTE_PGM_RSRC2:TRAP_HANDLER: 0
; COMPUTE_PGM_RSRC2:TGID_X_EN: 1
; COMPUTE_PGM_RSRC2:TGID_Y_EN: 0
; COMPUTE_PGM_RSRC2:TGID_Z_EN: 0
; COMPUTE_PGM_RSRC2:TIDIG_COMP_CNT: 0
; COMPUTE_PGM_RSRC3_GFX90A:ACCUM_OFFSET: 0
; COMPUTE_PGM_RSRC3_GFX90A:TG_SPLIT: 0
	.section	.text._ZN7rocprim17ROCPRIM_400000_NS6detail17trampoline_kernelINS0_14default_configENS1_27scan_by_key_config_selectorIiiEEZZNS1_16scan_by_key_implILNS1_25lookback_scan_determinismE0ELb0ES3_N6thrust23THRUST_200600_302600_NS16reverse_iteratorIPKiEESD_NSA_IPiEEiN6hipcub16HIPCUB_304000_NS3MaxENSH_8EqualityEiEE10hipError_tPvRmT2_T3_T4_T5_mT6_T7_P12ihipStream_tbENKUlT_T0_E_clISt17integral_constantIbLb0EESZ_IbLb1EEEEDaSV_SW_EUlSV_E_NS1_11comp_targetILNS1_3genE9ELNS1_11target_archE1100ELNS1_3gpuE3ELNS1_3repE0EEENS1_30default_config_static_selectorELNS0_4arch9wavefront6targetE1EEEvT1_,"axG",@progbits,_ZN7rocprim17ROCPRIM_400000_NS6detail17trampoline_kernelINS0_14default_configENS1_27scan_by_key_config_selectorIiiEEZZNS1_16scan_by_key_implILNS1_25lookback_scan_determinismE0ELb0ES3_N6thrust23THRUST_200600_302600_NS16reverse_iteratorIPKiEESD_NSA_IPiEEiN6hipcub16HIPCUB_304000_NS3MaxENSH_8EqualityEiEE10hipError_tPvRmT2_T3_T4_T5_mT6_T7_P12ihipStream_tbENKUlT_T0_E_clISt17integral_constantIbLb0EESZ_IbLb1EEEEDaSV_SW_EUlSV_E_NS1_11comp_targetILNS1_3genE9ELNS1_11target_archE1100ELNS1_3gpuE3ELNS1_3repE0EEENS1_30default_config_static_selectorELNS0_4arch9wavefront6targetE1EEEvT1_,comdat
	.protected	_ZN7rocprim17ROCPRIM_400000_NS6detail17trampoline_kernelINS0_14default_configENS1_27scan_by_key_config_selectorIiiEEZZNS1_16scan_by_key_implILNS1_25lookback_scan_determinismE0ELb0ES3_N6thrust23THRUST_200600_302600_NS16reverse_iteratorIPKiEESD_NSA_IPiEEiN6hipcub16HIPCUB_304000_NS3MaxENSH_8EqualityEiEE10hipError_tPvRmT2_T3_T4_T5_mT6_T7_P12ihipStream_tbENKUlT_T0_E_clISt17integral_constantIbLb0EESZ_IbLb1EEEEDaSV_SW_EUlSV_E_NS1_11comp_targetILNS1_3genE9ELNS1_11target_archE1100ELNS1_3gpuE3ELNS1_3repE0EEENS1_30default_config_static_selectorELNS0_4arch9wavefront6targetE1EEEvT1_ ; -- Begin function _ZN7rocprim17ROCPRIM_400000_NS6detail17trampoline_kernelINS0_14default_configENS1_27scan_by_key_config_selectorIiiEEZZNS1_16scan_by_key_implILNS1_25lookback_scan_determinismE0ELb0ES3_N6thrust23THRUST_200600_302600_NS16reverse_iteratorIPKiEESD_NSA_IPiEEiN6hipcub16HIPCUB_304000_NS3MaxENSH_8EqualityEiEE10hipError_tPvRmT2_T3_T4_T5_mT6_T7_P12ihipStream_tbENKUlT_T0_E_clISt17integral_constantIbLb0EESZ_IbLb1EEEEDaSV_SW_EUlSV_E_NS1_11comp_targetILNS1_3genE9ELNS1_11target_archE1100ELNS1_3gpuE3ELNS1_3repE0EEENS1_30default_config_static_selectorELNS0_4arch9wavefront6targetE1EEEvT1_
	.globl	_ZN7rocprim17ROCPRIM_400000_NS6detail17trampoline_kernelINS0_14default_configENS1_27scan_by_key_config_selectorIiiEEZZNS1_16scan_by_key_implILNS1_25lookback_scan_determinismE0ELb0ES3_N6thrust23THRUST_200600_302600_NS16reverse_iteratorIPKiEESD_NSA_IPiEEiN6hipcub16HIPCUB_304000_NS3MaxENSH_8EqualityEiEE10hipError_tPvRmT2_T3_T4_T5_mT6_T7_P12ihipStream_tbENKUlT_T0_E_clISt17integral_constantIbLb0EESZ_IbLb1EEEEDaSV_SW_EUlSV_E_NS1_11comp_targetILNS1_3genE9ELNS1_11target_archE1100ELNS1_3gpuE3ELNS1_3repE0EEENS1_30default_config_static_selectorELNS0_4arch9wavefront6targetE1EEEvT1_
	.p2align	8
	.type	_ZN7rocprim17ROCPRIM_400000_NS6detail17trampoline_kernelINS0_14default_configENS1_27scan_by_key_config_selectorIiiEEZZNS1_16scan_by_key_implILNS1_25lookback_scan_determinismE0ELb0ES3_N6thrust23THRUST_200600_302600_NS16reverse_iteratorIPKiEESD_NSA_IPiEEiN6hipcub16HIPCUB_304000_NS3MaxENSH_8EqualityEiEE10hipError_tPvRmT2_T3_T4_T5_mT6_T7_P12ihipStream_tbENKUlT_T0_E_clISt17integral_constantIbLb0EESZ_IbLb1EEEEDaSV_SW_EUlSV_E_NS1_11comp_targetILNS1_3genE9ELNS1_11target_archE1100ELNS1_3gpuE3ELNS1_3repE0EEENS1_30default_config_static_selectorELNS0_4arch9wavefront6targetE1EEEvT1_,@function
_ZN7rocprim17ROCPRIM_400000_NS6detail17trampoline_kernelINS0_14default_configENS1_27scan_by_key_config_selectorIiiEEZZNS1_16scan_by_key_implILNS1_25lookback_scan_determinismE0ELb0ES3_N6thrust23THRUST_200600_302600_NS16reverse_iteratorIPKiEESD_NSA_IPiEEiN6hipcub16HIPCUB_304000_NS3MaxENSH_8EqualityEiEE10hipError_tPvRmT2_T3_T4_T5_mT6_T7_P12ihipStream_tbENKUlT_T0_E_clISt17integral_constantIbLb0EESZ_IbLb1EEEEDaSV_SW_EUlSV_E_NS1_11comp_targetILNS1_3genE9ELNS1_11target_archE1100ELNS1_3gpuE3ELNS1_3repE0EEENS1_30default_config_static_selectorELNS0_4arch9wavefront6targetE1EEEvT1_: ; @_ZN7rocprim17ROCPRIM_400000_NS6detail17trampoline_kernelINS0_14default_configENS1_27scan_by_key_config_selectorIiiEEZZNS1_16scan_by_key_implILNS1_25lookback_scan_determinismE0ELb0ES3_N6thrust23THRUST_200600_302600_NS16reverse_iteratorIPKiEESD_NSA_IPiEEiN6hipcub16HIPCUB_304000_NS3MaxENSH_8EqualityEiEE10hipError_tPvRmT2_T3_T4_T5_mT6_T7_P12ihipStream_tbENKUlT_T0_E_clISt17integral_constantIbLb0EESZ_IbLb1EEEEDaSV_SW_EUlSV_E_NS1_11comp_targetILNS1_3genE9ELNS1_11target_archE1100ELNS1_3gpuE3ELNS1_3repE0EEENS1_30default_config_static_selectorELNS0_4arch9wavefront6targetE1EEEvT1_
; %bb.0:
	.section	.rodata,"a",@progbits
	.p2align	6, 0x0
	.amdhsa_kernel _ZN7rocprim17ROCPRIM_400000_NS6detail17trampoline_kernelINS0_14default_configENS1_27scan_by_key_config_selectorIiiEEZZNS1_16scan_by_key_implILNS1_25lookback_scan_determinismE0ELb0ES3_N6thrust23THRUST_200600_302600_NS16reverse_iteratorIPKiEESD_NSA_IPiEEiN6hipcub16HIPCUB_304000_NS3MaxENSH_8EqualityEiEE10hipError_tPvRmT2_T3_T4_T5_mT6_T7_P12ihipStream_tbENKUlT_T0_E_clISt17integral_constantIbLb0EESZ_IbLb1EEEEDaSV_SW_EUlSV_E_NS1_11comp_targetILNS1_3genE9ELNS1_11target_archE1100ELNS1_3gpuE3ELNS1_3repE0EEENS1_30default_config_static_selectorELNS0_4arch9wavefront6targetE1EEEvT1_
		.amdhsa_group_segment_fixed_size 0
		.amdhsa_private_segment_fixed_size 0
		.amdhsa_kernarg_size 112
		.amdhsa_user_sgpr_count 2
		.amdhsa_user_sgpr_dispatch_ptr 0
		.amdhsa_user_sgpr_queue_ptr 0
		.amdhsa_user_sgpr_kernarg_segment_ptr 1
		.amdhsa_user_sgpr_dispatch_id 0
		.amdhsa_user_sgpr_kernarg_preload_length 0
		.amdhsa_user_sgpr_kernarg_preload_offset 0
		.amdhsa_user_sgpr_private_segment_size 0
		.amdhsa_uses_dynamic_stack 0
		.amdhsa_enable_private_segment 0
		.amdhsa_system_sgpr_workgroup_id_x 1
		.amdhsa_system_sgpr_workgroup_id_y 0
		.amdhsa_system_sgpr_workgroup_id_z 0
		.amdhsa_system_sgpr_workgroup_info 0
		.amdhsa_system_vgpr_workitem_id 0
		.amdhsa_next_free_vgpr 1
		.amdhsa_next_free_sgpr 0
		.amdhsa_accum_offset 4
		.amdhsa_reserve_vcc 0
		.amdhsa_float_round_mode_32 0
		.amdhsa_float_round_mode_16_64 0
		.amdhsa_float_denorm_mode_32 3
		.amdhsa_float_denorm_mode_16_64 3
		.amdhsa_dx10_clamp 1
		.amdhsa_ieee_mode 1
		.amdhsa_fp16_overflow 0
		.amdhsa_tg_split 0
		.amdhsa_exception_fp_ieee_invalid_op 0
		.amdhsa_exception_fp_denorm_src 0
		.amdhsa_exception_fp_ieee_div_zero 0
		.amdhsa_exception_fp_ieee_overflow 0
		.amdhsa_exception_fp_ieee_underflow 0
		.amdhsa_exception_fp_ieee_inexact 0
		.amdhsa_exception_int_div_zero 0
	.end_amdhsa_kernel
	.section	.text._ZN7rocprim17ROCPRIM_400000_NS6detail17trampoline_kernelINS0_14default_configENS1_27scan_by_key_config_selectorIiiEEZZNS1_16scan_by_key_implILNS1_25lookback_scan_determinismE0ELb0ES3_N6thrust23THRUST_200600_302600_NS16reverse_iteratorIPKiEESD_NSA_IPiEEiN6hipcub16HIPCUB_304000_NS3MaxENSH_8EqualityEiEE10hipError_tPvRmT2_T3_T4_T5_mT6_T7_P12ihipStream_tbENKUlT_T0_E_clISt17integral_constantIbLb0EESZ_IbLb1EEEEDaSV_SW_EUlSV_E_NS1_11comp_targetILNS1_3genE9ELNS1_11target_archE1100ELNS1_3gpuE3ELNS1_3repE0EEENS1_30default_config_static_selectorELNS0_4arch9wavefront6targetE1EEEvT1_,"axG",@progbits,_ZN7rocprim17ROCPRIM_400000_NS6detail17trampoline_kernelINS0_14default_configENS1_27scan_by_key_config_selectorIiiEEZZNS1_16scan_by_key_implILNS1_25lookback_scan_determinismE0ELb0ES3_N6thrust23THRUST_200600_302600_NS16reverse_iteratorIPKiEESD_NSA_IPiEEiN6hipcub16HIPCUB_304000_NS3MaxENSH_8EqualityEiEE10hipError_tPvRmT2_T3_T4_T5_mT6_T7_P12ihipStream_tbENKUlT_T0_E_clISt17integral_constantIbLb0EESZ_IbLb1EEEEDaSV_SW_EUlSV_E_NS1_11comp_targetILNS1_3genE9ELNS1_11target_archE1100ELNS1_3gpuE3ELNS1_3repE0EEENS1_30default_config_static_selectorELNS0_4arch9wavefront6targetE1EEEvT1_,comdat
.Lfunc_end90:
	.size	_ZN7rocprim17ROCPRIM_400000_NS6detail17trampoline_kernelINS0_14default_configENS1_27scan_by_key_config_selectorIiiEEZZNS1_16scan_by_key_implILNS1_25lookback_scan_determinismE0ELb0ES3_N6thrust23THRUST_200600_302600_NS16reverse_iteratorIPKiEESD_NSA_IPiEEiN6hipcub16HIPCUB_304000_NS3MaxENSH_8EqualityEiEE10hipError_tPvRmT2_T3_T4_T5_mT6_T7_P12ihipStream_tbENKUlT_T0_E_clISt17integral_constantIbLb0EESZ_IbLb1EEEEDaSV_SW_EUlSV_E_NS1_11comp_targetILNS1_3genE9ELNS1_11target_archE1100ELNS1_3gpuE3ELNS1_3repE0EEENS1_30default_config_static_selectorELNS0_4arch9wavefront6targetE1EEEvT1_, .Lfunc_end90-_ZN7rocprim17ROCPRIM_400000_NS6detail17trampoline_kernelINS0_14default_configENS1_27scan_by_key_config_selectorIiiEEZZNS1_16scan_by_key_implILNS1_25lookback_scan_determinismE0ELb0ES3_N6thrust23THRUST_200600_302600_NS16reverse_iteratorIPKiEESD_NSA_IPiEEiN6hipcub16HIPCUB_304000_NS3MaxENSH_8EqualityEiEE10hipError_tPvRmT2_T3_T4_T5_mT6_T7_P12ihipStream_tbENKUlT_T0_E_clISt17integral_constantIbLb0EESZ_IbLb1EEEEDaSV_SW_EUlSV_E_NS1_11comp_targetILNS1_3genE9ELNS1_11target_archE1100ELNS1_3gpuE3ELNS1_3repE0EEENS1_30default_config_static_selectorELNS0_4arch9wavefront6targetE1EEEvT1_
                                        ; -- End function
	.section	.AMDGPU.csdata,"",@progbits
; Kernel info:
; codeLenInByte = 0
; NumSgprs: 6
; NumVgprs: 0
; NumAgprs: 0
; TotalNumVgprs: 0
; ScratchSize: 0
; MemoryBound: 0
; FloatMode: 240
; IeeeMode: 1
; LDSByteSize: 0 bytes/workgroup (compile time only)
; SGPRBlocks: 0
; VGPRBlocks: 0
; NumSGPRsForWavesPerEU: 6
; NumVGPRsForWavesPerEU: 1
; AccumOffset: 4
; Occupancy: 8
; WaveLimiterHint : 0
; COMPUTE_PGM_RSRC2:SCRATCH_EN: 0
; COMPUTE_PGM_RSRC2:USER_SGPR: 2
; COMPUTE_PGM_RSRC2:TRAP_HANDLER: 0
; COMPUTE_PGM_RSRC2:TGID_X_EN: 1
; COMPUTE_PGM_RSRC2:TGID_Y_EN: 0
; COMPUTE_PGM_RSRC2:TGID_Z_EN: 0
; COMPUTE_PGM_RSRC2:TIDIG_COMP_CNT: 0
; COMPUTE_PGM_RSRC3_GFX90A:ACCUM_OFFSET: 0
; COMPUTE_PGM_RSRC3_GFX90A:TG_SPLIT: 0
	.section	.text._ZN7rocprim17ROCPRIM_400000_NS6detail17trampoline_kernelINS0_14default_configENS1_27scan_by_key_config_selectorIiiEEZZNS1_16scan_by_key_implILNS1_25lookback_scan_determinismE0ELb0ES3_N6thrust23THRUST_200600_302600_NS16reverse_iteratorIPKiEESD_NSA_IPiEEiN6hipcub16HIPCUB_304000_NS3MaxENSH_8EqualityEiEE10hipError_tPvRmT2_T3_T4_T5_mT6_T7_P12ihipStream_tbENKUlT_T0_E_clISt17integral_constantIbLb0EESZ_IbLb1EEEEDaSV_SW_EUlSV_E_NS1_11comp_targetILNS1_3genE8ELNS1_11target_archE1030ELNS1_3gpuE2ELNS1_3repE0EEENS1_30default_config_static_selectorELNS0_4arch9wavefront6targetE1EEEvT1_,"axG",@progbits,_ZN7rocprim17ROCPRIM_400000_NS6detail17trampoline_kernelINS0_14default_configENS1_27scan_by_key_config_selectorIiiEEZZNS1_16scan_by_key_implILNS1_25lookback_scan_determinismE0ELb0ES3_N6thrust23THRUST_200600_302600_NS16reverse_iteratorIPKiEESD_NSA_IPiEEiN6hipcub16HIPCUB_304000_NS3MaxENSH_8EqualityEiEE10hipError_tPvRmT2_T3_T4_T5_mT6_T7_P12ihipStream_tbENKUlT_T0_E_clISt17integral_constantIbLb0EESZ_IbLb1EEEEDaSV_SW_EUlSV_E_NS1_11comp_targetILNS1_3genE8ELNS1_11target_archE1030ELNS1_3gpuE2ELNS1_3repE0EEENS1_30default_config_static_selectorELNS0_4arch9wavefront6targetE1EEEvT1_,comdat
	.protected	_ZN7rocprim17ROCPRIM_400000_NS6detail17trampoline_kernelINS0_14default_configENS1_27scan_by_key_config_selectorIiiEEZZNS1_16scan_by_key_implILNS1_25lookback_scan_determinismE0ELb0ES3_N6thrust23THRUST_200600_302600_NS16reverse_iteratorIPKiEESD_NSA_IPiEEiN6hipcub16HIPCUB_304000_NS3MaxENSH_8EqualityEiEE10hipError_tPvRmT2_T3_T4_T5_mT6_T7_P12ihipStream_tbENKUlT_T0_E_clISt17integral_constantIbLb0EESZ_IbLb1EEEEDaSV_SW_EUlSV_E_NS1_11comp_targetILNS1_3genE8ELNS1_11target_archE1030ELNS1_3gpuE2ELNS1_3repE0EEENS1_30default_config_static_selectorELNS0_4arch9wavefront6targetE1EEEvT1_ ; -- Begin function _ZN7rocprim17ROCPRIM_400000_NS6detail17trampoline_kernelINS0_14default_configENS1_27scan_by_key_config_selectorIiiEEZZNS1_16scan_by_key_implILNS1_25lookback_scan_determinismE0ELb0ES3_N6thrust23THRUST_200600_302600_NS16reverse_iteratorIPKiEESD_NSA_IPiEEiN6hipcub16HIPCUB_304000_NS3MaxENSH_8EqualityEiEE10hipError_tPvRmT2_T3_T4_T5_mT6_T7_P12ihipStream_tbENKUlT_T0_E_clISt17integral_constantIbLb0EESZ_IbLb1EEEEDaSV_SW_EUlSV_E_NS1_11comp_targetILNS1_3genE8ELNS1_11target_archE1030ELNS1_3gpuE2ELNS1_3repE0EEENS1_30default_config_static_selectorELNS0_4arch9wavefront6targetE1EEEvT1_
	.globl	_ZN7rocprim17ROCPRIM_400000_NS6detail17trampoline_kernelINS0_14default_configENS1_27scan_by_key_config_selectorIiiEEZZNS1_16scan_by_key_implILNS1_25lookback_scan_determinismE0ELb0ES3_N6thrust23THRUST_200600_302600_NS16reverse_iteratorIPKiEESD_NSA_IPiEEiN6hipcub16HIPCUB_304000_NS3MaxENSH_8EqualityEiEE10hipError_tPvRmT2_T3_T4_T5_mT6_T7_P12ihipStream_tbENKUlT_T0_E_clISt17integral_constantIbLb0EESZ_IbLb1EEEEDaSV_SW_EUlSV_E_NS1_11comp_targetILNS1_3genE8ELNS1_11target_archE1030ELNS1_3gpuE2ELNS1_3repE0EEENS1_30default_config_static_selectorELNS0_4arch9wavefront6targetE1EEEvT1_
	.p2align	8
	.type	_ZN7rocprim17ROCPRIM_400000_NS6detail17trampoline_kernelINS0_14default_configENS1_27scan_by_key_config_selectorIiiEEZZNS1_16scan_by_key_implILNS1_25lookback_scan_determinismE0ELb0ES3_N6thrust23THRUST_200600_302600_NS16reverse_iteratorIPKiEESD_NSA_IPiEEiN6hipcub16HIPCUB_304000_NS3MaxENSH_8EqualityEiEE10hipError_tPvRmT2_T3_T4_T5_mT6_T7_P12ihipStream_tbENKUlT_T0_E_clISt17integral_constantIbLb0EESZ_IbLb1EEEEDaSV_SW_EUlSV_E_NS1_11comp_targetILNS1_3genE8ELNS1_11target_archE1030ELNS1_3gpuE2ELNS1_3repE0EEENS1_30default_config_static_selectorELNS0_4arch9wavefront6targetE1EEEvT1_,@function
_ZN7rocprim17ROCPRIM_400000_NS6detail17trampoline_kernelINS0_14default_configENS1_27scan_by_key_config_selectorIiiEEZZNS1_16scan_by_key_implILNS1_25lookback_scan_determinismE0ELb0ES3_N6thrust23THRUST_200600_302600_NS16reverse_iteratorIPKiEESD_NSA_IPiEEiN6hipcub16HIPCUB_304000_NS3MaxENSH_8EqualityEiEE10hipError_tPvRmT2_T3_T4_T5_mT6_T7_P12ihipStream_tbENKUlT_T0_E_clISt17integral_constantIbLb0EESZ_IbLb1EEEEDaSV_SW_EUlSV_E_NS1_11comp_targetILNS1_3genE8ELNS1_11target_archE1030ELNS1_3gpuE2ELNS1_3repE0EEENS1_30default_config_static_selectorELNS0_4arch9wavefront6targetE1EEEvT1_: ; @_ZN7rocprim17ROCPRIM_400000_NS6detail17trampoline_kernelINS0_14default_configENS1_27scan_by_key_config_selectorIiiEEZZNS1_16scan_by_key_implILNS1_25lookback_scan_determinismE0ELb0ES3_N6thrust23THRUST_200600_302600_NS16reverse_iteratorIPKiEESD_NSA_IPiEEiN6hipcub16HIPCUB_304000_NS3MaxENSH_8EqualityEiEE10hipError_tPvRmT2_T3_T4_T5_mT6_T7_P12ihipStream_tbENKUlT_T0_E_clISt17integral_constantIbLb0EESZ_IbLb1EEEEDaSV_SW_EUlSV_E_NS1_11comp_targetILNS1_3genE8ELNS1_11target_archE1030ELNS1_3gpuE2ELNS1_3repE0EEENS1_30default_config_static_selectorELNS0_4arch9wavefront6targetE1EEEvT1_
; %bb.0:
	.section	.rodata,"a",@progbits
	.p2align	6, 0x0
	.amdhsa_kernel _ZN7rocprim17ROCPRIM_400000_NS6detail17trampoline_kernelINS0_14default_configENS1_27scan_by_key_config_selectorIiiEEZZNS1_16scan_by_key_implILNS1_25lookback_scan_determinismE0ELb0ES3_N6thrust23THRUST_200600_302600_NS16reverse_iteratorIPKiEESD_NSA_IPiEEiN6hipcub16HIPCUB_304000_NS3MaxENSH_8EqualityEiEE10hipError_tPvRmT2_T3_T4_T5_mT6_T7_P12ihipStream_tbENKUlT_T0_E_clISt17integral_constantIbLb0EESZ_IbLb1EEEEDaSV_SW_EUlSV_E_NS1_11comp_targetILNS1_3genE8ELNS1_11target_archE1030ELNS1_3gpuE2ELNS1_3repE0EEENS1_30default_config_static_selectorELNS0_4arch9wavefront6targetE1EEEvT1_
		.amdhsa_group_segment_fixed_size 0
		.amdhsa_private_segment_fixed_size 0
		.amdhsa_kernarg_size 112
		.amdhsa_user_sgpr_count 2
		.amdhsa_user_sgpr_dispatch_ptr 0
		.amdhsa_user_sgpr_queue_ptr 0
		.amdhsa_user_sgpr_kernarg_segment_ptr 1
		.amdhsa_user_sgpr_dispatch_id 0
		.amdhsa_user_sgpr_kernarg_preload_length 0
		.amdhsa_user_sgpr_kernarg_preload_offset 0
		.amdhsa_user_sgpr_private_segment_size 0
		.amdhsa_uses_dynamic_stack 0
		.amdhsa_enable_private_segment 0
		.amdhsa_system_sgpr_workgroup_id_x 1
		.amdhsa_system_sgpr_workgroup_id_y 0
		.amdhsa_system_sgpr_workgroup_id_z 0
		.amdhsa_system_sgpr_workgroup_info 0
		.amdhsa_system_vgpr_workitem_id 0
		.amdhsa_next_free_vgpr 1
		.amdhsa_next_free_sgpr 0
		.amdhsa_accum_offset 4
		.amdhsa_reserve_vcc 0
		.amdhsa_float_round_mode_32 0
		.amdhsa_float_round_mode_16_64 0
		.amdhsa_float_denorm_mode_32 3
		.amdhsa_float_denorm_mode_16_64 3
		.amdhsa_dx10_clamp 1
		.amdhsa_ieee_mode 1
		.amdhsa_fp16_overflow 0
		.amdhsa_tg_split 0
		.amdhsa_exception_fp_ieee_invalid_op 0
		.amdhsa_exception_fp_denorm_src 0
		.amdhsa_exception_fp_ieee_div_zero 0
		.amdhsa_exception_fp_ieee_overflow 0
		.amdhsa_exception_fp_ieee_underflow 0
		.amdhsa_exception_fp_ieee_inexact 0
		.amdhsa_exception_int_div_zero 0
	.end_amdhsa_kernel
	.section	.text._ZN7rocprim17ROCPRIM_400000_NS6detail17trampoline_kernelINS0_14default_configENS1_27scan_by_key_config_selectorIiiEEZZNS1_16scan_by_key_implILNS1_25lookback_scan_determinismE0ELb0ES3_N6thrust23THRUST_200600_302600_NS16reverse_iteratorIPKiEESD_NSA_IPiEEiN6hipcub16HIPCUB_304000_NS3MaxENSH_8EqualityEiEE10hipError_tPvRmT2_T3_T4_T5_mT6_T7_P12ihipStream_tbENKUlT_T0_E_clISt17integral_constantIbLb0EESZ_IbLb1EEEEDaSV_SW_EUlSV_E_NS1_11comp_targetILNS1_3genE8ELNS1_11target_archE1030ELNS1_3gpuE2ELNS1_3repE0EEENS1_30default_config_static_selectorELNS0_4arch9wavefront6targetE1EEEvT1_,"axG",@progbits,_ZN7rocprim17ROCPRIM_400000_NS6detail17trampoline_kernelINS0_14default_configENS1_27scan_by_key_config_selectorIiiEEZZNS1_16scan_by_key_implILNS1_25lookback_scan_determinismE0ELb0ES3_N6thrust23THRUST_200600_302600_NS16reverse_iteratorIPKiEESD_NSA_IPiEEiN6hipcub16HIPCUB_304000_NS3MaxENSH_8EqualityEiEE10hipError_tPvRmT2_T3_T4_T5_mT6_T7_P12ihipStream_tbENKUlT_T0_E_clISt17integral_constantIbLb0EESZ_IbLb1EEEEDaSV_SW_EUlSV_E_NS1_11comp_targetILNS1_3genE8ELNS1_11target_archE1030ELNS1_3gpuE2ELNS1_3repE0EEENS1_30default_config_static_selectorELNS0_4arch9wavefront6targetE1EEEvT1_,comdat
.Lfunc_end91:
	.size	_ZN7rocprim17ROCPRIM_400000_NS6detail17trampoline_kernelINS0_14default_configENS1_27scan_by_key_config_selectorIiiEEZZNS1_16scan_by_key_implILNS1_25lookback_scan_determinismE0ELb0ES3_N6thrust23THRUST_200600_302600_NS16reverse_iteratorIPKiEESD_NSA_IPiEEiN6hipcub16HIPCUB_304000_NS3MaxENSH_8EqualityEiEE10hipError_tPvRmT2_T3_T4_T5_mT6_T7_P12ihipStream_tbENKUlT_T0_E_clISt17integral_constantIbLb0EESZ_IbLb1EEEEDaSV_SW_EUlSV_E_NS1_11comp_targetILNS1_3genE8ELNS1_11target_archE1030ELNS1_3gpuE2ELNS1_3repE0EEENS1_30default_config_static_selectorELNS0_4arch9wavefront6targetE1EEEvT1_, .Lfunc_end91-_ZN7rocprim17ROCPRIM_400000_NS6detail17trampoline_kernelINS0_14default_configENS1_27scan_by_key_config_selectorIiiEEZZNS1_16scan_by_key_implILNS1_25lookback_scan_determinismE0ELb0ES3_N6thrust23THRUST_200600_302600_NS16reverse_iteratorIPKiEESD_NSA_IPiEEiN6hipcub16HIPCUB_304000_NS3MaxENSH_8EqualityEiEE10hipError_tPvRmT2_T3_T4_T5_mT6_T7_P12ihipStream_tbENKUlT_T0_E_clISt17integral_constantIbLb0EESZ_IbLb1EEEEDaSV_SW_EUlSV_E_NS1_11comp_targetILNS1_3genE8ELNS1_11target_archE1030ELNS1_3gpuE2ELNS1_3repE0EEENS1_30default_config_static_selectorELNS0_4arch9wavefront6targetE1EEEvT1_
                                        ; -- End function
	.section	.AMDGPU.csdata,"",@progbits
; Kernel info:
; codeLenInByte = 0
; NumSgprs: 6
; NumVgprs: 0
; NumAgprs: 0
; TotalNumVgprs: 0
; ScratchSize: 0
; MemoryBound: 0
; FloatMode: 240
; IeeeMode: 1
; LDSByteSize: 0 bytes/workgroup (compile time only)
; SGPRBlocks: 0
; VGPRBlocks: 0
; NumSGPRsForWavesPerEU: 6
; NumVGPRsForWavesPerEU: 1
; AccumOffset: 4
; Occupancy: 8
; WaveLimiterHint : 0
; COMPUTE_PGM_RSRC2:SCRATCH_EN: 0
; COMPUTE_PGM_RSRC2:USER_SGPR: 2
; COMPUTE_PGM_RSRC2:TRAP_HANDLER: 0
; COMPUTE_PGM_RSRC2:TGID_X_EN: 1
; COMPUTE_PGM_RSRC2:TGID_Y_EN: 0
; COMPUTE_PGM_RSRC2:TGID_Z_EN: 0
; COMPUTE_PGM_RSRC2:TIDIG_COMP_CNT: 0
; COMPUTE_PGM_RSRC3_GFX90A:ACCUM_OFFSET: 0
; COMPUTE_PGM_RSRC3_GFX90A:TG_SPLIT: 0
	.section	.text._ZN7rocprim17ROCPRIM_400000_NS6detail30init_device_scan_by_key_kernelINS1_19lookback_scan_stateINS0_5tupleIJlbEEELb0ELb0EEEPKljNS1_16block_id_wrapperIjLb0EEEEEvT_jjPNSB_10value_typeET0_PNSt15iterator_traitsISE_E10value_typeEmT1_T2_,"axG",@progbits,_ZN7rocprim17ROCPRIM_400000_NS6detail30init_device_scan_by_key_kernelINS1_19lookback_scan_stateINS0_5tupleIJlbEEELb0ELb0EEEPKljNS1_16block_id_wrapperIjLb0EEEEEvT_jjPNSB_10value_typeET0_PNSt15iterator_traitsISE_E10value_typeEmT1_T2_,comdat
	.protected	_ZN7rocprim17ROCPRIM_400000_NS6detail30init_device_scan_by_key_kernelINS1_19lookback_scan_stateINS0_5tupleIJlbEEELb0ELb0EEEPKljNS1_16block_id_wrapperIjLb0EEEEEvT_jjPNSB_10value_typeET0_PNSt15iterator_traitsISE_E10value_typeEmT1_T2_ ; -- Begin function _ZN7rocprim17ROCPRIM_400000_NS6detail30init_device_scan_by_key_kernelINS1_19lookback_scan_stateINS0_5tupleIJlbEEELb0ELb0EEEPKljNS1_16block_id_wrapperIjLb0EEEEEvT_jjPNSB_10value_typeET0_PNSt15iterator_traitsISE_E10value_typeEmT1_T2_
	.globl	_ZN7rocprim17ROCPRIM_400000_NS6detail30init_device_scan_by_key_kernelINS1_19lookback_scan_stateINS0_5tupleIJlbEEELb0ELb0EEEPKljNS1_16block_id_wrapperIjLb0EEEEEvT_jjPNSB_10value_typeET0_PNSt15iterator_traitsISE_E10value_typeEmT1_T2_
	.p2align	8
	.type	_ZN7rocprim17ROCPRIM_400000_NS6detail30init_device_scan_by_key_kernelINS1_19lookback_scan_stateINS0_5tupleIJlbEEELb0ELb0EEEPKljNS1_16block_id_wrapperIjLb0EEEEEvT_jjPNSB_10value_typeET0_PNSt15iterator_traitsISE_E10value_typeEmT1_T2_,@function
_ZN7rocprim17ROCPRIM_400000_NS6detail30init_device_scan_by_key_kernelINS1_19lookback_scan_stateINS0_5tupleIJlbEEELb0ELb0EEEPKljNS1_16block_id_wrapperIjLb0EEEEEvT_jjPNSB_10value_typeET0_PNSt15iterator_traitsISE_E10value_typeEmT1_T2_: ; @_ZN7rocprim17ROCPRIM_400000_NS6detail30init_device_scan_by_key_kernelINS1_19lookback_scan_stateINS0_5tupleIJlbEEELb0ELb0EEEPKljNS1_16block_id_wrapperIjLb0EEEEEvT_jjPNSB_10value_typeET0_PNSt15iterator_traitsISE_E10value_typeEmT1_T2_
; %bb.0:
	s_load_dword s3, s[0:1], 0x54
	s_load_dwordx8 s[4:11], s[0:1], 0x10
	s_load_dword s20, s[0:1], 0x48
	s_waitcnt lgkmcnt(0)
	s_and_b32 s21, s3, 0xffff
	s_mul_i32 s2, s2, s21
	s_cmp_eq_u64 s[8:9], 0
	v_add_u32_e32 v0, s2, v0
	s_cbranch_scc1 .LBB92_7
; %bb.1:
	s_cmp_lt_u32 s7, s6
	s_cselect_b32 s2, s7, 0
	s_mov_b32 s17, 0
	v_cmp_eq_u32_e32 vcc, s2, v0
	s_and_saveexec_b64 s[2:3], vcc
	s_cbranch_execz .LBB92_6
; %bb.2:
	s_add_i32 s16, s7, 64
	v_mov_b32_e32 v1, s16
	global_load_ubyte v1, v1, s[4:5] sc1
	s_load_dwordx4 s[12:15], s[0:1], 0x0
	s_add_u32 s18, s4, s16
	s_addc_u32 s19, s5, 0
	s_waitcnt vmcnt(0)
	v_cmp_ne_u16_e32 vcc, 0, v1
	v_readfirstlane_b32 s7, v1
	s_cbranch_vccnz .LBB92_5
; %bb.3:
	v_mov_b32_e32 v1, 0
.LBB92_4:                               ; =>This Inner Loop Header: Depth=1
	global_load_ubyte v2, v1, s[18:19] sc1
	s_waitcnt vmcnt(0)
	v_cmp_eq_u16_e32 vcc, 0, v2
	v_readfirstlane_b32 s7, v2
	s_cbranch_vccnz .LBB92_4
.LBB92_5:
	s_and_b32 s7, 0xffff, s7
	s_cmp_eq_u32 s7, 1
	s_waitcnt lgkmcnt(0)
	s_cselect_b32 s7, s13, s15
	s_cselect_b32 s14, s12, s14
	s_lshl_b64 s[12:13], s[16:17], 4
	s_add_u32 s12, s14, s12
	s_addc_u32 s13, s7, s13
	v_mov_b32_e32 v1, 0
	s_waitcnt vmcnt(0)
	global_load_dword v2, v1, s[12:13] sc1
	global_load_dword v3, v1, s[12:13] offset:4 sc1
	global_load_dword v4, v1, s[12:13] offset:8 sc1
	;; [unrolled: 1-line block ×3, first 2 shown]
	s_waitcnt vmcnt(2)
	global_store_dwordx2 v1, v[2:3], s[8:9]
	s_waitcnt vmcnt(2)
	global_store_byte v1, v4, s[8:9] offset:8
.LBB92_6:
	s_or_b64 exec, exec, s[2:3]
.LBB92_7:
	v_cmp_gt_u32_e32 vcc, s6, v0
	s_and_saveexec_b64 s[2:3], vcc
	s_cbranch_execz .LBB92_9
; %bb.8:
	v_add_u32_e32 v1, 64, v0
	v_mov_b32_e32 v2, 0
	global_store_byte v1, v2, s[4:5]
.LBB92_9:
	s_or_b64 exec, exec, s[2:3]
	v_cmp_gt_u32_e32 vcc, 64, v0
	v_mov_b32_e32 v1, 0
	s_and_saveexec_b64 s[2:3], vcc
	s_cbranch_execz .LBB92_11
; %bb.10:
	v_lshl_add_u64 v[2:3], s[4:5], 0, v[0:1]
	v_mov_b32_e32 v4, 0xff
	global_store_byte v[2:3], v4, off
.LBB92_11:
	s_or_b64 exec, exec, s[2:3]
	s_load_dwordx2 s[2:3], s[0:1], 0x38
	s_waitcnt lgkmcnt(0)
	v_cmp_gt_u64_e32 vcc, s[2:3], v[0:1]
	s_and_saveexec_b64 s[4:5], vcc
	s_cbranch_execz .LBB92_14
; %bb.12:
	s_load_dword s12, s[0:1], 0x40
	s_load_dwordx2 s[6:7], s[0:1], 0x30
	s_mov_b32 s5, 0
	s_mov_b32 s1, s5
	s_mul_i32 s0, s20, s21
	s_waitcnt lgkmcnt(0)
	s_add_i32 s4, s12, -1
	s_lshl_b64 s[4:5], s[4:5], 3
	s_add_u32 s4, s10, s4
	v_mad_u64_u32 v[2:3], s[8:9], s12, v0, 0
	s_addc_u32 s5, s11, s5
	v_lshl_add_u64 v[2:3], v[2:3], 3, s[4:5]
	s_mul_hi_u32 s5, s12, s0
	s_mul_i32 s4, s12, s0
	s_lshl_b64 s[4:5], s[4:5], 3
	s_waitcnt vmcnt(2)
	v_lshl_add_u64 v[4:5], v[0:1], 3, s[6:7]
	s_lshl_b64 s[6:7], s[0:1], 3
	s_mov_b64 s[8:9], 0
.LBB92_13:                              ; =>This Inner Loop Header: Depth=1
	global_load_dwordx2 v[6:7], v[2:3], off
	v_lshl_add_u64 v[0:1], v[0:1], 0, s[0:1]
	v_cmp_le_u64_e32 vcc, s[2:3], v[0:1]
	v_lshl_add_u64 v[2:3], v[2:3], 0, s[4:5]
	s_or_b64 s[8:9], vcc, s[8:9]
	s_waitcnt vmcnt(0)
	global_store_dwordx2 v[4:5], v[6:7], off
	v_lshl_add_u64 v[4:5], v[4:5], 0, s[6:7]
	s_andn2_b64 exec, exec, s[8:9]
	s_cbranch_execnz .LBB92_13
.LBB92_14:
	s_endpgm
	.section	.rodata,"a",@progbits
	.p2align	6, 0x0
	.amdhsa_kernel _ZN7rocprim17ROCPRIM_400000_NS6detail30init_device_scan_by_key_kernelINS1_19lookback_scan_stateINS0_5tupleIJlbEEELb0ELb0EEEPKljNS1_16block_id_wrapperIjLb0EEEEEvT_jjPNSB_10value_typeET0_PNSt15iterator_traitsISE_E10value_typeEmT1_T2_
		.amdhsa_group_segment_fixed_size 0
		.amdhsa_private_segment_fixed_size 0
		.amdhsa_kernarg_size 328
		.amdhsa_user_sgpr_count 2
		.amdhsa_user_sgpr_dispatch_ptr 0
		.amdhsa_user_sgpr_queue_ptr 0
		.amdhsa_user_sgpr_kernarg_segment_ptr 1
		.amdhsa_user_sgpr_dispatch_id 0
		.amdhsa_user_sgpr_kernarg_preload_length 0
		.amdhsa_user_sgpr_kernarg_preload_offset 0
		.amdhsa_user_sgpr_private_segment_size 0
		.amdhsa_uses_dynamic_stack 0
		.amdhsa_enable_private_segment 0
		.amdhsa_system_sgpr_workgroup_id_x 1
		.amdhsa_system_sgpr_workgroup_id_y 0
		.amdhsa_system_sgpr_workgroup_id_z 0
		.amdhsa_system_sgpr_workgroup_info 0
		.amdhsa_system_vgpr_workitem_id 0
		.amdhsa_next_free_vgpr 8
		.amdhsa_next_free_sgpr 22
		.amdhsa_accum_offset 8
		.amdhsa_reserve_vcc 1
		.amdhsa_float_round_mode_32 0
		.amdhsa_float_round_mode_16_64 0
		.amdhsa_float_denorm_mode_32 3
		.amdhsa_float_denorm_mode_16_64 3
		.amdhsa_dx10_clamp 1
		.amdhsa_ieee_mode 1
		.amdhsa_fp16_overflow 0
		.amdhsa_tg_split 0
		.amdhsa_exception_fp_ieee_invalid_op 0
		.amdhsa_exception_fp_denorm_src 0
		.amdhsa_exception_fp_ieee_div_zero 0
		.amdhsa_exception_fp_ieee_overflow 0
		.amdhsa_exception_fp_ieee_underflow 0
		.amdhsa_exception_fp_ieee_inexact 0
		.amdhsa_exception_int_div_zero 0
	.end_amdhsa_kernel
	.section	.text._ZN7rocprim17ROCPRIM_400000_NS6detail30init_device_scan_by_key_kernelINS1_19lookback_scan_stateINS0_5tupleIJlbEEELb0ELb0EEEPKljNS1_16block_id_wrapperIjLb0EEEEEvT_jjPNSB_10value_typeET0_PNSt15iterator_traitsISE_E10value_typeEmT1_T2_,"axG",@progbits,_ZN7rocprim17ROCPRIM_400000_NS6detail30init_device_scan_by_key_kernelINS1_19lookback_scan_stateINS0_5tupleIJlbEEELb0ELb0EEEPKljNS1_16block_id_wrapperIjLb0EEEEEvT_jjPNSB_10value_typeET0_PNSt15iterator_traitsISE_E10value_typeEmT1_T2_,comdat
.Lfunc_end92:
	.size	_ZN7rocprim17ROCPRIM_400000_NS6detail30init_device_scan_by_key_kernelINS1_19lookback_scan_stateINS0_5tupleIJlbEEELb0ELb0EEEPKljNS1_16block_id_wrapperIjLb0EEEEEvT_jjPNSB_10value_typeET0_PNSt15iterator_traitsISE_E10value_typeEmT1_T2_, .Lfunc_end92-_ZN7rocprim17ROCPRIM_400000_NS6detail30init_device_scan_by_key_kernelINS1_19lookback_scan_stateINS0_5tupleIJlbEEELb0ELb0EEEPKljNS1_16block_id_wrapperIjLb0EEEEEvT_jjPNSB_10value_typeET0_PNSt15iterator_traitsISE_E10value_typeEmT1_T2_
                                        ; -- End function
	.section	.AMDGPU.csdata,"",@progbits
; Kernel info:
; codeLenInByte = 516
; NumSgprs: 28
; NumVgprs: 8
; NumAgprs: 0
; TotalNumVgprs: 8
; ScratchSize: 0
; MemoryBound: 0
; FloatMode: 240
; IeeeMode: 1
; LDSByteSize: 0 bytes/workgroup (compile time only)
; SGPRBlocks: 3
; VGPRBlocks: 0
; NumSGPRsForWavesPerEU: 28
; NumVGPRsForWavesPerEU: 8
; AccumOffset: 8
; Occupancy: 8
; WaveLimiterHint : 0
; COMPUTE_PGM_RSRC2:SCRATCH_EN: 0
; COMPUTE_PGM_RSRC2:USER_SGPR: 2
; COMPUTE_PGM_RSRC2:TRAP_HANDLER: 0
; COMPUTE_PGM_RSRC2:TGID_X_EN: 1
; COMPUTE_PGM_RSRC2:TGID_Y_EN: 0
; COMPUTE_PGM_RSRC2:TGID_Z_EN: 0
; COMPUTE_PGM_RSRC2:TIDIG_COMP_CNT: 0
; COMPUTE_PGM_RSRC3_GFX90A:ACCUM_OFFSET: 1
; COMPUTE_PGM_RSRC3_GFX90A:TG_SPLIT: 0
	.section	.text._ZN7rocprim17ROCPRIM_400000_NS6detail30init_device_scan_by_key_kernelINS1_19lookback_scan_stateINS0_5tupleIJlbEEELb0ELb0EEENS1_16block_id_wrapperIjLb0EEEEEvT_jjPNS9_10value_typeET0_,"axG",@progbits,_ZN7rocprim17ROCPRIM_400000_NS6detail30init_device_scan_by_key_kernelINS1_19lookback_scan_stateINS0_5tupleIJlbEEELb0ELb0EEENS1_16block_id_wrapperIjLb0EEEEEvT_jjPNS9_10value_typeET0_,comdat
	.protected	_ZN7rocprim17ROCPRIM_400000_NS6detail30init_device_scan_by_key_kernelINS1_19lookback_scan_stateINS0_5tupleIJlbEEELb0ELb0EEENS1_16block_id_wrapperIjLb0EEEEEvT_jjPNS9_10value_typeET0_ ; -- Begin function _ZN7rocprim17ROCPRIM_400000_NS6detail30init_device_scan_by_key_kernelINS1_19lookback_scan_stateINS0_5tupleIJlbEEELb0ELb0EEENS1_16block_id_wrapperIjLb0EEEEEvT_jjPNS9_10value_typeET0_
	.globl	_ZN7rocprim17ROCPRIM_400000_NS6detail30init_device_scan_by_key_kernelINS1_19lookback_scan_stateINS0_5tupleIJlbEEELb0ELb0EEENS1_16block_id_wrapperIjLb0EEEEEvT_jjPNS9_10value_typeET0_
	.p2align	8
	.type	_ZN7rocprim17ROCPRIM_400000_NS6detail30init_device_scan_by_key_kernelINS1_19lookback_scan_stateINS0_5tupleIJlbEEELb0ELb0EEENS1_16block_id_wrapperIjLb0EEEEEvT_jjPNS9_10value_typeET0_,@function
_ZN7rocprim17ROCPRIM_400000_NS6detail30init_device_scan_by_key_kernelINS1_19lookback_scan_stateINS0_5tupleIJlbEEELb0ELb0EEENS1_16block_id_wrapperIjLb0EEEEEvT_jjPNS9_10value_typeET0_: ; @_ZN7rocprim17ROCPRIM_400000_NS6detail30init_device_scan_by_key_kernelINS1_19lookback_scan_stateINS0_5tupleIJlbEEELb0ELb0EEENS1_16block_id_wrapperIjLb0EEEEEvT_jjPNS9_10value_typeET0_
; %bb.0:
	s_load_dword s3, s[0:1], 0x3c
	s_load_dwordx2 s[8:9], s[0:1], 0x20
	s_load_dwordx4 s[4:7], s[0:1], 0x10
	s_waitcnt lgkmcnt(0)
	s_and_b32 s3, s3, 0xffff
	s_mul_i32 s2, s2, s3
	s_cmp_eq_u64 s[8:9], 0
	v_add_u32_e32 v0, s2, v0
	s_cbranch_scc1 .LBB93_7
; %bb.1:
	s_cmp_lt_u32 s7, s6
	s_cselect_b32 s2, s7, 0
	s_mov_b32 s13, 0
	v_cmp_eq_u32_e32 vcc, s2, v0
	s_and_saveexec_b64 s[10:11], vcc
	s_cbranch_execz .LBB93_6
; %bb.2:
	s_add_i32 s12, s7, 64
	v_mov_b32_e32 v1, s12
	global_load_ubyte v1, v1, s[4:5] sc1
	s_load_dwordx4 s[0:3], s[0:1], 0x0
	s_add_u32 s14, s4, s12
	s_addc_u32 s15, s5, 0
	s_waitcnt vmcnt(0)
	v_cmp_ne_u16_e32 vcc, 0, v1
	v_readfirstlane_b32 s7, v1
	s_cbranch_vccnz .LBB93_5
; %bb.3:
	v_mov_b32_e32 v1, 0
.LBB93_4:                               ; =>This Inner Loop Header: Depth=1
	global_load_ubyte v2, v1, s[14:15] sc1
	s_waitcnt vmcnt(0)
	v_cmp_eq_u16_e32 vcc, 0, v2
	v_readfirstlane_b32 s7, v2
	s_cbranch_vccnz .LBB93_4
.LBB93_5:
	s_and_b32 s7, 0xffff, s7
	s_cmp_eq_u32 s7, 1
	s_waitcnt lgkmcnt(0)
	s_cselect_b32 s3, s1, s3
	s_cselect_b32 s2, s0, s2
	s_lshl_b64 s[0:1], s[12:13], 4
	s_add_u32 s0, s2, s0
	s_addc_u32 s1, s3, s1
	v_mov_b32_e32 v1, 0
	s_waitcnt vmcnt(0)
	global_load_dword v2, v1, s[0:1] sc1
	global_load_dword v3, v1, s[0:1] offset:4 sc1
	global_load_dword v4, v1, s[0:1] offset:8 sc1
	global_load_dword v5, v1, s[0:1] offset:12 sc1
	s_waitcnt vmcnt(2)
	global_store_dwordx2 v1, v[2:3], s[8:9]
	s_waitcnt vmcnt(2)
	global_store_byte v1, v4, s[8:9] offset:8
.LBB93_6:
	s_or_b64 exec, exec, s[10:11]
.LBB93_7:
	v_cmp_gt_u32_e32 vcc, s6, v0
	s_and_saveexec_b64 s[0:1], vcc
	s_cbranch_execnz .LBB93_10
; %bb.8:
	s_or_b64 exec, exec, s[0:1]
	v_cmp_gt_u32_e32 vcc, 64, v0
	s_and_saveexec_b64 s[0:1], vcc
	s_cbranch_execnz .LBB93_11
.LBB93_9:
	s_endpgm
.LBB93_10:
	v_add_u32_e32 v1, 64, v0
	v_mov_b32_e32 v2, 0
	global_store_byte v1, v2, s[4:5]
	s_or_b64 exec, exec, s[0:1]
	v_cmp_gt_u32_e32 vcc, 64, v0
	s_and_saveexec_b64 s[0:1], vcc
	s_cbranch_execz .LBB93_9
.LBB93_11:
	v_mov_b32_e32 v1, 0xff
	global_store_byte v0, v1, s[4:5]
	s_endpgm
	.section	.rodata,"a",@progbits
	.p2align	6, 0x0
	.amdhsa_kernel _ZN7rocprim17ROCPRIM_400000_NS6detail30init_device_scan_by_key_kernelINS1_19lookback_scan_stateINS0_5tupleIJlbEEELb0ELb0EEENS1_16block_id_wrapperIjLb0EEEEEvT_jjPNS9_10value_typeET0_
		.amdhsa_group_segment_fixed_size 0
		.amdhsa_private_segment_fixed_size 0
		.amdhsa_kernarg_size 304
		.amdhsa_user_sgpr_count 2
		.amdhsa_user_sgpr_dispatch_ptr 0
		.amdhsa_user_sgpr_queue_ptr 0
		.amdhsa_user_sgpr_kernarg_segment_ptr 1
		.amdhsa_user_sgpr_dispatch_id 0
		.amdhsa_user_sgpr_kernarg_preload_length 0
		.amdhsa_user_sgpr_kernarg_preload_offset 0
		.amdhsa_user_sgpr_private_segment_size 0
		.amdhsa_uses_dynamic_stack 0
		.amdhsa_enable_private_segment 0
		.amdhsa_system_sgpr_workgroup_id_x 1
		.amdhsa_system_sgpr_workgroup_id_y 0
		.amdhsa_system_sgpr_workgroup_id_z 0
		.amdhsa_system_sgpr_workgroup_info 0
		.amdhsa_system_vgpr_workitem_id 0
		.amdhsa_next_free_vgpr 6
		.amdhsa_next_free_sgpr 16
		.amdhsa_accum_offset 8
		.amdhsa_reserve_vcc 1
		.amdhsa_float_round_mode_32 0
		.amdhsa_float_round_mode_16_64 0
		.amdhsa_float_denorm_mode_32 3
		.amdhsa_float_denorm_mode_16_64 3
		.amdhsa_dx10_clamp 1
		.amdhsa_ieee_mode 1
		.amdhsa_fp16_overflow 0
		.amdhsa_tg_split 0
		.amdhsa_exception_fp_ieee_invalid_op 0
		.amdhsa_exception_fp_denorm_src 0
		.amdhsa_exception_fp_ieee_div_zero 0
		.amdhsa_exception_fp_ieee_overflow 0
		.amdhsa_exception_fp_ieee_underflow 0
		.amdhsa_exception_fp_ieee_inexact 0
		.amdhsa_exception_int_div_zero 0
	.end_amdhsa_kernel
	.section	.text._ZN7rocprim17ROCPRIM_400000_NS6detail30init_device_scan_by_key_kernelINS1_19lookback_scan_stateINS0_5tupleIJlbEEELb0ELb0EEENS1_16block_id_wrapperIjLb0EEEEEvT_jjPNS9_10value_typeET0_,"axG",@progbits,_ZN7rocprim17ROCPRIM_400000_NS6detail30init_device_scan_by_key_kernelINS1_19lookback_scan_stateINS0_5tupleIJlbEEELb0ELb0EEENS1_16block_id_wrapperIjLb0EEEEEvT_jjPNS9_10value_typeET0_,comdat
.Lfunc_end93:
	.size	_ZN7rocprim17ROCPRIM_400000_NS6detail30init_device_scan_by_key_kernelINS1_19lookback_scan_stateINS0_5tupleIJlbEEELb0ELb0EEENS1_16block_id_wrapperIjLb0EEEEEvT_jjPNS9_10value_typeET0_, .Lfunc_end93-_ZN7rocprim17ROCPRIM_400000_NS6detail30init_device_scan_by_key_kernelINS1_19lookback_scan_stateINS0_5tupleIJlbEEELb0ELb0EEENS1_16block_id_wrapperIjLb0EEEEEvT_jjPNS9_10value_typeET0_
                                        ; -- End function
	.section	.AMDGPU.csdata,"",@progbits
; Kernel info:
; codeLenInByte = 340
; NumSgprs: 22
; NumVgprs: 6
; NumAgprs: 0
; TotalNumVgprs: 6
; ScratchSize: 0
; MemoryBound: 0
; FloatMode: 240
; IeeeMode: 1
; LDSByteSize: 0 bytes/workgroup (compile time only)
; SGPRBlocks: 2
; VGPRBlocks: 0
; NumSGPRsForWavesPerEU: 22
; NumVGPRsForWavesPerEU: 6
; AccumOffset: 8
; Occupancy: 8
; WaveLimiterHint : 0
; COMPUTE_PGM_RSRC2:SCRATCH_EN: 0
; COMPUTE_PGM_RSRC2:USER_SGPR: 2
; COMPUTE_PGM_RSRC2:TRAP_HANDLER: 0
; COMPUTE_PGM_RSRC2:TGID_X_EN: 1
; COMPUTE_PGM_RSRC2:TGID_Y_EN: 0
; COMPUTE_PGM_RSRC2:TGID_Z_EN: 0
; COMPUTE_PGM_RSRC2:TIDIG_COMP_CNT: 0
; COMPUTE_PGM_RSRC3_GFX90A:ACCUM_OFFSET: 1
; COMPUTE_PGM_RSRC3_GFX90A:TG_SPLIT: 0
	.section	.text._ZN7rocprim17ROCPRIM_400000_NS6detail17trampoline_kernelINS0_14default_configENS1_27scan_by_key_config_selectorIllEEZZNS1_16scan_by_key_implILNS1_25lookback_scan_determinismE0ELb0ES3_PKlN6hipcub16HIPCUB_304000_NS21ConstantInputIteratorIllEEPllNSB_3SumENSB_8EqualityElEE10hipError_tPvRmT2_T3_T4_T5_mT6_T7_P12ihipStream_tbENKUlT_T0_E_clISt17integral_constantIbLb0EESX_EEDaSS_ST_EUlSS_E_NS1_11comp_targetILNS1_3genE0ELNS1_11target_archE4294967295ELNS1_3gpuE0ELNS1_3repE0EEENS1_30default_config_static_selectorELNS0_4arch9wavefront6targetE1EEEvT1_,"axG",@progbits,_ZN7rocprim17ROCPRIM_400000_NS6detail17trampoline_kernelINS0_14default_configENS1_27scan_by_key_config_selectorIllEEZZNS1_16scan_by_key_implILNS1_25lookback_scan_determinismE0ELb0ES3_PKlN6hipcub16HIPCUB_304000_NS21ConstantInputIteratorIllEEPllNSB_3SumENSB_8EqualityElEE10hipError_tPvRmT2_T3_T4_T5_mT6_T7_P12ihipStream_tbENKUlT_T0_E_clISt17integral_constantIbLb0EESX_EEDaSS_ST_EUlSS_E_NS1_11comp_targetILNS1_3genE0ELNS1_11target_archE4294967295ELNS1_3gpuE0ELNS1_3repE0EEENS1_30default_config_static_selectorELNS0_4arch9wavefront6targetE1EEEvT1_,comdat
	.protected	_ZN7rocprim17ROCPRIM_400000_NS6detail17trampoline_kernelINS0_14default_configENS1_27scan_by_key_config_selectorIllEEZZNS1_16scan_by_key_implILNS1_25lookback_scan_determinismE0ELb0ES3_PKlN6hipcub16HIPCUB_304000_NS21ConstantInputIteratorIllEEPllNSB_3SumENSB_8EqualityElEE10hipError_tPvRmT2_T3_T4_T5_mT6_T7_P12ihipStream_tbENKUlT_T0_E_clISt17integral_constantIbLb0EESX_EEDaSS_ST_EUlSS_E_NS1_11comp_targetILNS1_3genE0ELNS1_11target_archE4294967295ELNS1_3gpuE0ELNS1_3repE0EEENS1_30default_config_static_selectorELNS0_4arch9wavefront6targetE1EEEvT1_ ; -- Begin function _ZN7rocprim17ROCPRIM_400000_NS6detail17trampoline_kernelINS0_14default_configENS1_27scan_by_key_config_selectorIllEEZZNS1_16scan_by_key_implILNS1_25lookback_scan_determinismE0ELb0ES3_PKlN6hipcub16HIPCUB_304000_NS21ConstantInputIteratorIllEEPllNSB_3SumENSB_8EqualityElEE10hipError_tPvRmT2_T3_T4_T5_mT6_T7_P12ihipStream_tbENKUlT_T0_E_clISt17integral_constantIbLb0EESX_EEDaSS_ST_EUlSS_E_NS1_11comp_targetILNS1_3genE0ELNS1_11target_archE4294967295ELNS1_3gpuE0ELNS1_3repE0EEENS1_30default_config_static_selectorELNS0_4arch9wavefront6targetE1EEEvT1_
	.globl	_ZN7rocprim17ROCPRIM_400000_NS6detail17trampoline_kernelINS0_14default_configENS1_27scan_by_key_config_selectorIllEEZZNS1_16scan_by_key_implILNS1_25lookback_scan_determinismE0ELb0ES3_PKlN6hipcub16HIPCUB_304000_NS21ConstantInputIteratorIllEEPllNSB_3SumENSB_8EqualityElEE10hipError_tPvRmT2_T3_T4_T5_mT6_T7_P12ihipStream_tbENKUlT_T0_E_clISt17integral_constantIbLb0EESX_EEDaSS_ST_EUlSS_E_NS1_11comp_targetILNS1_3genE0ELNS1_11target_archE4294967295ELNS1_3gpuE0ELNS1_3repE0EEENS1_30default_config_static_selectorELNS0_4arch9wavefront6targetE1EEEvT1_
	.p2align	8
	.type	_ZN7rocprim17ROCPRIM_400000_NS6detail17trampoline_kernelINS0_14default_configENS1_27scan_by_key_config_selectorIllEEZZNS1_16scan_by_key_implILNS1_25lookback_scan_determinismE0ELb0ES3_PKlN6hipcub16HIPCUB_304000_NS21ConstantInputIteratorIllEEPllNSB_3SumENSB_8EqualityElEE10hipError_tPvRmT2_T3_T4_T5_mT6_T7_P12ihipStream_tbENKUlT_T0_E_clISt17integral_constantIbLb0EESX_EEDaSS_ST_EUlSS_E_NS1_11comp_targetILNS1_3genE0ELNS1_11target_archE4294967295ELNS1_3gpuE0ELNS1_3repE0EEENS1_30default_config_static_selectorELNS0_4arch9wavefront6targetE1EEEvT1_,@function
_ZN7rocprim17ROCPRIM_400000_NS6detail17trampoline_kernelINS0_14default_configENS1_27scan_by_key_config_selectorIllEEZZNS1_16scan_by_key_implILNS1_25lookback_scan_determinismE0ELb0ES3_PKlN6hipcub16HIPCUB_304000_NS21ConstantInputIteratorIllEEPllNSB_3SumENSB_8EqualityElEE10hipError_tPvRmT2_T3_T4_T5_mT6_T7_P12ihipStream_tbENKUlT_T0_E_clISt17integral_constantIbLb0EESX_EEDaSS_ST_EUlSS_E_NS1_11comp_targetILNS1_3genE0ELNS1_11target_archE4294967295ELNS1_3gpuE0ELNS1_3repE0EEENS1_30default_config_static_selectorELNS0_4arch9wavefront6targetE1EEEvT1_: ; @_ZN7rocprim17ROCPRIM_400000_NS6detail17trampoline_kernelINS0_14default_configENS1_27scan_by_key_config_selectorIllEEZZNS1_16scan_by_key_implILNS1_25lookback_scan_determinismE0ELb0ES3_PKlN6hipcub16HIPCUB_304000_NS21ConstantInputIteratorIllEEPllNSB_3SumENSB_8EqualityElEE10hipError_tPvRmT2_T3_T4_T5_mT6_T7_P12ihipStream_tbENKUlT_T0_E_clISt17integral_constantIbLb0EESX_EEDaSS_ST_EUlSS_E_NS1_11comp_targetILNS1_3genE0ELNS1_11target_archE4294967295ELNS1_3gpuE0ELNS1_3repE0EEENS1_30default_config_static_selectorELNS0_4arch9wavefront6targetE1EEEvT1_
; %bb.0:
	.section	.rodata,"a",@progbits
	.p2align	6, 0x0
	.amdhsa_kernel _ZN7rocprim17ROCPRIM_400000_NS6detail17trampoline_kernelINS0_14default_configENS1_27scan_by_key_config_selectorIllEEZZNS1_16scan_by_key_implILNS1_25lookback_scan_determinismE0ELb0ES3_PKlN6hipcub16HIPCUB_304000_NS21ConstantInputIteratorIllEEPllNSB_3SumENSB_8EqualityElEE10hipError_tPvRmT2_T3_T4_T5_mT6_T7_P12ihipStream_tbENKUlT_T0_E_clISt17integral_constantIbLb0EESX_EEDaSS_ST_EUlSS_E_NS1_11comp_targetILNS1_3genE0ELNS1_11target_archE4294967295ELNS1_3gpuE0ELNS1_3repE0EEENS1_30default_config_static_selectorELNS0_4arch9wavefront6targetE1EEEvT1_
		.amdhsa_group_segment_fixed_size 0
		.amdhsa_private_segment_fixed_size 0
		.amdhsa_kernarg_size 144
		.amdhsa_user_sgpr_count 2
		.amdhsa_user_sgpr_dispatch_ptr 0
		.amdhsa_user_sgpr_queue_ptr 0
		.amdhsa_user_sgpr_kernarg_segment_ptr 1
		.amdhsa_user_sgpr_dispatch_id 0
		.amdhsa_user_sgpr_kernarg_preload_length 0
		.amdhsa_user_sgpr_kernarg_preload_offset 0
		.amdhsa_user_sgpr_private_segment_size 0
		.amdhsa_uses_dynamic_stack 0
		.amdhsa_enable_private_segment 0
		.amdhsa_system_sgpr_workgroup_id_x 1
		.amdhsa_system_sgpr_workgroup_id_y 0
		.amdhsa_system_sgpr_workgroup_id_z 0
		.amdhsa_system_sgpr_workgroup_info 0
		.amdhsa_system_vgpr_workitem_id 0
		.amdhsa_next_free_vgpr 1
		.amdhsa_next_free_sgpr 0
		.amdhsa_accum_offset 4
		.amdhsa_reserve_vcc 0
		.amdhsa_float_round_mode_32 0
		.amdhsa_float_round_mode_16_64 0
		.amdhsa_float_denorm_mode_32 3
		.amdhsa_float_denorm_mode_16_64 3
		.amdhsa_dx10_clamp 1
		.amdhsa_ieee_mode 1
		.amdhsa_fp16_overflow 0
		.amdhsa_tg_split 0
		.amdhsa_exception_fp_ieee_invalid_op 0
		.amdhsa_exception_fp_denorm_src 0
		.amdhsa_exception_fp_ieee_div_zero 0
		.amdhsa_exception_fp_ieee_overflow 0
		.amdhsa_exception_fp_ieee_underflow 0
		.amdhsa_exception_fp_ieee_inexact 0
		.amdhsa_exception_int_div_zero 0
	.end_amdhsa_kernel
	.section	.text._ZN7rocprim17ROCPRIM_400000_NS6detail17trampoline_kernelINS0_14default_configENS1_27scan_by_key_config_selectorIllEEZZNS1_16scan_by_key_implILNS1_25lookback_scan_determinismE0ELb0ES3_PKlN6hipcub16HIPCUB_304000_NS21ConstantInputIteratorIllEEPllNSB_3SumENSB_8EqualityElEE10hipError_tPvRmT2_T3_T4_T5_mT6_T7_P12ihipStream_tbENKUlT_T0_E_clISt17integral_constantIbLb0EESX_EEDaSS_ST_EUlSS_E_NS1_11comp_targetILNS1_3genE0ELNS1_11target_archE4294967295ELNS1_3gpuE0ELNS1_3repE0EEENS1_30default_config_static_selectorELNS0_4arch9wavefront6targetE1EEEvT1_,"axG",@progbits,_ZN7rocprim17ROCPRIM_400000_NS6detail17trampoline_kernelINS0_14default_configENS1_27scan_by_key_config_selectorIllEEZZNS1_16scan_by_key_implILNS1_25lookback_scan_determinismE0ELb0ES3_PKlN6hipcub16HIPCUB_304000_NS21ConstantInputIteratorIllEEPllNSB_3SumENSB_8EqualityElEE10hipError_tPvRmT2_T3_T4_T5_mT6_T7_P12ihipStream_tbENKUlT_T0_E_clISt17integral_constantIbLb0EESX_EEDaSS_ST_EUlSS_E_NS1_11comp_targetILNS1_3genE0ELNS1_11target_archE4294967295ELNS1_3gpuE0ELNS1_3repE0EEENS1_30default_config_static_selectorELNS0_4arch9wavefront6targetE1EEEvT1_,comdat
.Lfunc_end94:
	.size	_ZN7rocprim17ROCPRIM_400000_NS6detail17trampoline_kernelINS0_14default_configENS1_27scan_by_key_config_selectorIllEEZZNS1_16scan_by_key_implILNS1_25lookback_scan_determinismE0ELb0ES3_PKlN6hipcub16HIPCUB_304000_NS21ConstantInputIteratorIllEEPllNSB_3SumENSB_8EqualityElEE10hipError_tPvRmT2_T3_T4_T5_mT6_T7_P12ihipStream_tbENKUlT_T0_E_clISt17integral_constantIbLb0EESX_EEDaSS_ST_EUlSS_E_NS1_11comp_targetILNS1_3genE0ELNS1_11target_archE4294967295ELNS1_3gpuE0ELNS1_3repE0EEENS1_30default_config_static_selectorELNS0_4arch9wavefront6targetE1EEEvT1_, .Lfunc_end94-_ZN7rocprim17ROCPRIM_400000_NS6detail17trampoline_kernelINS0_14default_configENS1_27scan_by_key_config_selectorIllEEZZNS1_16scan_by_key_implILNS1_25lookback_scan_determinismE0ELb0ES3_PKlN6hipcub16HIPCUB_304000_NS21ConstantInputIteratorIllEEPllNSB_3SumENSB_8EqualityElEE10hipError_tPvRmT2_T3_T4_T5_mT6_T7_P12ihipStream_tbENKUlT_T0_E_clISt17integral_constantIbLb0EESX_EEDaSS_ST_EUlSS_E_NS1_11comp_targetILNS1_3genE0ELNS1_11target_archE4294967295ELNS1_3gpuE0ELNS1_3repE0EEENS1_30default_config_static_selectorELNS0_4arch9wavefront6targetE1EEEvT1_
                                        ; -- End function
	.section	.AMDGPU.csdata,"",@progbits
; Kernel info:
; codeLenInByte = 0
; NumSgprs: 6
; NumVgprs: 0
; NumAgprs: 0
; TotalNumVgprs: 0
; ScratchSize: 0
; MemoryBound: 0
; FloatMode: 240
; IeeeMode: 1
; LDSByteSize: 0 bytes/workgroup (compile time only)
; SGPRBlocks: 0
; VGPRBlocks: 0
; NumSGPRsForWavesPerEU: 6
; NumVGPRsForWavesPerEU: 1
; AccumOffset: 4
; Occupancy: 8
; WaveLimiterHint : 0
; COMPUTE_PGM_RSRC2:SCRATCH_EN: 0
; COMPUTE_PGM_RSRC2:USER_SGPR: 2
; COMPUTE_PGM_RSRC2:TRAP_HANDLER: 0
; COMPUTE_PGM_RSRC2:TGID_X_EN: 1
; COMPUTE_PGM_RSRC2:TGID_Y_EN: 0
; COMPUTE_PGM_RSRC2:TGID_Z_EN: 0
; COMPUTE_PGM_RSRC2:TIDIG_COMP_CNT: 0
; COMPUTE_PGM_RSRC3_GFX90A:ACCUM_OFFSET: 0
; COMPUTE_PGM_RSRC3_GFX90A:TG_SPLIT: 0
	.section	.text._ZN7rocprim17ROCPRIM_400000_NS6detail17trampoline_kernelINS0_14default_configENS1_27scan_by_key_config_selectorIllEEZZNS1_16scan_by_key_implILNS1_25lookback_scan_determinismE0ELb0ES3_PKlN6hipcub16HIPCUB_304000_NS21ConstantInputIteratorIllEEPllNSB_3SumENSB_8EqualityElEE10hipError_tPvRmT2_T3_T4_T5_mT6_T7_P12ihipStream_tbENKUlT_T0_E_clISt17integral_constantIbLb0EESX_EEDaSS_ST_EUlSS_E_NS1_11comp_targetILNS1_3genE10ELNS1_11target_archE1201ELNS1_3gpuE5ELNS1_3repE0EEENS1_30default_config_static_selectorELNS0_4arch9wavefront6targetE1EEEvT1_,"axG",@progbits,_ZN7rocprim17ROCPRIM_400000_NS6detail17trampoline_kernelINS0_14default_configENS1_27scan_by_key_config_selectorIllEEZZNS1_16scan_by_key_implILNS1_25lookback_scan_determinismE0ELb0ES3_PKlN6hipcub16HIPCUB_304000_NS21ConstantInputIteratorIllEEPllNSB_3SumENSB_8EqualityElEE10hipError_tPvRmT2_T3_T4_T5_mT6_T7_P12ihipStream_tbENKUlT_T0_E_clISt17integral_constantIbLb0EESX_EEDaSS_ST_EUlSS_E_NS1_11comp_targetILNS1_3genE10ELNS1_11target_archE1201ELNS1_3gpuE5ELNS1_3repE0EEENS1_30default_config_static_selectorELNS0_4arch9wavefront6targetE1EEEvT1_,comdat
	.protected	_ZN7rocprim17ROCPRIM_400000_NS6detail17trampoline_kernelINS0_14default_configENS1_27scan_by_key_config_selectorIllEEZZNS1_16scan_by_key_implILNS1_25lookback_scan_determinismE0ELb0ES3_PKlN6hipcub16HIPCUB_304000_NS21ConstantInputIteratorIllEEPllNSB_3SumENSB_8EqualityElEE10hipError_tPvRmT2_T3_T4_T5_mT6_T7_P12ihipStream_tbENKUlT_T0_E_clISt17integral_constantIbLb0EESX_EEDaSS_ST_EUlSS_E_NS1_11comp_targetILNS1_3genE10ELNS1_11target_archE1201ELNS1_3gpuE5ELNS1_3repE0EEENS1_30default_config_static_selectorELNS0_4arch9wavefront6targetE1EEEvT1_ ; -- Begin function _ZN7rocprim17ROCPRIM_400000_NS6detail17trampoline_kernelINS0_14default_configENS1_27scan_by_key_config_selectorIllEEZZNS1_16scan_by_key_implILNS1_25lookback_scan_determinismE0ELb0ES3_PKlN6hipcub16HIPCUB_304000_NS21ConstantInputIteratorIllEEPllNSB_3SumENSB_8EqualityElEE10hipError_tPvRmT2_T3_T4_T5_mT6_T7_P12ihipStream_tbENKUlT_T0_E_clISt17integral_constantIbLb0EESX_EEDaSS_ST_EUlSS_E_NS1_11comp_targetILNS1_3genE10ELNS1_11target_archE1201ELNS1_3gpuE5ELNS1_3repE0EEENS1_30default_config_static_selectorELNS0_4arch9wavefront6targetE1EEEvT1_
	.globl	_ZN7rocprim17ROCPRIM_400000_NS6detail17trampoline_kernelINS0_14default_configENS1_27scan_by_key_config_selectorIllEEZZNS1_16scan_by_key_implILNS1_25lookback_scan_determinismE0ELb0ES3_PKlN6hipcub16HIPCUB_304000_NS21ConstantInputIteratorIllEEPllNSB_3SumENSB_8EqualityElEE10hipError_tPvRmT2_T3_T4_T5_mT6_T7_P12ihipStream_tbENKUlT_T0_E_clISt17integral_constantIbLb0EESX_EEDaSS_ST_EUlSS_E_NS1_11comp_targetILNS1_3genE10ELNS1_11target_archE1201ELNS1_3gpuE5ELNS1_3repE0EEENS1_30default_config_static_selectorELNS0_4arch9wavefront6targetE1EEEvT1_
	.p2align	8
	.type	_ZN7rocprim17ROCPRIM_400000_NS6detail17trampoline_kernelINS0_14default_configENS1_27scan_by_key_config_selectorIllEEZZNS1_16scan_by_key_implILNS1_25lookback_scan_determinismE0ELb0ES3_PKlN6hipcub16HIPCUB_304000_NS21ConstantInputIteratorIllEEPllNSB_3SumENSB_8EqualityElEE10hipError_tPvRmT2_T3_T4_T5_mT6_T7_P12ihipStream_tbENKUlT_T0_E_clISt17integral_constantIbLb0EESX_EEDaSS_ST_EUlSS_E_NS1_11comp_targetILNS1_3genE10ELNS1_11target_archE1201ELNS1_3gpuE5ELNS1_3repE0EEENS1_30default_config_static_selectorELNS0_4arch9wavefront6targetE1EEEvT1_,@function
_ZN7rocprim17ROCPRIM_400000_NS6detail17trampoline_kernelINS0_14default_configENS1_27scan_by_key_config_selectorIllEEZZNS1_16scan_by_key_implILNS1_25lookback_scan_determinismE0ELb0ES3_PKlN6hipcub16HIPCUB_304000_NS21ConstantInputIteratorIllEEPllNSB_3SumENSB_8EqualityElEE10hipError_tPvRmT2_T3_T4_T5_mT6_T7_P12ihipStream_tbENKUlT_T0_E_clISt17integral_constantIbLb0EESX_EEDaSS_ST_EUlSS_E_NS1_11comp_targetILNS1_3genE10ELNS1_11target_archE1201ELNS1_3gpuE5ELNS1_3repE0EEENS1_30default_config_static_selectorELNS0_4arch9wavefront6targetE1EEEvT1_: ; @_ZN7rocprim17ROCPRIM_400000_NS6detail17trampoline_kernelINS0_14default_configENS1_27scan_by_key_config_selectorIllEEZZNS1_16scan_by_key_implILNS1_25lookback_scan_determinismE0ELb0ES3_PKlN6hipcub16HIPCUB_304000_NS21ConstantInputIteratorIllEEPllNSB_3SumENSB_8EqualityElEE10hipError_tPvRmT2_T3_T4_T5_mT6_T7_P12ihipStream_tbENKUlT_T0_E_clISt17integral_constantIbLb0EESX_EEDaSS_ST_EUlSS_E_NS1_11comp_targetILNS1_3genE10ELNS1_11target_archE1201ELNS1_3gpuE5ELNS1_3repE0EEENS1_30default_config_static_selectorELNS0_4arch9wavefront6targetE1EEEvT1_
; %bb.0:
	.section	.rodata,"a",@progbits
	.p2align	6, 0x0
	.amdhsa_kernel _ZN7rocprim17ROCPRIM_400000_NS6detail17trampoline_kernelINS0_14default_configENS1_27scan_by_key_config_selectorIllEEZZNS1_16scan_by_key_implILNS1_25lookback_scan_determinismE0ELb0ES3_PKlN6hipcub16HIPCUB_304000_NS21ConstantInputIteratorIllEEPllNSB_3SumENSB_8EqualityElEE10hipError_tPvRmT2_T3_T4_T5_mT6_T7_P12ihipStream_tbENKUlT_T0_E_clISt17integral_constantIbLb0EESX_EEDaSS_ST_EUlSS_E_NS1_11comp_targetILNS1_3genE10ELNS1_11target_archE1201ELNS1_3gpuE5ELNS1_3repE0EEENS1_30default_config_static_selectorELNS0_4arch9wavefront6targetE1EEEvT1_
		.amdhsa_group_segment_fixed_size 0
		.amdhsa_private_segment_fixed_size 0
		.amdhsa_kernarg_size 144
		.amdhsa_user_sgpr_count 2
		.amdhsa_user_sgpr_dispatch_ptr 0
		.amdhsa_user_sgpr_queue_ptr 0
		.amdhsa_user_sgpr_kernarg_segment_ptr 1
		.amdhsa_user_sgpr_dispatch_id 0
		.amdhsa_user_sgpr_kernarg_preload_length 0
		.amdhsa_user_sgpr_kernarg_preload_offset 0
		.amdhsa_user_sgpr_private_segment_size 0
		.amdhsa_uses_dynamic_stack 0
		.amdhsa_enable_private_segment 0
		.amdhsa_system_sgpr_workgroup_id_x 1
		.amdhsa_system_sgpr_workgroup_id_y 0
		.amdhsa_system_sgpr_workgroup_id_z 0
		.amdhsa_system_sgpr_workgroup_info 0
		.amdhsa_system_vgpr_workitem_id 0
		.amdhsa_next_free_vgpr 1
		.amdhsa_next_free_sgpr 0
		.amdhsa_accum_offset 4
		.amdhsa_reserve_vcc 0
		.amdhsa_float_round_mode_32 0
		.amdhsa_float_round_mode_16_64 0
		.amdhsa_float_denorm_mode_32 3
		.amdhsa_float_denorm_mode_16_64 3
		.amdhsa_dx10_clamp 1
		.amdhsa_ieee_mode 1
		.amdhsa_fp16_overflow 0
		.amdhsa_tg_split 0
		.amdhsa_exception_fp_ieee_invalid_op 0
		.amdhsa_exception_fp_denorm_src 0
		.amdhsa_exception_fp_ieee_div_zero 0
		.amdhsa_exception_fp_ieee_overflow 0
		.amdhsa_exception_fp_ieee_underflow 0
		.amdhsa_exception_fp_ieee_inexact 0
		.amdhsa_exception_int_div_zero 0
	.end_amdhsa_kernel
	.section	.text._ZN7rocprim17ROCPRIM_400000_NS6detail17trampoline_kernelINS0_14default_configENS1_27scan_by_key_config_selectorIllEEZZNS1_16scan_by_key_implILNS1_25lookback_scan_determinismE0ELb0ES3_PKlN6hipcub16HIPCUB_304000_NS21ConstantInputIteratorIllEEPllNSB_3SumENSB_8EqualityElEE10hipError_tPvRmT2_T3_T4_T5_mT6_T7_P12ihipStream_tbENKUlT_T0_E_clISt17integral_constantIbLb0EESX_EEDaSS_ST_EUlSS_E_NS1_11comp_targetILNS1_3genE10ELNS1_11target_archE1201ELNS1_3gpuE5ELNS1_3repE0EEENS1_30default_config_static_selectorELNS0_4arch9wavefront6targetE1EEEvT1_,"axG",@progbits,_ZN7rocprim17ROCPRIM_400000_NS6detail17trampoline_kernelINS0_14default_configENS1_27scan_by_key_config_selectorIllEEZZNS1_16scan_by_key_implILNS1_25lookback_scan_determinismE0ELb0ES3_PKlN6hipcub16HIPCUB_304000_NS21ConstantInputIteratorIllEEPllNSB_3SumENSB_8EqualityElEE10hipError_tPvRmT2_T3_T4_T5_mT6_T7_P12ihipStream_tbENKUlT_T0_E_clISt17integral_constantIbLb0EESX_EEDaSS_ST_EUlSS_E_NS1_11comp_targetILNS1_3genE10ELNS1_11target_archE1201ELNS1_3gpuE5ELNS1_3repE0EEENS1_30default_config_static_selectorELNS0_4arch9wavefront6targetE1EEEvT1_,comdat
.Lfunc_end95:
	.size	_ZN7rocprim17ROCPRIM_400000_NS6detail17trampoline_kernelINS0_14default_configENS1_27scan_by_key_config_selectorIllEEZZNS1_16scan_by_key_implILNS1_25lookback_scan_determinismE0ELb0ES3_PKlN6hipcub16HIPCUB_304000_NS21ConstantInputIteratorIllEEPllNSB_3SumENSB_8EqualityElEE10hipError_tPvRmT2_T3_T4_T5_mT6_T7_P12ihipStream_tbENKUlT_T0_E_clISt17integral_constantIbLb0EESX_EEDaSS_ST_EUlSS_E_NS1_11comp_targetILNS1_3genE10ELNS1_11target_archE1201ELNS1_3gpuE5ELNS1_3repE0EEENS1_30default_config_static_selectorELNS0_4arch9wavefront6targetE1EEEvT1_, .Lfunc_end95-_ZN7rocprim17ROCPRIM_400000_NS6detail17trampoline_kernelINS0_14default_configENS1_27scan_by_key_config_selectorIllEEZZNS1_16scan_by_key_implILNS1_25lookback_scan_determinismE0ELb0ES3_PKlN6hipcub16HIPCUB_304000_NS21ConstantInputIteratorIllEEPllNSB_3SumENSB_8EqualityElEE10hipError_tPvRmT2_T3_T4_T5_mT6_T7_P12ihipStream_tbENKUlT_T0_E_clISt17integral_constantIbLb0EESX_EEDaSS_ST_EUlSS_E_NS1_11comp_targetILNS1_3genE10ELNS1_11target_archE1201ELNS1_3gpuE5ELNS1_3repE0EEENS1_30default_config_static_selectorELNS0_4arch9wavefront6targetE1EEEvT1_
                                        ; -- End function
	.section	.AMDGPU.csdata,"",@progbits
; Kernel info:
; codeLenInByte = 0
; NumSgprs: 6
; NumVgprs: 0
; NumAgprs: 0
; TotalNumVgprs: 0
; ScratchSize: 0
; MemoryBound: 0
; FloatMode: 240
; IeeeMode: 1
; LDSByteSize: 0 bytes/workgroup (compile time only)
; SGPRBlocks: 0
; VGPRBlocks: 0
; NumSGPRsForWavesPerEU: 6
; NumVGPRsForWavesPerEU: 1
; AccumOffset: 4
; Occupancy: 8
; WaveLimiterHint : 0
; COMPUTE_PGM_RSRC2:SCRATCH_EN: 0
; COMPUTE_PGM_RSRC2:USER_SGPR: 2
; COMPUTE_PGM_RSRC2:TRAP_HANDLER: 0
; COMPUTE_PGM_RSRC2:TGID_X_EN: 1
; COMPUTE_PGM_RSRC2:TGID_Y_EN: 0
; COMPUTE_PGM_RSRC2:TGID_Z_EN: 0
; COMPUTE_PGM_RSRC2:TIDIG_COMP_CNT: 0
; COMPUTE_PGM_RSRC3_GFX90A:ACCUM_OFFSET: 0
; COMPUTE_PGM_RSRC3_GFX90A:TG_SPLIT: 0
	.section	.text._ZN7rocprim17ROCPRIM_400000_NS6detail17trampoline_kernelINS0_14default_configENS1_27scan_by_key_config_selectorIllEEZZNS1_16scan_by_key_implILNS1_25lookback_scan_determinismE0ELb0ES3_PKlN6hipcub16HIPCUB_304000_NS21ConstantInputIteratorIllEEPllNSB_3SumENSB_8EqualityElEE10hipError_tPvRmT2_T3_T4_T5_mT6_T7_P12ihipStream_tbENKUlT_T0_E_clISt17integral_constantIbLb0EESX_EEDaSS_ST_EUlSS_E_NS1_11comp_targetILNS1_3genE5ELNS1_11target_archE942ELNS1_3gpuE9ELNS1_3repE0EEENS1_30default_config_static_selectorELNS0_4arch9wavefront6targetE1EEEvT1_,"axG",@progbits,_ZN7rocprim17ROCPRIM_400000_NS6detail17trampoline_kernelINS0_14default_configENS1_27scan_by_key_config_selectorIllEEZZNS1_16scan_by_key_implILNS1_25lookback_scan_determinismE0ELb0ES3_PKlN6hipcub16HIPCUB_304000_NS21ConstantInputIteratorIllEEPllNSB_3SumENSB_8EqualityElEE10hipError_tPvRmT2_T3_T4_T5_mT6_T7_P12ihipStream_tbENKUlT_T0_E_clISt17integral_constantIbLb0EESX_EEDaSS_ST_EUlSS_E_NS1_11comp_targetILNS1_3genE5ELNS1_11target_archE942ELNS1_3gpuE9ELNS1_3repE0EEENS1_30default_config_static_selectorELNS0_4arch9wavefront6targetE1EEEvT1_,comdat
	.protected	_ZN7rocprim17ROCPRIM_400000_NS6detail17trampoline_kernelINS0_14default_configENS1_27scan_by_key_config_selectorIllEEZZNS1_16scan_by_key_implILNS1_25lookback_scan_determinismE0ELb0ES3_PKlN6hipcub16HIPCUB_304000_NS21ConstantInputIteratorIllEEPllNSB_3SumENSB_8EqualityElEE10hipError_tPvRmT2_T3_T4_T5_mT6_T7_P12ihipStream_tbENKUlT_T0_E_clISt17integral_constantIbLb0EESX_EEDaSS_ST_EUlSS_E_NS1_11comp_targetILNS1_3genE5ELNS1_11target_archE942ELNS1_3gpuE9ELNS1_3repE0EEENS1_30default_config_static_selectorELNS0_4arch9wavefront6targetE1EEEvT1_ ; -- Begin function _ZN7rocprim17ROCPRIM_400000_NS6detail17trampoline_kernelINS0_14default_configENS1_27scan_by_key_config_selectorIllEEZZNS1_16scan_by_key_implILNS1_25lookback_scan_determinismE0ELb0ES3_PKlN6hipcub16HIPCUB_304000_NS21ConstantInputIteratorIllEEPllNSB_3SumENSB_8EqualityElEE10hipError_tPvRmT2_T3_T4_T5_mT6_T7_P12ihipStream_tbENKUlT_T0_E_clISt17integral_constantIbLb0EESX_EEDaSS_ST_EUlSS_E_NS1_11comp_targetILNS1_3genE5ELNS1_11target_archE942ELNS1_3gpuE9ELNS1_3repE0EEENS1_30default_config_static_selectorELNS0_4arch9wavefront6targetE1EEEvT1_
	.globl	_ZN7rocprim17ROCPRIM_400000_NS6detail17trampoline_kernelINS0_14default_configENS1_27scan_by_key_config_selectorIllEEZZNS1_16scan_by_key_implILNS1_25lookback_scan_determinismE0ELb0ES3_PKlN6hipcub16HIPCUB_304000_NS21ConstantInputIteratorIllEEPllNSB_3SumENSB_8EqualityElEE10hipError_tPvRmT2_T3_T4_T5_mT6_T7_P12ihipStream_tbENKUlT_T0_E_clISt17integral_constantIbLb0EESX_EEDaSS_ST_EUlSS_E_NS1_11comp_targetILNS1_3genE5ELNS1_11target_archE942ELNS1_3gpuE9ELNS1_3repE0EEENS1_30default_config_static_selectorELNS0_4arch9wavefront6targetE1EEEvT1_
	.p2align	8
	.type	_ZN7rocprim17ROCPRIM_400000_NS6detail17trampoline_kernelINS0_14default_configENS1_27scan_by_key_config_selectorIllEEZZNS1_16scan_by_key_implILNS1_25lookback_scan_determinismE0ELb0ES3_PKlN6hipcub16HIPCUB_304000_NS21ConstantInputIteratorIllEEPllNSB_3SumENSB_8EqualityElEE10hipError_tPvRmT2_T3_T4_T5_mT6_T7_P12ihipStream_tbENKUlT_T0_E_clISt17integral_constantIbLb0EESX_EEDaSS_ST_EUlSS_E_NS1_11comp_targetILNS1_3genE5ELNS1_11target_archE942ELNS1_3gpuE9ELNS1_3repE0EEENS1_30default_config_static_selectorELNS0_4arch9wavefront6targetE1EEEvT1_,@function
_ZN7rocprim17ROCPRIM_400000_NS6detail17trampoline_kernelINS0_14default_configENS1_27scan_by_key_config_selectorIllEEZZNS1_16scan_by_key_implILNS1_25lookback_scan_determinismE0ELb0ES3_PKlN6hipcub16HIPCUB_304000_NS21ConstantInputIteratorIllEEPllNSB_3SumENSB_8EqualityElEE10hipError_tPvRmT2_T3_T4_T5_mT6_T7_P12ihipStream_tbENKUlT_T0_E_clISt17integral_constantIbLb0EESX_EEDaSS_ST_EUlSS_E_NS1_11comp_targetILNS1_3genE5ELNS1_11target_archE942ELNS1_3gpuE9ELNS1_3repE0EEENS1_30default_config_static_selectorELNS0_4arch9wavefront6targetE1EEEvT1_: ; @_ZN7rocprim17ROCPRIM_400000_NS6detail17trampoline_kernelINS0_14default_configENS1_27scan_by_key_config_selectorIllEEZZNS1_16scan_by_key_implILNS1_25lookback_scan_determinismE0ELb0ES3_PKlN6hipcub16HIPCUB_304000_NS21ConstantInputIteratorIllEEPllNSB_3SumENSB_8EqualityElEE10hipError_tPvRmT2_T3_T4_T5_mT6_T7_P12ihipStream_tbENKUlT_T0_E_clISt17integral_constantIbLb0EESX_EEDaSS_ST_EUlSS_E_NS1_11comp_targetILNS1_3genE5ELNS1_11target_archE942ELNS1_3gpuE9ELNS1_3repE0EEENS1_30default_config_static_selectorELNS0_4arch9wavefront6targetE1EEEvT1_
; %bb.0:
	s_load_dwordx2 s[56:57], s[0:1], 0x58
	s_load_dword s3, s[0:1], 0x60
	s_load_dwordx4 s[8:11], s[0:1], 0x0
	s_load_dwordx2 s[6:7], s[0:1], 0x10
	s_load_dwordx8 s[40:47], s[0:1], 0x38
	s_load_dwordx8 s[48:55], s[0:1], 0x68
	s_waitcnt lgkmcnt(0)
	s_mul_i32 s4, s57, s3
	s_mul_hi_u32 s5, s56, s3
	s_add_i32 s13, s5, s4
	s_lshl_b64 s[38:39], s[10:11], 3
	s_add_u32 s8, s8, s38
	s_addc_u32 s9, s9, s39
	s_cmp_lg_u64 s[52:53], 0
	s_mul_i32 s4, s2, 0xe00
	s_mov_b32 s5, 0
	s_cselect_b64 s[10:11], -1, 0
	s_lshl_b64 s[52:53], s[4:5], 3
	s_add_u32 s8, s8, s52
	s_mul_i32 s3, s56, s3
	s_addc_u32 s9, s9, s53
	s_add_u32 s12, s3, s2
	s_addc_u32 s13, s13, 0
	s_add_u32 s4, s48, -1
	s_addc_u32 s5, s49, -1
	v_mov_b64_e32 v[2:3], s[4:5]
	v_cmp_ge_u64_e64 s[34:35], s[12:13], v[2:3]
	s_mov_b64 s[18:19], 0
	s_mov_b64 s[14:15], -1
	s_and_b64 vcc, exec, s[34:35]
	s_mul_i32 s33, s4, 0xfffff200
	s_barrier
	s_cbranch_vccz .LBB96_62
; %bb.1:
	s_load_dwordx2 s[4:5], s[8:9], 0x0
	s_add_i32 s47, s33, s46
	v_cmp_gt_u32_e32 vcc, s47, v0
	s_waitcnt lgkmcnt(0)
	v_mov_b64_e32 v[2:3], s[4:5]
	s_and_saveexec_b64 s[14:15], vcc
	s_cbranch_execz .LBB96_3
; %bb.2:
	v_lshlrev_b32_e32 v1, 3, v0
	global_load_dwordx2 v[2:3], v1, s[8:9]
.LBB96_3:
	s_or_b64 exec, exec, s[14:15]
	v_or_b32_e32 v1, 0x100, v0
	v_cmp_gt_u32_e32 vcc, s47, v1
	v_mov_b64_e32 v[4:5], s[4:5]
	s_and_saveexec_b64 s[14:15], vcc
	s_cbranch_execz .LBB96_5
; %bb.4:
	v_lshlrev_b32_e32 v1, 3, v0
	global_load_dwordx2 v[4:5], v1, s[8:9] offset:2048
.LBB96_5:
	s_or_b64 exec, exec, s[14:15]
	v_or_b32_e32 v1, 0x200, v0
	v_cmp_gt_u32_e32 vcc, s47, v1
	v_mov_b64_e32 v[6:7], s[4:5]
	s_and_saveexec_b64 s[14:15], vcc
	s_cbranch_execz .LBB96_7
; %bb.6:
	v_lshlrev_b32_e32 v1, 3, v1
	global_load_dwordx2 v[6:7], v1, s[8:9]
.LBB96_7:
	s_or_b64 exec, exec, s[14:15]
	v_or_b32_e32 v1, 0x300, v0
	v_cmp_gt_u32_e32 vcc, s47, v1
	v_mov_b64_e32 v[8:9], s[4:5]
	s_and_saveexec_b64 s[14:15], vcc
	s_cbranch_execz .LBB96_9
; %bb.8:
	v_lshlrev_b32_e32 v1, 3, v1
	global_load_dwordx2 v[8:9], v1, s[8:9]
.LBB96_9:
	s_or_b64 exec, exec, s[14:15]
	v_or_b32_e32 v1, 0x400, v0
	v_cmp_gt_u32_e32 vcc, s47, v1
	v_mov_b64_e32 v[10:11], s[4:5]
	s_and_saveexec_b64 s[14:15], vcc
	s_cbranch_execz .LBB96_11
; %bb.10:
	v_lshlrev_b32_e32 v1, 3, v1
	global_load_dwordx2 v[10:11], v1, s[8:9]
.LBB96_11:
	s_or_b64 exec, exec, s[14:15]
	v_or_b32_e32 v1, 0x500, v0
	v_cmp_gt_u32_e32 vcc, s47, v1
	v_mov_b64_e32 v[12:13], s[4:5]
	s_and_saveexec_b64 s[14:15], vcc
	s_cbranch_execz .LBB96_13
; %bb.12:
	v_lshlrev_b32_e32 v1, 3, v1
	global_load_dwordx2 v[12:13], v1, s[8:9]
.LBB96_13:
	s_or_b64 exec, exec, s[14:15]
	v_or_b32_e32 v1, 0x600, v0
	v_cmp_gt_u32_e32 vcc, s47, v1
	v_mov_b64_e32 v[14:15], s[4:5]
	s_and_saveexec_b64 s[14:15], vcc
	s_cbranch_execz .LBB96_15
; %bb.14:
	v_lshlrev_b32_e32 v1, 3, v1
	global_load_dwordx2 v[14:15], v1, s[8:9]
.LBB96_15:
	s_or_b64 exec, exec, s[14:15]
	v_or_b32_e32 v1, 0x700, v0
	v_cmp_gt_u32_e32 vcc, s47, v1
	v_mov_b64_e32 v[16:17], s[4:5]
	s_and_saveexec_b64 s[14:15], vcc
	s_cbranch_execz .LBB96_17
; %bb.16:
	v_lshlrev_b32_e32 v1, 3, v1
	global_load_dwordx2 v[16:17], v1, s[8:9]
.LBB96_17:
	s_or_b64 exec, exec, s[14:15]
	v_or_b32_e32 v1, 0x800, v0
	v_cmp_gt_u32_e32 vcc, s47, v1
	v_mov_b64_e32 v[18:19], s[4:5]
	s_and_saveexec_b64 s[14:15], vcc
	s_cbranch_execz .LBB96_19
; %bb.18:
	v_lshlrev_b32_e32 v1, 3, v1
	global_load_dwordx2 v[18:19], v1, s[8:9]
.LBB96_19:
	s_or_b64 exec, exec, s[14:15]
	v_or_b32_e32 v1, 0x900, v0
	v_cmp_gt_u32_e32 vcc, s47, v1
	v_mov_b64_e32 v[20:21], s[4:5]
	s_and_saveexec_b64 s[14:15], vcc
	s_cbranch_execz .LBB96_21
; %bb.20:
	v_lshlrev_b32_e32 v1, 3, v1
	global_load_dwordx2 v[20:21], v1, s[8:9]
.LBB96_21:
	s_or_b64 exec, exec, s[14:15]
	v_or_b32_e32 v1, 0xa00, v0
	v_cmp_gt_u32_e32 vcc, s47, v1
	v_mov_b64_e32 v[22:23], s[4:5]
	s_and_saveexec_b64 s[14:15], vcc
	s_cbranch_execz .LBB96_23
; %bb.22:
	v_lshlrev_b32_e32 v1, 3, v1
	global_load_dwordx2 v[22:23], v1, s[8:9]
.LBB96_23:
	s_or_b64 exec, exec, s[14:15]
	v_or_b32_e32 v1, 0xb00, v0
	v_cmp_gt_u32_e32 vcc, s47, v1
	v_mov_b64_e32 v[24:25], s[4:5]
	s_and_saveexec_b64 s[14:15], vcc
	s_cbranch_execz .LBB96_25
; %bb.24:
	v_lshlrev_b32_e32 v1, 3, v1
	global_load_dwordx2 v[24:25], v1, s[8:9]
.LBB96_25:
	s_or_b64 exec, exec, s[14:15]
	v_or_b32_e32 v1, 0xc00, v0
	v_cmp_gt_u32_e32 vcc, s47, v1
	v_mov_b64_e32 v[26:27], s[4:5]
	s_and_saveexec_b64 s[14:15], vcc
	s_cbranch_execz .LBB96_27
; %bb.26:
	v_lshlrev_b32_e32 v1, 3, v1
	global_load_dwordx2 v[26:27], v1, s[8:9]
.LBB96_27:
	s_or_b64 exec, exec, s[14:15]
	v_or_b32_e32 v1, 0xd00, v0
	v_cmp_gt_u32_e32 vcc, s47, v1
	v_mov_b64_e32 v[28:29], s[4:5]
	s_and_saveexec_b64 s[4:5], vcc
	s_cbranch_execz .LBB96_29
; %bb.28:
	v_lshlrev_b32_e32 v1, 3, v1
	global_load_dwordx2 v[28:29], v1, s[8:9]
.LBB96_29:
	s_or_b64 exec, exec, s[4:5]
	v_lshlrev_b32_e32 v1, 3, v0
	s_movk_i32 s3, 0x68
	s_waitcnt vmcnt(0)
	ds_write2st64_b64 v1, v[2:3], v[4:5] offset1:4
	ds_write2st64_b64 v1, v[6:7], v[8:9] offset0:8 offset1:12
	ds_write2st64_b64 v1, v[10:11], v[12:13] offset0:16 offset1:20
	;; [unrolled: 1-line block ×6, first 2 shown]
	v_mad_u32_u24 v8, v0, s3, v1
	s_waitcnt lgkmcnt(0)
	s_barrier
	ds_read_b128 v[74:77], v8
	ds_read_b128 v[70:73], v8 offset:16
	ds_read_b128 v[66:69], v8 offset:32
	;; [unrolled: 1-line block ×6, first 2 shown]
	s_cmp_eq_u64 s[12:13], 0
	s_mov_b64 s[4:5], s[8:9]
	s_cbranch_scc1 .LBB96_33
; %bb.30:
	s_andn2_b64 vcc, exec, s[10:11]
	s_cbranch_vccnz .LBB96_203
; %bb.31:
	s_lshl_b64 s[4:5], s[12:13], 3
	s_add_u32 s3, s54, s4
	s_addc_u32 s5, s55, s5
	s_add_u32 s4, s3, -8
	s_addc_u32 s5, s5, -1
	s_cbranch_execnz .LBB96_33
.LBB96_32:
	s_add_u32 s4, s8, -8
	s_addc_u32 s5, s9, -1
.LBB96_33:
	s_load_dwordx2 s[4:5], s[4:5], 0x0
	s_movk_i32 s3, 0xff98
	v_mad_i32_i24 v2, v0, s3, v8
	v_cmp_ne_u32_e32 vcc, 0, v0
	s_waitcnt lgkmcnt(0)
	ds_write_b64 v2, v[60:61] offset:28672
	v_mov_b64_e32 v[4:5], s[4:5]
	s_waitcnt lgkmcnt(0)
	s_barrier
	s_and_saveexec_b64 s[4:5], vcc
	s_cbranch_execz .LBB96_35
; %bb.34:
	v_mul_i32_i24_e32 v2, 0xffffff98, v0
	v_add_u32_e32 v2, v8, v2
	ds_read_b64 v[4:5], v2 offset:28664
.LBB96_35:
	s_or_b64 exec, exec, s[4:5]
	v_mul_u32_u24_e32 v9, 14, v0
	v_mov_b64_e32 v[2:3], s[6:7]
	v_mov_b64_e32 v[78:79], 0
	s_waitcnt lgkmcnt(0)
	s_barrier
	ds_write2st64_b64 v1, v[2:3], v[2:3] offset1:4
	ds_write2st64_b64 v1, v[2:3], v[2:3] offset0:8 offset1:12
	ds_write2st64_b64 v1, v[2:3], v[2:3] offset0:16 offset1:20
	;; [unrolled: 1-line block ×6, first 2 shown]
	v_cmp_gt_u32_e32 vcc, s47, v9
	s_mov_b64 s[14:15], 0
	s_mov_b32 s3, 0
	v_mov_b32_e32 v80, 0
	v_mov_b32_e32 v91, 0
	v_mov_b64_e32 v[46:47], v[78:79]
	v_mov_b32_e32 v90, 0
	v_mov_b64_e32 v[34:35], v[78:79]
	v_mov_b32_e32 v89, 0
	v_mov_b64_e32 v[42:43], v[78:79]
	v_mov_b32_e32 v88, 0
	v_mov_b64_e32 v[26:27], v[78:79]
	v_mov_b32_e32 v87, 0
	v_mov_b64_e32 v[38:39], v[78:79]
	v_mov_b32_e32 v86, 0
	v_mov_b64_e32 v[18:19], v[78:79]
	v_mov_b32_e32 v85, 0
	v_mov_b64_e32 v[30:31], v[78:79]
	v_mov_b32_e32 v84, 0
	v_mov_b64_e32 v[10:11], v[78:79]
	v_mov_b32_e32 v83, 0
	v_mov_b64_e32 v[22:23], v[78:79]
	v_mov_b32_e32 v81, 0
	v_mov_b64_e32 v[6:7], v[78:79]
	v_mov_b32_e32 v82, 0
	v_mov_b64_e32 v[14:15], v[78:79]
	v_mov_b32_e32 v1, 0
	v_mov_b64_e32 v[2:3], v[78:79]
	s_waitcnt lgkmcnt(0)
	s_barrier
	s_waitcnt lgkmcnt(0)
                                        ; implicit-def: $sgpr4_sgpr5
                                        ; implicit-def: $vgpr52_vgpr53
	s_and_saveexec_b64 s[16:17], vcc
	s_cbranch_execz .LBB96_61
; %bb.36:
	ds_read_b64 v[2:3], v8
	v_or_b32_e32 v6, 1, v9
	v_cmp_ne_u64_e32 vcc, v[4:5], v[74:75]
	v_mov_b64_e32 v[78:79], 0
	s_mov_b64 s[20:21], 0
	v_cndmask_b32_e64 v1, 0, 1, vcc
	v_cmp_gt_u32_e32 vcc, s47, v6
	s_mov_b64 s[4:5], 0
	v_mov_b32_e32 v80, 0
	v_mov_b32_e32 v91, 0
	v_mov_b64_e32 v[46:47], v[78:79]
	v_mov_b32_e32 v90, 0
	v_mov_b64_e32 v[34:35], v[78:79]
	;; [unrolled: 2-line block ×11, first 2 shown]
                                        ; implicit-def: $sgpr22_sgpr23
                                        ; implicit-def: $vgpr52_vgpr53
	s_and_saveexec_b64 s[18:19], vcc
	s_cbranch_execz .LBB96_60
; %bb.37:
	ds_read2_b64 v[14:17], v8 offset0:1 offset1:2
	v_cmp_ne_u64_e32 vcc, v[74:75], v[76:77]
	v_add_u32_e32 v4, 2, v9
	v_mov_b64_e32 v[78:79], 0
	v_cndmask_b32_e64 v82, 0, 1, vcc
	v_cmp_gt_u32_e32 vcc, s47, v4
	s_mov_b64 s[24:25], 0
	v_mov_b32_e32 v80, 0
	v_mov_b32_e32 v91, 0
	v_mov_b64_e32 v[46:47], v[78:79]
	v_mov_b32_e32 v90, 0
	v_mov_b64_e32 v[34:35], v[78:79]
	;; [unrolled: 2-line block ×10, first 2 shown]
                                        ; implicit-def: $sgpr22_sgpr23
                                        ; implicit-def: $vgpr52_vgpr53
	s_and_saveexec_b64 s[20:21], vcc
	s_cbranch_execz .LBB96_59
; %bb.38:
	v_cmp_ne_u64_e32 vcc, v[76:77], v[70:71]
	v_add_u32_e32 v4, 3, v9
	v_mov_b64_e32 v[78:79], 0
	s_waitcnt lgkmcnt(0)
	v_mov_b32_e32 v6, v16
	v_mov_b32_e32 v7, v17
	v_cndmask_b32_e64 v81, 0, 1, vcc
	v_cmp_gt_u32_e32 vcc, s47, v4
	v_mov_b32_e32 v80, 0
	v_mov_b32_e32 v91, 0
	v_mov_b64_e32 v[46:47], v[78:79]
	v_mov_b32_e32 v90, 0
	v_mov_b64_e32 v[34:35], v[78:79]
	;; [unrolled: 2-line block ×9, first 2 shown]
                                        ; implicit-def: $sgpr26_sgpr27
                                        ; implicit-def: $vgpr52_vgpr53
	s_and_saveexec_b64 s[22:23], vcc
	s_cbranch_execz .LBB96_58
; %bb.39:
	ds_read2_b64 v[22:25], v8 offset0:3 offset1:4
	v_cmp_ne_u64_e32 vcc, v[70:71], v[72:73]
	v_add_u32_e32 v4, 4, v9
	v_mov_b64_e32 v[78:79], 0
	v_cndmask_b32_e64 v83, 0, 1, vcc
	v_cmp_gt_u32_e32 vcc, s47, v4
	s_mov_b64 s[28:29], 0
	v_mov_b32_e32 v80, 0
	v_mov_b32_e32 v91, 0
	v_mov_b64_e32 v[46:47], v[78:79]
	v_mov_b32_e32 v90, 0
	v_mov_b64_e32 v[34:35], v[78:79]
	;; [unrolled: 2-line block ×8, first 2 shown]
                                        ; implicit-def: $sgpr26_sgpr27
                                        ; implicit-def: $vgpr52_vgpr53
	s_and_saveexec_b64 s[24:25], vcc
	s_cbranch_execz .LBB96_57
; %bb.40:
	v_cmp_ne_u64_e32 vcc, v[72:73], v[66:67]
	v_add_u32_e32 v4, 5, v9
	v_mov_b64_e32 v[78:79], 0
	s_waitcnt lgkmcnt(0)
	v_mov_b32_e32 v10, v24
	v_mov_b32_e32 v11, v25
	v_cndmask_b32_e64 v84, 0, 1, vcc
	v_cmp_gt_u32_e32 vcc, s47, v4
	v_mov_b32_e32 v80, 0
	v_mov_b32_e32 v91, 0
	v_mov_b64_e32 v[46:47], v[78:79]
	v_mov_b32_e32 v90, 0
	v_mov_b64_e32 v[34:35], v[78:79]
	;; [unrolled: 2-line block ×7, first 2 shown]
                                        ; implicit-def: $sgpr30_sgpr31
                                        ; implicit-def: $vgpr52_vgpr53
	s_and_saveexec_b64 s[26:27], vcc
	s_cbranch_execz .LBB96_56
; %bb.41:
	ds_read2_b64 v[30:33], v8 offset0:5 offset1:6
	v_cmp_ne_u64_e32 vcc, v[66:67], v[68:69]
	v_add_u32_e32 v4, 6, v9
	v_mov_b64_e32 v[78:79], 0
	v_cndmask_b32_e64 v85, 0, 1, vcc
	v_cmp_gt_u32_e32 vcc, s47, v4
	s_mov_b64 s[36:37], 0
	v_mov_b32_e32 v80, 0
	v_mov_b32_e32 v91, 0
	v_mov_b64_e32 v[46:47], v[78:79]
	v_mov_b32_e32 v90, 0
	v_mov_b64_e32 v[34:35], v[78:79]
	;; [unrolled: 2-line block ×6, first 2 shown]
                                        ; implicit-def: $sgpr30_sgpr31
                                        ; implicit-def: $vgpr52_vgpr53
	s_and_saveexec_b64 s[28:29], vcc
	s_cbranch_execz .LBB96_55
; %bb.42:
	v_cmp_ne_u64_e32 vcc, v[68:69], v[62:63]
	v_add_u32_e32 v4, 7, v9
	v_mov_b64_e32 v[78:79], 0
	s_waitcnt lgkmcnt(0)
	v_mov_b32_e32 v18, v32
	v_mov_b32_e32 v19, v33
	v_cndmask_b32_e64 v86, 0, 1, vcc
	v_cmp_gt_u32_e32 vcc, s47, v4
	v_mov_b32_e32 v80, 0
	v_mov_b32_e32 v91, 0
	v_mov_b64_e32 v[46:47], v[78:79]
	v_mov_b32_e32 v90, 0
	v_mov_b64_e32 v[34:35], v[78:79]
	;; [unrolled: 2-line block ×5, first 2 shown]
                                        ; implicit-def: $sgpr48_sgpr49
                                        ; implicit-def: $vgpr52_vgpr53
	s_and_saveexec_b64 s[30:31], vcc
	s_cbranch_execz .LBB96_54
; %bb.43:
	ds_read2_b64 v[38:41], v8 offset0:7 offset1:8
	v_cmp_ne_u64_e32 vcc, v[62:63], v[64:65]
	v_add_u32_e32 v4, 8, v9
	v_mov_b64_e32 v[78:79], 0
	v_cndmask_b32_e64 v87, 0, 1, vcc
	v_cmp_gt_u32_e32 vcc, s47, v4
	s_mov_b64 s[58:59], 0
	v_mov_b32_e32 v80, 0
	v_mov_b32_e32 v91, 0
	v_mov_b64_e32 v[46:47], v[78:79]
	v_mov_b32_e32 v90, 0
	v_mov_b64_e32 v[34:35], v[78:79]
	;; [unrolled: 2-line block ×4, first 2 shown]
                                        ; implicit-def: $sgpr48_sgpr49
                                        ; implicit-def: $vgpr52_vgpr53
	s_and_saveexec_b64 s[36:37], vcc
	s_cbranch_execz .LBB96_53
; %bb.44:
	v_cmp_ne_u64_e32 vcc, v[64:65], v[48:49]
	v_add_u32_e32 v4, 9, v9
	v_mov_b64_e32 v[78:79], 0
	s_waitcnt lgkmcnt(0)
	v_mov_b32_e32 v26, v40
	v_mov_b32_e32 v27, v41
	v_cndmask_b32_e64 v88, 0, 1, vcc
	v_cmp_gt_u32_e32 vcc, s47, v4
	v_mov_b32_e32 v80, 0
	v_mov_b32_e32 v91, 0
	v_mov_b64_e32 v[46:47], v[78:79]
	v_mov_b32_e32 v90, 0
	v_mov_b64_e32 v[34:35], v[78:79]
	;; [unrolled: 2-line block ×3, first 2 shown]
                                        ; implicit-def: $sgpr60_sgpr61
                                        ; implicit-def: $vgpr52_vgpr53
	s_and_saveexec_b64 s[48:49], vcc
	s_cbranch_execz .LBB96_52
; %bb.45:
	ds_read2_b64 v[42:45], v8 offset0:9 offset1:10
	v_cmp_ne_u64_e32 vcc, v[48:49], v[50:51]
	v_add_u32_e32 v4, 10, v9
	v_mov_b64_e32 v[78:79], 0
	v_cndmask_b32_e64 v89, 0, 1, vcc
	v_cmp_gt_u32_e32 vcc, s47, v4
	s_mov_b64 s[62:63], 0
	v_mov_b32_e32 v80, 0
	v_mov_b32_e32 v91, 0
	v_mov_b64_e32 v[46:47], v[78:79]
	v_mov_b32_e32 v90, 0
	v_mov_b64_e32 v[34:35], v[78:79]
                                        ; implicit-def: $sgpr60_sgpr61
                                        ; implicit-def: $vgpr52_vgpr53
	s_and_saveexec_b64 s[58:59], vcc
	s_cbranch_execz .LBB96_51
; %bb.46:
	v_cmp_ne_u64_e32 vcc, v[50:51], v[54:55]
	v_add_u32_e32 v4, 11, v9
	v_mov_b64_e32 v[78:79], 0
	s_waitcnt lgkmcnt(0)
	v_mov_b32_e32 v34, v44
	v_mov_b32_e32 v35, v45
	v_cndmask_b32_e64 v90, 0, 1, vcc
	v_cmp_gt_u32_e32 vcc, s47, v4
	v_mov_b32_e32 v80, 0
	v_mov_b32_e32 v91, 0
	v_mov_b64_e32 v[46:47], v[78:79]
                                        ; implicit-def: $sgpr64_sgpr65
                                        ; implicit-def: $vgpr52_vgpr53
	s_and_saveexec_b64 s[60:61], vcc
	s_cbranch_execz .LBB96_50
; %bb.47:
	ds_read2_b64 v[46:49], v8 offset0:11 offset1:12
	v_cmp_ne_u64_e32 vcc, v[54:55], v[56:57]
	v_add_u32_e32 v4, 12, v9
	v_mov_b32_e32 v80, 0
	v_cndmask_b32_e64 v91, 0, 1, vcc
	v_cmp_gt_u32_e32 vcc, s47, v4
	v_mov_b64_e32 v[78:79], 0
                                        ; implicit-def: $sgpr62_sgpr63
                                        ; implicit-def: $vgpr52_vgpr53
	s_and_saveexec_b64 s[64:65], vcc
	s_xor_b64 s[64:65], exec, s[64:65]
	s_cbranch_execz .LBB96_49
; %bb.48:
	ds_read_b64 v[52:53], v8 offset:104
	v_cmp_ne_u64_e64 s[4:5], v[56:57], v[58:59]
	v_add_u32_e32 v4, 13, v9
	v_cmp_ne_u64_e32 vcc, v[58:59], v[60:61]
	v_cndmask_b32_e64 v80, 0, 1, s[4:5]
	v_cmp_gt_u32_e64 s[4:5], s47, v4
	s_and_b64 s[62:63], vcc, exec
	s_and_b64 s[4:5], s[4:5], exec
	s_waitcnt lgkmcnt(1)
	v_mov_b64_e32 v[50:51], v[48:49]
	v_mov_b64_e32 v[78:79], v[48:49]
.LBB96_49:
	s_or_b64 exec, exec, s[64:65]
	s_and_b64 s[64:65], s[62:63], exec
	s_and_b64 s[62:63], s[4:5], exec
.LBB96_50:
	s_or_b64 exec, exec, s[60:61]
	s_and_b64 s[60:61], s[64:65], exec
	s_and_b64 s[4:5], s[62:63], exec
	s_waitcnt lgkmcnt(0)
	v_mov_b64_e32 v[36:37], v[46:47]
	v_mov_b64_e32 v[28:29], v[42:43]
	;; [unrolled: 1-line block ×6, first 2 shown]
.LBB96_51:
	s_or_b64 exec, exec, s[58:59]
	s_and_b64 s[60:61], s[60:61], exec
	s_and_b64 s[58:59], s[4:5], exec
.LBB96_52:
	s_or_b64 exec, exec, s[48:49]
	s_and_b64 s[48:49], s[60:61], exec
	s_and_b64 s[4:5], s[58:59], exec
.LBB96_53:
	s_or_b64 exec, exec, s[36:37]
	s_and_b64 s[48:49], s[48:49], exec
	s_and_b64 s[36:37], s[4:5], exec
.LBB96_54:
	s_or_b64 exec, exec, s[30:31]
	s_and_b64 s[30:31], s[48:49], exec
	s_and_b64 s[4:5], s[36:37], exec
.LBB96_55:
	s_or_b64 exec, exec, s[28:29]
	s_and_b64 s[30:31], s[30:31], exec
	s_and_b64 s[28:29], s[4:5], exec
.LBB96_56:
	s_or_b64 exec, exec, s[26:27]
	s_and_b64 s[26:27], s[30:31], exec
	s_and_b64 s[4:5], s[28:29], exec
.LBB96_57:
	s_or_b64 exec, exec, s[24:25]
	s_and_b64 s[26:27], s[26:27], exec
	s_and_b64 s[24:25], s[4:5], exec
.LBB96_58:
	s_or_b64 exec, exec, s[22:23]
	s_and_b64 s[22:23], s[26:27], exec
	s_and_b64 s[4:5], s[24:25], exec
.LBB96_59:
	s_or_b64 exec, exec, s[20:21]
	s_and_b64 s[22:23], s[22:23], exec
	s_and_b64 s[20:21], s[4:5], exec
.LBB96_60:
	s_or_b64 exec, exec, s[18:19]
	s_and_b64 s[4:5], s[22:23], exec
	s_and_b64 s[18:19], s[20:21], exec
.LBB96_61:
	s_or_b64 exec, exec, s[16:17]
	s_mov_b64 s[16:17], 0
	s_and_b64 vcc, exec, s[14:15]
	s_waitcnt lgkmcnt(0)
	v_lshlrev_b32_e32 v32, 3, v0
	s_cbranch_vccnz .LBB96_63
	s_branch .LBB96_71
.LBB96_62:
                                        ; implicit-def: $sgpr4_sgpr5
                                        ; implicit-def: $vgpr52_vgpr53
                                        ; implicit-def: $vgpr80
                                        ; implicit-def: $vgpr91
                                        ; implicit-def: $vgpr36_vgpr37
                                        ; implicit-def: $vgpr90
                                        ; implicit-def: $vgpr89
                                        ; implicit-def: $vgpr28_vgpr29
                                        ; implicit-def: $vgpr88
                                        ; implicit-def: $vgpr87
                                        ; implicit-def: $vgpr20_vgpr21
                                        ; implicit-def: $vgpr86
                                        ; implicit-def: $vgpr85
                                        ; implicit-def: $vgpr12_vgpr13
                                        ; implicit-def: $vgpr84
                                        ; implicit-def: $vgpr83
                                        ; implicit-def: $vgpr8_vgpr9
                                        ; implicit-def: $vgpr81
                                        ; implicit-def: $vgpr82
                                        ; implicit-def: $vgpr4_vgpr5
                                        ; implicit-def: $vgpr1
                                        ; implicit-def: $sgpr3
                                        ; implicit-def: $sgpr16_sgpr17
                                        ; implicit-def: $vgpr78_vgpr79
                                        ; implicit-def: $vgpr46_vgpr47
                                        ; implicit-def: $vgpr42_vgpr43
                                        ; implicit-def: $vgpr38_vgpr39
                                        ; implicit-def: $vgpr30_vgpr31
                                        ; implicit-def: $vgpr22_vgpr23
                                        ; implicit-def: $vgpr14_vgpr15
	s_and_b64 vcc, exec, s[14:15]
	v_lshlrev_b32_e32 v32, 3, v0
	s_cbranch_vccz .LBB96_71
.LBB96_63:
	v_mov_b32_e32 v33, 0
	v_lshl_add_u64 v[2:3], s[8:9], 0, v[32:33]
	v_add_co_u32_e32 v8, vcc, 0x1000, v2
	global_load_dwordx2 v[4:5], v32, s[8:9]
	global_load_dwordx2 v[6:7], v32, s[8:9] offset:2048
	v_addc_co_u32_e32 v9, vcc, 0, v3, vcc
	v_add_co_u32_e32 v10, vcc, 0x2000, v2
	s_movk_i32 s3, 0x68
	s_nop 0
	v_addc_co_u32_e32 v11, vcc, 0, v3, vcc
	global_load_dwordx2 v[12:13], v[8:9], off
	global_load_dwordx2 v[14:15], v[8:9], off offset:2048
	global_load_dwordx2 v[16:17], v[10:11], off
	global_load_dwordx2 v[18:19], v[10:11], off offset:2048
	v_add_co_u32_e32 v8, vcc, 0x3000, v2
	v_mad_u32_u24 v1, v0, s3, v32
	s_nop 0
	v_addc_co_u32_e32 v9, vcc, 0, v3, vcc
	v_add_co_u32_e32 v10, vcc, 0x4000, v2
	s_cmp_eq_u64 s[12:13], 0
	s_nop 0
	v_addc_co_u32_e32 v11, vcc, 0, v3, vcc
	global_load_dwordx2 v[20:21], v[8:9], off
	global_load_dwordx2 v[22:23], v[8:9], off offset:2048
	global_load_dwordx2 v[24:25], v[10:11], off
	global_load_dwordx2 v[26:27], v[10:11], off offset:2048
	v_add_co_u32_e32 v8, vcc, 0x5000, v2
	s_nop 1
	v_addc_co_u32_e32 v9, vcc, 0, v3, vcc
	v_add_co_u32_e32 v2, vcc, 0x6000, v2
	s_nop 1
	v_addc_co_u32_e32 v3, vcc, 0, v3, vcc
	global_load_dwordx2 v[10:11], v[8:9], off
	global_load_dwordx2 v[28:29], v[8:9], off offset:2048
	global_load_dwordx2 v[30:31], v[2:3], off
	global_load_dwordx2 v[34:35], v[2:3], off offset:2048
	s_waitcnt vmcnt(12)
	ds_write2st64_b64 v32, v[4:5], v[6:7] offset1:4
	s_waitcnt vmcnt(10)
	ds_write2st64_b64 v32, v[12:13], v[14:15] offset0:8 offset1:12
	s_waitcnt vmcnt(8)
	ds_write2st64_b64 v32, v[16:17], v[18:19] offset0:16 offset1:20
	;; [unrolled: 2-line block ×6, first 2 shown]
	s_waitcnt lgkmcnt(0)
	s_barrier
	ds_read_b128 v[14:17], v1
	ds_read_b128 v[2:5], v1 offset:16
	ds_read_b128 v[6:9], v1 offset:32
	;; [unrolled: 1-line block ×6, first 2 shown]
	s_cbranch_scc1 .LBB96_68
; %bb.64:
	s_andn2_b64 vcc, exec, s[10:11]
	s_cbranch_vccnz .LBB96_204
; %bb.65:
	s_lshl_b64 s[4:5], s[12:13], 3
	s_add_u32 s3, s54, s4
	s_addc_u32 s5, s55, s5
	s_add_u32 s4, s3, -8
	s_addc_u32 s5, s5, -1
	s_cbranch_execnz .LBB96_67
.LBB96_66:
	s_add_u32 s4, s8, -8
	s_addc_u32 s5, s9, -1
.LBB96_67:
	s_mov_b64 s[8:9], s[4:5]
.LBB96_68:
	s_load_dwordx2 s[4:5], s[8:9], 0x0
	s_movk_i32 s3, 0xff98
	v_mad_i32_i24 v30, v0, s3, v1
	s_waitcnt lgkmcnt(0)
	ds_write_b64 v30, v[28:29] offset:28672
	v_cmp_ne_u32_e32 vcc, 0, v0
	v_mov_b64_e32 v[30:31], s[4:5]
	s_waitcnt lgkmcnt(0)
	s_barrier
	s_and_saveexec_b64 s[4:5], vcc
	s_cbranch_execz .LBB96_70
; %bb.69:
	v_mul_i32_i24_e32 v30, 0xffffff98, v0
	v_add_u32_e32 v30, v1, v30
	ds_read_b64 v[30:31], v30 offset:28664
.LBB96_70:
	s_or_b64 exec, exec, s[4:5]
	v_cmp_ne_u64_e32 vcc, v[24:25], v[26:27]
	v_cmp_ne_u64_e64 s[4:5], v[26:27], v[28:29]
	s_waitcnt lgkmcnt(0)
	v_cndmask_b32_e64 v80, 0, 1, vcc
	v_cmp_ne_u64_e32 vcc, v[22:23], v[24:25]
	s_barrier
	s_nop 0
	v_cndmask_b32_e64 v91, 0, 1, vcc
	v_cmp_ne_u64_e32 vcc, v[20:21], v[22:23]
	s_mov_b64 s[18:19], -1
                                        ; implicit-def: $sgpr3
                                        ; implicit-def: $sgpr16_sgpr17
                                        ; implicit-def: $vgpr78_vgpr79
                                        ; implicit-def: $vgpr46_vgpr47
                                        ; implicit-def: $vgpr42_vgpr43
                                        ; implicit-def: $vgpr38_vgpr39
                                        ; implicit-def: $vgpr22_vgpr23
	s_nop 0
	v_cndmask_b32_e64 v90, 0, 1, vcc
	v_cmp_ne_u64_e32 vcc, v[18:19], v[20:21]
	s_nop 1
	v_cndmask_b32_e64 v89, 0, 1, vcc
	v_cmp_ne_u64_e32 vcc, v[12:13], v[18:19]
	s_nop 1
	v_cndmask_b32_e64 v88, 0, 1, vcc
	v_cmp_ne_u64_e32 vcc, v[10:11], v[12:13]
	s_nop 1
	v_cndmask_b32_e64 v87, 0, 1, vcc
	v_cmp_ne_u64_e32 vcc, v[8:9], v[10:11]
	s_nop 1
	v_cndmask_b32_e64 v86, 0, 1, vcc
	v_cmp_ne_u64_e32 vcc, v[6:7], v[8:9]
	s_nop 1
	v_cndmask_b32_e64 v85, 0, 1, vcc
	v_cmp_ne_u64_e32 vcc, v[4:5], v[6:7]
	s_nop 1
	v_cndmask_b32_e64 v84, 0, 1, vcc
	v_cmp_ne_u64_e32 vcc, v[2:3], v[4:5]
	s_nop 1
	v_cndmask_b32_e64 v83, 0, 1, vcc
	v_cmp_ne_u64_e32 vcc, v[16:17], v[2:3]
	v_mov_b64_e32 v[2:3], s[6:7]
	ds_write2st64_b64 v32, v[2:3], v[2:3] offset1:4
	ds_write2st64_b64 v32, v[2:3], v[2:3] offset0:8 offset1:12
	ds_write2st64_b64 v32, v[2:3], v[2:3] offset0:16 offset1:20
	;; [unrolled: 1-line block ×6, first 2 shown]
	s_waitcnt lgkmcnt(0)
	s_barrier
	ds_read_b128 v[2:5], v1
	ds_read_b128 v[6:9], v1 offset:16
	ds_read_b128 v[10:13], v1 offset:32
	;; [unrolled: 1-line block ×6, first 2 shown]
	v_cndmask_b32_e64 v81, 0, 1, vcc
	v_cmp_ne_u64_e32 vcc, v[14:15], v[16:17]
	s_nop 1
	v_cndmask_b32_e64 v82, 0, 1, vcc
	v_cmp_ne_u64_e32 vcc, v[30:31], v[14:15]
                                        ; implicit-def: $vgpr30_vgpr31
                                        ; implicit-def: $vgpr14_vgpr15
	s_nop 1
	v_cndmask_b32_e64 v1, 0, 1, vcc
.LBB96_71:
	v_mov_b64_e32 v[16:17], s[16:17]
	v_mov_b32_e32 v33, s3
	s_and_saveexec_b64 s[6:7], s[18:19]
	s_cbranch_execz .LBB96_73
; %bb.72:
	v_cndmask_b32_e64 v33, 0, 1, s[4:5]
	s_waitcnt lgkmcnt(6)
	v_mov_b64_e32 v[14:15], v[4:5]
	s_waitcnt lgkmcnt(5)
	v_mov_b64_e32 v[22:23], v[8:9]
	;; [unrolled: 2-line block ×7, first 2 shown]
	v_mov_b64_e32 v[16:17], v[52:53]
.LBB96_73:
	s_or_b64 exec, exec, s[6:7]
	s_waitcnt lgkmcnt(6)
	v_or_b32_e32 v4, v33, v80
	s_cmp_lg_u32 s2, 0
	s_waitcnt lgkmcnt(2)
	v_or_b32_e32 v29, v4, v91
	v_mbcnt_lo_u32_b32 v28, -1, 0
	s_waitcnt lgkmcnt(0)
	s_barrier
	s_cbranch_scc0 .LBB96_140
; %bb.74:
	v_mov_b32_e32 v8, 0
	v_cmp_eq_u16_sdwa s[4:5], v82, v8 src0_sel:BYTE_0 src1_sel:DWORD
	v_cmp_eq_u16_sdwa s[6:7], v81, v8 src0_sel:BYTE_0 src1_sel:DWORD
	v_cmp_eq_u16_sdwa s[8:9], v83, v8 src0_sel:BYTE_0 src1_sel:DWORD
	v_cndmask_b32_e64 v5, 0, v3, s[4:5]
	v_cndmask_b32_e64 v4, 0, v2, s[4:5]
	v_lshl_add_u64 v[4:5], v[4:5], 0, v[14:15]
	v_cndmask_b32_e64 v5, 0, v5, s[6:7]
	v_cndmask_b32_e64 v4, 0, v4, s[6:7]
	v_lshl_add_u64 v[4:5], v[4:5], 0, v[6:7]
	v_cndmask_b32_e64 v5, 0, v5, s[8:9]
	v_cndmask_b32_e64 v4, 0, v4, s[8:9]
	v_lshl_add_u64 v[4:5], v[4:5], 0, v[22:23]
	v_cmp_eq_u16_sdwa s[10:11], v84, v8 src0_sel:BYTE_0 src1_sel:DWORD
	v_cmp_eq_u16_sdwa s[12:13], v85, v8 src0_sel:BYTE_0 src1_sel:DWORD
	v_cmp_eq_u16_sdwa s[14:15], v86, v8 src0_sel:BYTE_0 src1_sel:DWORD
	v_cndmask_b32_e64 v5, 0, v5, s[10:11]
	v_cndmask_b32_e64 v4, 0, v4, s[10:11]
	v_lshl_add_u64 v[4:5], v[4:5], 0, v[10:11]
	v_cndmask_b32_e64 v5, 0, v5, s[12:13]
	v_cndmask_b32_e64 v4, 0, v4, s[12:13]
	v_lshl_add_u64 v[4:5], v[4:5], 0, v[30:31]
	v_cndmask_b32_e64 v5, 0, v5, s[14:15]
	v_cndmask_b32_e64 v4, 0, v4, s[14:15]
	v_lshl_add_u64 v[4:5], v[4:5], 0, v[18:19]
	;; [unrolled: 12-line block ×4, first 2 shown]
	v_cmp_eq_u16_sdwa s[28:29], v33, v8 src0_sel:BYTE_0 src1_sel:DWORD
	v_and_b32_e32 v12, 0xff, v1
	v_mbcnt_hi_u32_b32 v44, -1, v28
	v_cndmask_b32_e64 v5, 0, v5, s[28:29]
	v_cndmask_b32_e64 v4, 0, v4, s[28:29]
	v_lshl_add_u64 v[8:9], v[4:5], 0, v[16:17]
	v_or_b32_e32 v4, v29, v90
	v_or_b32_e32 v4, v4, v89
	;; [unrolled: 1-line block ×10, first 2 shown]
	v_and_b32_e32 v4, 1, v4
	v_cmp_eq_u32_e32 vcc, 1, v4
	v_and_b32_e32 v4, 15, v44
	v_mov_b32_dpp v13, v8 row_shr:1 row_mask:0xf bank_mask:0xf
	v_cndmask_b32_e64 v12, v12, 1, vcc
	v_mov_b32_dpp v20, v9 row_shr:1 row_mask:0xf bank_mask:0xf
	v_cmp_ne_u32_e32 vcc, 0, v4
	v_mov_b32_dpp v5, v12 row_shr:1 row_mask:0xf bank_mask:0xf
	s_and_saveexec_b64 s[30:31], vcc
; %bb.75:
	v_cmp_eq_u32_e32 vcc, 0, v12
	v_and_or_b32 v12, v5, 1, v12
	s_nop 0
	v_cndmask_b32_e32 v21, 0, v20, vcc
	v_cndmask_b32_e32 v20, 0, v13, vcc
	v_lshl_add_u64 v[8:9], v[20:21], 0, v[8:9]
; %bb.76:
	s_or_b64 exec, exec, s[30:31]
	s_nop 0
	v_mov_b32_dpp v13, v8 row_shr:2 row_mask:0xf bank_mask:0xf
	v_mov_b32_dpp v20, v9 row_shr:2 row_mask:0xf bank_mask:0xf
	v_mov_b32_dpp v5, v12 row_shr:2 row_mask:0xf bank_mask:0xf
	v_cmp_lt_u32_e32 vcc, 1, v4
	s_and_saveexec_b64 s[30:31], vcc
; %bb.77:
	v_cmp_eq_u32_e32 vcc, 0, v12
	v_or_b32_e32 v5, v5, v12
	v_and_b32_e32 v12, 1, v5
	v_cndmask_b32_e32 v21, 0, v20, vcc
	v_cndmask_b32_e32 v20, 0, v13, vcc
	v_lshl_add_u64 v[8:9], v[20:21], 0, v[8:9]
; %bb.78:
	s_or_b64 exec, exec, s[30:31]
	s_nop 0
	v_mov_b32_dpp v13, v8 row_shr:4 row_mask:0xf bank_mask:0xf
	v_mov_b32_dpp v20, v9 row_shr:4 row_mask:0xf bank_mask:0xf
	v_mov_b32_dpp v5, v12 row_shr:4 row_mask:0xf bank_mask:0xf
	v_cmp_lt_u32_e32 vcc, 3, v4
	s_and_saveexec_b64 s[30:31], vcc
; %bb.79:
	v_cmp_eq_u32_e32 vcc, 0, v12
	v_or_b32_e32 v5, v5, v12
	v_and_b32_e32 v12, 1, v5
	;; [unrolled: 15-line block ×3, first 2 shown]
	v_cndmask_b32_e32 v21, 0, v20, vcc
	v_cndmask_b32_e32 v20, 0, v13, vcc
	v_lshl_add_u64 v[8:9], v[20:21], 0, v[8:9]
; %bb.82:
	s_or_b64 exec, exec, s[30:31]
	v_and_b32_e32 v20, 16, v44
	v_mov_b32_dpp v5, v8 row_bcast:15 row_mask:0xf bank_mask:0xf
	v_mov_b32_dpp v13, v9 row_bcast:15 row_mask:0xf bank_mask:0xf
	;; [unrolled: 1-line block ×3, first 2 shown]
	v_cmp_ne_u32_e32 vcc, 0, v20
	s_and_saveexec_b64 s[30:31], vcc
; %bb.83:
	v_cmp_eq_u32_e32 vcc, 0, v12
	v_or_b32_e32 v4, v4, v12
	v_and_b32_e32 v12, 1, v4
	v_cndmask_b32_e32 v21, 0, v13, vcc
	v_cndmask_b32_e32 v20, 0, v5, vcc
	v_lshl_add_u64 v[8:9], v[20:21], 0, v[8:9]
; %bb.84:
	s_or_b64 exec, exec, s[30:31]
	s_nop 0
	v_mov_b32_dpp v13, v8 row_bcast:31 row_mask:0xf bank_mask:0xf
	v_mov_b32_dpp v20, v9 row_bcast:31 row_mask:0xf bank_mask:0xf
	;; [unrolled: 1-line block ×3, first 2 shown]
	v_cmp_lt_u32_e32 vcc, 31, v44
	v_mov_b32_e32 v4, v12
	s_and_saveexec_b64 s[30:31], vcc
; %bb.85:
	v_cmp_eq_u32_e32 vcc, 0, v12
	v_or_b32_e32 v5, v5, v12
	v_and_b32_e32 v4, 1, v5
	v_cndmask_b32_e32 v21, 0, v20, vcc
	v_cndmask_b32_e32 v20, 0, v13, vcc
	v_lshl_add_u64 v[8:9], v[20:21], 0, v[8:9]
	v_and_b32_e32 v12, 1, v5
; %bb.86:
	s_or_b64 exec, exec, s[30:31]
	v_or_b32_e32 v5, 63, v0
	v_lshrrev_b32_e32 v13, 6, v0
	v_cmp_eq_u32_e32 vcc, v5, v0
	s_and_saveexec_b64 s[30:31], vcc
	s_cbranch_execz .LBB96_88
; %bb.87:
	v_lshlrev_b32_e32 v5, 4, v13
	ds_write_b64 v5, v[8:9]
	ds_write_b8 v5, v4 offset:8
.LBB96_88:
	s_or_b64 exec, exec, s[30:31]
	v_cmp_gt_u32_e32 vcc, 4, v0
	s_waitcnt lgkmcnt(0)
	s_barrier
	s_and_saveexec_b64 s[36:37], vcc
	s_cbranch_execz .LBB96_94
; %bb.89:
	v_lshlrev_b32_e32 v20, 4, v0
	ds_read_b64 v[4:5], v20
	ds_read_b32 v21, v20 offset:8
	v_and_b32_e32 v24, 3, v44
	v_cmp_ne_u32_e32 vcc, 0, v24
	s_waitcnt lgkmcnt(1)
	v_mov_b32_dpp v40, v4 row_shr:1 row_mask:0xf bank_mask:0xf
	v_mov_b32_dpp v41, v5 row_shr:1 row_mask:0xf bank_mask:0xf
	s_waitcnt lgkmcnt(0)
	v_mov_b32_dpp v37, v21 row_shr:1 row_mask:0xf bank_mask:0xf
	v_mov_b32_e32 v25, v21
	v_mov_b32_e32 v36, v21
	s_and_saveexec_b64 s[30:31], vcc
; %bb.90:
	v_mov_b32_e32 v25, 0
	v_cmp_eq_u16_sdwa vcc, v21, v25 src0_sel:BYTE_0 src1_sel:DWORD
	v_or_b32_e32 v36, v37, v21
	v_and_b32_e32 v25, 1, v36
	v_cndmask_b32_e32 v41, 0, v41, vcc
	v_cndmask_b32_e32 v40, 0, v40, vcc
	v_and_b32_e32 v36, 1, v36
	s_movk_i32 s3, 0xff00
	v_lshl_add_u64 v[4:5], v[40:41], 0, v[4:5]
	v_and_or_b32 v21, v21, s3, v36
; %bb.91:
	s_or_b64 exec, exec, s[30:31]
	v_mov_b32_dpp v37, v4 row_shr:2 row_mask:0xf bank_mask:0xf
	v_mov_b32_dpp v40, v5 row_shr:2 row_mask:0xf bank_mask:0xf
	;; [unrolled: 1-line block ×3, first 2 shown]
	v_cmp_lt_u32_e32 vcc, 1, v24
	s_and_saveexec_b64 s[48:49], vcc
; %bb.92:
	v_mov_b32_e32 v24, 0
	v_cmp_eq_u16_sdwa vcc, v36, v24 src0_sel:BYTE_0 src1_sel:DWORD
	v_and_b32_e32 v21, 1, v21
	v_cmp_eq_u32_e64 s[30:31], 1, v21
	v_cndmask_b32_e32 v25, 0, v40, vcc
	v_cndmask_b32_e32 v24, 0, v37, vcc
	v_lshl_add_u64 v[4:5], v[24:25], 0, v[4:5]
	v_and_b32_e32 v24, 1, v36
	v_cmp_eq_u32_e32 vcc, 1, v24
	s_or_b64 s[30:31], vcc, s[30:31]
	v_cndmask_b32_e64 v25, 0, 1, s[30:31]
; %bb.93:
	s_or_b64 exec, exec, s[48:49]
	ds_write_b64 v20, v[4:5]
	ds_write_b8 v20, v25 offset:8
.LBB96_94:
	s_or_b64 exec, exec, s[36:37]
	v_cmp_gt_u32_e32 vcc, 64, v0
	v_cmp_lt_u32_e64 s[30:31], 63, v0
	v_mov_b32_e32 v36, 0
	v_mov_b64_e32 v[4:5], 0
	s_waitcnt lgkmcnt(0)
	s_barrier
	s_and_saveexec_b64 s[36:37], s[30:31]
	s_cbranch_execz .LBB96_96
; %bb.95:
	v_lshl_add_u32 v13, v13, 4, -16
	ds_read_b64 v[4:5], v13
	ds_read_u8 v36, v13 offset:8
	v_and_b32_e32 v20, 1, v12
	v_cmp_eq_u32_e64 s[30:31], 0, v12
	s_waitcnt lgkmcnt(1)
	s_nop 0
	v_cndmask_b32_e64 v13, 0, v5, s[30:31]
	v_cndmask_b32_e64 v12, 0, v4, s[30:31]
	v_cmp_eq_u32_e64 s[30:31], 1, v20
	v_lshl_add_u64 v[8:9], v[12:13], 0, v[8:9]
	s_waitcnt lgkmcnt(0)
	v_cndmask_b32_e64 v12, v36, 1, s[30:31]
.LBB96_96:
	s_or_b64 exec, exec, s[36:37]
	v_add_u32_e32 v13, -1, v44
	v_and_b32_e32 v20, 64, v44
	v_cmp_lt_i32_e64 s[30:31], v13, v20
	s_nop 1
	v_cndmask_b32_e64 v13, v13, v44, s[30:31]
	v_lshlrev_b32_e32 v13, 2, v13
	ds_bpermute_b32 v37, v13, v8
	ds_bpermute_b32 v40, v13, v9
	;; [unrolled: 1-line block ×3, first 2 shown]
	v_cmp_eq_u32_e64 s[30:31], 0, v44
	s_and_saveexec_b64 s[48:49], vcc
	s_cbranch_execz .LBB96_139
; %bb.97:
	v_mov_b32_e32 v13, 0
	ds_read2_b64 v[48:51], v13 offset0:6 offset1:7
	s_and_saveexec_b64 s[36:37], s[30:31]
	s_cbranch_execz .LBB96_99
; %bb.98:
	s_add_i32 s54, s2, 64
	s_mov_b32 s55, 0
	s_lshl_b64 s[58:59], s[54:55], 4
	s_add_u32 s58, s40, s58
	s_addc_u32 s59, s41, s59
	v_mov_b32_e32 v8, s54
	v_mov_b32_e32 v9, 1
	s_waitcnt lgkmcnt(0)
	global_store_dword v13, v48, s[58:59] sc1
	global_store_dword v13, v49, s[58:59] offset:4 sc1
	global_store_dword v13, v50, s[58:59] offset:8 sc1
	;; [unrolled: 1-line block ×3, first 2 shown]
	s_waitcnt vmcnt(0)
	global_store_byte v8, v9, s[44:45] sc1
.LBB96_99:
	s_or_b64 exec, exec, s[36:37]
	v_xad_u32 v8, v44, -1, s2
	v_add_u32_e32 v12, 64, v8
	global_load_ubyte v45, v12, s[44:45] sc1
	s_waitcnt vmcnt(0)
	v_cmp_eq_u16_e32 vcc, 0, v45
	s_and_saveexec_b64 s[36:37], vcc
	s_cbranch_execz .LBB96_103
; %bb.100:
	v_lshl_add_u64 v[20:21], s[44:45], 0, v[12:13]
	s_mov_b64 s[54:55], 0
.LBB96_101:                             ; =>This Inner Loop Header: Depth=1
	global_load_ubyte v45, v[20:21], off sc1
	s_waitcnt vmcnt(0)
	v_cmp_ne_u16_e32 vcc, 0, v45
	s_or_b64 s[54:55], vcc, s[54:55]
	s_andn2_b64 exec, exec, s[54:55]
	s_cbranch_execnz .LBB96_101
; %bb.102:
	s_or_b64 exec, exec, s[54:55]
.LBB96_103:
	s_or_b64 exec, exec, s[36:37]
	v_mov_b32_e32 v9, s43
	v_mov_b32_e32 v20, s41
	v_cmp_eq_u16_e32 vcc, 1, v45
	s_waitcnt vmcnt(0) lgkmcnt(0)
	s_nop 0
	v_cndmask_b32_e32 v21, v9, v20, vcc
	v_mov_b32_e32 v9, s42
	v_mov_b32_e32 v20, s40
	v_cndmask_b32_e32 v20, v9, v20, vcc
	v_lshl_add_u64 v[12:13], v[12:13], 4, v[20:21]
	global_load_dword v24, v[12:13], off sc1
	global_load_dword v25, v[12:13], off offset:4 sc1
	global_load_dword v64, v[12:13], off offset:8 sc1
	;; [unrolled: 1-line block ×3, first 2 shown]
	v_cmp_eq_u16_e32 vcc, 2, v45
	v_lshlrev_b64 v[12:13], v44, -1
	v_and_b32_e32 v51, 63, v44
	s_waitcnt vmcnt(0)
	v_and_b32_e32 v9, vcc_hi, v13
	v_and_b32_e32 v55, vcc_lo, v12
	v_cmp_ne_u32_e32 vcc, 63, v51
	v_or_b32_e32 v9, 0x80000000, v9
	v_ffbl_b32_e32 v9, v9
	v_addc_co_u32_e32 v20, vcc, 0, v44, vcc
	v_lshlrev_b32_e32 v52, 2, v20
	v_add_u32_e32 v9, 32, v9
	v_ffbl_b32_e32 v55, v55
	v_min_u32_e32 v9, v55, v9
	v_cmp_lt_u32_e32 vcc, v51, v9
	ds_bpermute_b32 v53, v52, v24
	ds_bpermute_b32 v54, v52, v25
	v_and_b32_e32 v20, 0xff, v64
	ds_bpermute_b32 v21, v52, v20
	s_and_saveexec_b64 s[36:37], vcc
	s_cbranch_execz .LBB96_105
; %bb.104:
	v_mov_b32_e32 v20, 0
	v_cmp_eq_u16_sdwa vcc, v64, v20 src0_sel:BYTE_0 src1_sel:DWORD
	s_waitcnt lgkmcnt(0)
	v_or_b32_e32 v20, v21, v64
	v_and_b32_e32 v64, 1, v20
	v_cndmask_b32_e32 v55, 0, v54, vcc
	v_cndmask_b32_e32 v54, 0, v53, vcc
	v_lshl_add_u64 v[24:25], v[54:55], 0, v[24:25]
	v_and_b32_e32 v20, 1, v20
.LBB96_105:
	s_or_b64 exec, exec, s[36:37]
	v_cmp_gt_u32_e32 vcc, 62, v51
	s_waitcnt lgkmcnt(1)
	v_add_u32_e32 v54, 2, v51
	s_waitcnt lgkmcnt(0)
	v_cndmask_b32_e64 v21, 0, 1, vcc
	v_lshlrev_b32_e32 v21, 1, v21
	v_add_lshl_u32 v53, v21, v44, 2
	ds_bpermute_b32 v55, v53, v24
	ds_bpermute_b32 v56, v53, v25
	ds_bpermute_b32 v21, v53, v20
	v_cmp_le_u32_e32 vcc, v54, v9
	s_and_saveexec_b64 s[54:55], vcc
	s_cbranch_execz .LBB96_107
; %bb.106:
	v_mov_b32_e32 v20, 0
	v_cmp_eq_u16_sdwa vcc, v64, v20 src0_sel:BYTE_0 src1_sel:DWORD
	v_and_b32_e32 v20, 1, v64
	s_waitcnt lgkmcnt(1)
	v_cndmask_b32_e32 v57, 0, v56, vcc
	v_cndmask_b32_e32 v56, 0, v55, vcc
	v_cmp_eq_u32_e32 vcc, 1, v20
	s_waitcnt lgkmcnt(0)
	v_and_b32_e32 v20, 1, v21
	v_cmp_eq_u32_e64 s[36:37], 1, v20
	s_or_b64 s[36:37], vcc, s[36:37]
	v_lshl_add_u64 v[24:25], v[56:57], 0, v[24:25]
	v_cndmask_b32_e64 v64, 0, 1, s[36:37]
	v_cndmask_b32_e64 v20, 0, 1, s[36:37]
.LBB96_107:
	s_or_b64 exec, exec, s[54:55]
	v_cmp_gt_u32_e32 vcc, 60, v51
	s_waitcnt lgkmcnt(1)
	v_add_u32_e32 v56, 4, v51
	s_waitcnt lgkmcnt(0)
	v_cndmask_b32_e64 v21, 0, 1, vcc
	v_lshlrev_b32_e32 v21, 2, v21
	v_add_lshl_u32 v55, v21, v44, 2
	ds_bpermute_b32 v57, v55, v24
	ds_bpermute_b32 v58, v55, v25
	ds_bpermute_b32 v21, v55, v20
	v_cmp_le_u32_e32 vcc, v56, v9
	s_and_saveexec_b64 s[54:55], vcc
	s_cbranch_execz .LBB96_109
; %bb.108:
	v_mov_b32_e32 v20, 0
	v_cmp_eq_u16_sdwa vcc, v64, v20 src0_sel:BYTE_0 src1_sel:DWORD
	v_and_b32_e32 v20, 1, v64
	s_waitcnt lgkmcnt(1)
	v_cndmask_b32_e32 v59, 0, v58, vcc
	v_cndmask_b32_e32 v58, 0, v57, vcc
	v_cmp_eq_u32_e32 vcc, 1, v20
	s_waitcnt lgkmcnt(0)
	v_and_b32_e32 v20, 1, v21
	v_cmp_eq_u32_e64 s[36:37], 1, v20
	s_or_b64 s[36:37], vcc, s[36:37]
	v_lshl_add_u64 v[24:25], v[58:59], 0, v[24:25]
	v_cndmask_b32_e64 v64, 0, 1, s[36:37]
	v_cndmask_b32_e64 v20, 0, 1, s[36:37]
.LBB96_109:
	;; [unrolled: 30-line block ×4, first 2 shown]
	s_or_b64 exec, exec, s[54:55]
	v_cmp_gt_u32_e32 vcc, 32, v51
	s_waitcnt lgkmcnt(1)
	v_add_u32_e32 v62, 32, v51
	s_waitcnt lgkmcnt(0)
	v_cndmask_b32_e64 v21, 0, 1, vcc
	v_lshlrev_b32_e32 v21, 5, v21
	v_add_lshl_u32 v61, v21, v44, 2
	ds_bpermute_b32 v21, v61, v24
	ds_bpermute_b32 v44, v61, v25
	ds_bpermute_b32 v20, v61, v20
	v_cmp_le_u32_e32 vcc, v62, v9
	s_and_saveexec_b64 s[54:55], vcc
	s_cbranch_execz .LBB96_115
; %bb.114:
	v_mov_b32_e32 v9, 0
	v_cmp_eq_u16_sdwa vcc, v64, v9 src0_sel:BYTE_0 src1_sel:DWORD
	v_and_b32_e32 v9, 1, v64
	s_waitcnt lgkmcnt(1)
	v_cndmask_b32_e32 v67, 0, v44, vcc
	v_cndmask_b32_e32 v66, 0, v21, vcc
	v_cmp_eq_u32_e32 vcc, 1, v9
	s_waitcnt lgkmcnt(0)
	v_and_b32_e32 v9, 1, v20
	v_cmp_eq_u32_e64 s[36:37], 1, v9
	s_or_b64 s[36:37], vcc, s[36:37]
	v_lshl_add_u64 v[24:25], v[66:67], 0, v[24:25]
	v_cndmask_b32_e64 v64, 0, 1, s[36:37]
.LBB96_115:
	s_or_b64 exec, exec, s[54:55]
	v_mov_b32_e32 v9, 0
	v_mov_b32_e32 v63, 2
	s_branch .LBB96_117
.LBB96_116:                             ;   in Loop: Header=BB96_117 Depth=1
	s_or_b64 exec, exec, s[58:59]
	v_cmp_eq_u16_sdwa vcc, v44, v9 src0_sel:BYTE_0 src1_sel:DWORD
	v_and_b32_e32 v64, 1, v44
	v_subrev_u32_e32 v8, 64, v8
	v_cndmask_b32_e32 v25, 0, v25, vcc
	v_cndmask_b32_e32 v24, 0, v24, vcc
	v_cmp_eq_u32_e32 vcc, 1, v64
	s_or_b64 s[36:37], vcc, s[54:55]
	v_lshl_add_u64 v[24:25], v[24:25], 0, v[20:21]
	v_cndmask_b32_e64 v64, 0, 1, s[36:37]
.LBB96_117:                             ; =>This Loop Header: Depth=1
                                        ;     Child Loop BB96_120 Depth 2
	v_cmp_ne_u16_sdwa s[36:37], v45, v63 src0_sel:BYTE_0 src1_sel:DWORD
	s_waitcnt lgkmcnt(1)
	v_mov_b32_e32 v44, v64
	s_waitcnt lgkmcnt(0)
	v_cndmask_b32_e64 v20, 0, 1, s[36:37]
	;;#ASMSTART
	;;#ASMEND
	s_nop 0
	v_cmp_ne_u32_e32 vcc, 0, v20
	s_cmp_lg_u64 vcc, exec
	v_mov_b64_e32 v[20:21], v[24:25]
	s_cbranch_scc1 .LBB96_134
; %bb.118:                              ;   in Loop: Header=BB96_117 Depth=1
	global_load_ubyte v45, v8, s[44:45] sc1
	s_waitcnt vmcnt(0)
	v_cmp_eq_u16_e32 vcc, 0, v45
	s_and_saveexec_b64 s[36:37], vcc
	s_cbranch_execz .LBB96_122
; %bb.119:                              ;   in Loop: Header=BB96_117 Depth=1
	v_lshl_add_u64 v[24:25], s[44:45], 0, v[8:9]
	s_mov_b64 s[54:55], 0
.LBB96_120:                             ;   Parent Loop BB96_117 Depth=1
                                        ; =>  This Inner Loop Header: Depth=2
	global_load_ubyte v45, v[24:25], off sc1
	s_waitcnt vmcnt(0)
	v_cmp_ne_u16_e32 vcc, 0, v45
	s_or_b64 s[54:55], vcc, s[54:55]
	s_andn2_b64 exec, exec, s[54:55]
	s_cbranch_execnz .LBB96_120
; %bb.121:                              ;   in Loop: Header=BB96_117 Depth=1
	s_or_b64 exec, exec, s[54:55]
.LBB96_122:                             ;   in Loop: Header=BB96_117 Depth=1
	s_or_b64 exec, exec, s[36:37]
	v_mov_b32_e32 v24, s43
	v_mov_b32_e32 v25, s41
	v_cmp_eq_u16_e32 vcc, 1, v45
	v_mov_b32_e32 v64, s40
	s_waitcnt vmcnt(0)
	v_cndmask_b32_e32 v25, v24, v25, vcc
	v_mov_b32_e32 v24, s42
	v_cndmask_b32_e32 v24, v24, v64, vcc
	v_lshl_add_u64 v[66:67], v[8:9], 4, v[24:25]
	global_load_dword v24, v[66:67], off sc1
	global_load_dword v25, v[66:67], off offset:4 sc1
	global_load_dword v64, v[66:67], off offset:8 sc1
	;; [unrolled: 1-line block ×3, first 2 shown]
	v_cmp_eq_u16_e32 vcc, 2, v45
	s_waitcnt vmcnt(3)
	ds_bpermute_b32 v68, v52, v24
	s_waitcnt vmcnt(0)
	v_and_b32_e32 v65, vcc_hi, v13
	v_and_b32_e32 v66, 0xff, v64
	v_or_b32_e32 v65, 0x80000000, v65
	ds_bpermute_b32 v69, v52, v25
	ds_bpermute_b32 v67, v52, v66
	v_and_b32_e32 v70, vcc_lo, v12
	v_ffbl_b32_e32 v65, v65
	v_add_u32_e32 v65, 32, v65
	v_ffbl_b32_e32 v70, v70
	v_min_u32_e32 v65, v70, v65
	v_cmp_lt_u32_e32 vcc, v51, v65
	s_and_saveexec_b64 s[36:37], vcc
	s_cbranch_execz .LBB96_124
; %bb.123:                              ;   in Loop: Header=BB96_117 Depth=1
	v_cmp_eq_u16_sdwa vcc, v64, v9 src0_sel:BYTE_0 src1_sel:DWORD
	s_waitcnt lgkmcnt(0)
	v_or_b32_e32 v66, v67, v64
	v_and_b32_e32 v64, 1, v66
	v_cndmask_b32_e32 v69, 0, v69, vcc
	v_cndmask_b32_e32 v68, 0, v68, vcc
	v_lshl_add_u64 v[24:25], v[68:69], 0, v[24:25]
	v_and_b32_e32 v66, 1, v66
.LBB96_124:                             ;   in Loop: Header=BB96_117 Depth=1
	s_or_b64 exec, exec, s[36:37]
	s_waitcnt lgkmcnt(2)
	ds_bpermute_b32 v68, v53, v24
	s_waitcnt lgkmcnt(2)
	ds_bpermute_b32 v69, v53, v25
	;; [unrolled: 2-line block ×3, first 2 shown]
	v_and_b32_e32 v70, 1, v64
	v_cmp_le_u32_e32 vcc, v54, v65
	v_cmp_eq_u32_e64 s[54:55], 1, v70
	s_and_saveexec_b64 s[36:37], vcc
	s_cbranch_execz .LBB96_126
; %bb.125:                              ;   in Loop: Header=BB96_117 Depth=1
	v_cmp_eq_u16_sdwa vcc, v64, v9 src0_sel:BYTE_0 src1_sel:DWORD
	s_waitcnt lgkmcnt(0)
	v_and_b32_e32 v64, 1, v67
	v_cndmask_b32_e32 v69, 0, v69, vcc
	v_cndmask_b32_e32 v68, 0, v68, vcc
	v_cmp_eq_u32_e32 vcc, 1, v64
	s_or_b64 s[58:59], s[54:55], vcc
	v_cndmask_b32_e64 v64, 0, 1, s[58:59]
	v_cndmask_b32_e64 v66, 0, 1, s[58:59]
	s_andn2_b64 s[54:55], s[54:55], exec
	s_and_b64 s[58:59], s[58:59], exec
	v_lshl_add_u64 v[24:25], v[68:69], 0, v[24:25]
	s_or_b64 s[54:55], s[54:55], s[58:59]
.LBB96_126:                             ;   in Loop: Header=BB96_117 Depth=1
	s_or_b64 exec, exec, s[36:37]
	s_waitcnt lgkmcnt(2)
	ds_bpermute_b32 v68, v55, v24
	s_waitcnt lgkmcnt(2)
	ds_bpermute_b32 v69, v55, v25
	s_waitcnt lgkmcnt(2)
	ds_bpermute_b32 v67, v55, v66
	v_cmp_le_u32_e32 vcc, v56, v65
	s_and_saveexec_b64 s[58:59], vcc
	s_cbranch_execz .LBB96_128
; %bb.127:                              ;   in Loop: Header=BB96_117 Depth=1
	v_cmp_eq_u16_sdwa vcc, v64, v9 src0_sel:BYTE_0 src1_sel:DWORD
	v_and_b32_e32 v64, 1, v64
	s_andn2_b64 s[54:55], s[54:55], exec
	s_waitcnt lgkmcnt(1)
	v_cndmask_b32_e32 v69, 0, v69, vcc
	v_cndmask_b32_e32 v68, 0, v68, vcc
	v_cmp_eq_u32_e32 vcc, 1, v64
	s_waitcnt lgkmcnt(0)
	v_and_b32_e32 v64, 1, v67
	v_cmp_eq_u32_e64 s[36:37], 1, v64
	s_or_b64 s[36:37], vcc, s[36:37]
	v_lshl_add_u64 v[24:25], v[68:69], 0, v[24:25]
	v_cndmask_b32_e64 v64, 0, 1, s[36:37]
	v_cndmask_b32_e64 v66, 0, 1, s[36:37]
	s_and_b64 s[36:37], s[36:37], exec
	s_or_b64 s[54:55], s[54:55], s[36:37]
.LBB96_128:                             ;   in Loop: Header=BB96_117 Depth=1
	s_or_b64 exec, exec, s[58:59]
	s_waitcnt lgkmcnt(2)
	ds_bpermute_b32 v68, v57, v24
	s_waitcnt lgkmcnt(2)
	ds_bpermute_b32 v69, v57, v25
	s_waitcnt lgkmcnt(2)
	ds_bpermute_b32 v67, v57, v66
	v_cmp_le_u32_e32 vcc, v58, v65
	s_and_saveexec_b64 s[58:59], vcc
	s_cbranch_execz .LBB96_130
; %bb.129:                              ;   in Loop: Header=BB96_117 Depth=1
	v_cmp_eq_u16_sdwa vcc, v64, v9 src0_sel:BYTE_0 src1_sel:DWORD
	v_and_b32_e32 v64, 1, v64
	s_andn2_b64 s[54:55], s[54:55], exec
	s_waitcnt lgkmcnt(1)
	v_cndmask_b32_e32 v69, 0, v69, vcc
	v_cndmask_b32_e32 v68, 0, v68, vcc
	v_cmp_eq_u32_e32 vcc, 1, v64
	s_waitcnt lgkmcnt(0)
	v_and_b32_e32 v64, 1, v67
	v_cmp_eq_u32_e64 s[36:37], 1, v64
	s_or_b64 s[36:37], vcc, s[36:37]
	v_lshl_add_u64 v[24:25], v[68:69], 0, v[24:25]
	v_cndmask_b32_e64 v64, 0, 1, s[36:37]
	v_cndmask_b32_e64 v66, 0, 1, s[36:37]
	s_and_b64 s[36:37], s[36:37], exec
	s_or_b64 s[54:55], s[54:55], s[36:37]
.LBB96_130:                             ;   in Loop: Header=BB96_117 Depth=1
	s_or_b64 exec, exec, s[58:59]
	s_waitcnt lgkmcnt(2)
	ds_bpermute_b32 v68, v59, v24
	s_waitcnt lgkmcnt(2)
	ds_bpermute_b32 v69, v59, v25
	s_waitcnt lgkmcnt(2)
	ds_bpermute_b32 v67, v59, v66
	v_cmp_le_u32_e32 vcc, v60, v65
	s_and_saveexec_b64 s[58:59], vcc
	s_cbranch_execz .LBB96_132
; %bb.131:                              ;   in Loop: Header=BB96_117 Depth=1
	v_cmp_eq_u16_sdwa vcc, v64, v9 src0_sel:BYTE_0 src1_sel:DWORD
	v_and_b32_e32 v64, 1, v64
	s_andn2_b64 s[54:55], s[54:55], exec
	s_waitcnt lgkmcnt(1)
	v_cndmask_b32_e32 v69, 0, v69, vcc
	v_cndmask_b32_e32 v68, 0, v68, vcc
	v_cmp_eq_u32_e32 vcc, 1, v64
	s_waitcnt lgkmcnt(0)
	v_and_b32_e32 v64, 1, v67
	v_cmp_eq_u32_e64 s[36:37], 1, v64
	s_or_b64 s[36:37], vcc, s[36:37]
	v_lshl_add_u64 v[24:25], v[68:69], 0, v[24:25]
	v_cndmask_b32_e64 v64, 0, 1, s[36:37]
	v_cndmask_b32_e64 v66, 0, 1, s[36:37]
	s_and_b64 s[36:37], s[36:37], exec
	s_or_b64 s[54:55], s[54:55], s[36:37]
.LBB96_132:                             ;   in Loop: Header=BB96_117 Depth=1
	s_or_b64 exec, exec, s[58:59]
	s_waitcnt lgkmcnt(0)
	ds_bpermute_b32 v67, v61, v24
	ds_bpermute_b32 v68, v61, v25
	;; [unrolled: 1-line block ×3, first 2 shown]
	v_cmp_le_u32_e32 vcc, v62, v65
	s_and_saveexec_b64 s[58:59], vcc
	s_cbranch_execz .LBB96_116
; %bb.133:                              ;   in Loop: Header=BB96_117 Depth=1
	v_cmp_eq_u16_sdwa vcc, v64, v9 src0_sel:BYTE_0 src1_sel:DWORD
	v_and_b32_e32 v64, 1, v64
	s_andn2_b64 s[54:55], s[54:55], exec
	s_waitcnt lgkmcnt(1)
	v_cndmask_b32_e32 v69, 0, v68, vcc
	v_cndmask_b32_e32 v68, 0, v67, vcc
	v_cmp_eq_u32_e32 vcc, 1, v64
	s_waitcnt lgkmcnt(0)
	v_and_b32_e32 v64, 1, v66
	v_cmp_eq_u32_e64 s[36:37], 1, v64
	s_or_b64 s[36:37], vcc, s[36:37]
	s_and_b64 s[36:37], s[36:37], exec
	v_lshl_add_u64 v[24:25], v[68:69], 0, v[24:25]
	s_or_b64 s[54:55], s[54:55], s[36:37]
	s_branch .LBB96_116
.LBB96_134:                             ;   in Loop: Header=BB96_117 Depth=1
                                        ; implicit-def: $vgpr64
                                        ; implicit-def: $vgpr24_vgpr25
                                        ; implicit-def: $vgpr45
	s_cbranch_execz .LBB96_117
; %bb.135:
	s_and_saveexec_b64 s[36:37], s[30:31]
	s_cbranch_execz .LBB96_137
; %bb.136:
	s_mov_b32 s3, 0
	v_mov_b32_e32 v12, 0
	s_add_i32 s2, s2, 64
	v_cmp_eq_u32_sdwa vcc, v50, v12 src0_sel:BYTE_0 src1_sel:DWORD
	s_lshl_b64 s[40:41], s[2:3], 4
	v_and_b32_e32 v13, 1, v50
	v_cndmask_b32_e32 v9, 0, v21, vcc
	v_cndmask_b32_e32 v8, 0, v20, vcc
	s_add_u32 s40, s42, s40
	v_lshl_add_u64 v[8:9], v[8:9], 0, v[48:49]
	v_and_b32_e32 v24, 1, v44
	v_cmp_eq_u32_e32 vcc, 1, v13
	s_addc_u32 s41, s43, s41
	s_nop 0
	v_cndmask_b32_e64 v13, v24, 1, vcc
	global_store_dword v12, v8, s[40:41] sc1
	global_store_dword v12, v9, s[40:41] offset:4 sc1
	global_store_dword v12, v13, s[40:41] offset:8 sc1
	;; [unrolled: 1-line block ×3, first 2 shown]
	v_mov_b32_e32 v8, s2
	v_mov_b32_e32 v9, 2
	s_waitcnt vmcnt(0) lgkmcnt(0)
	global_store_byte v8, v9, s[44:45] sc1
.LBB96_137:
	s_or_b64 exec, exec, s[36:37]
	v_cmp_eq_u32_e32 vcc, 0, v0
	s_and_b64 exec, exec, vcc
	s_cbranch_execz .LBB96_139
; %bb.138:
	v_mov_b32_e32 v8, 0
	ds_write_b64 v8, v[20:21] offset:48
	ds_write_b8 v8, v44 offset:56
.LBB96_139:
	s_or_b64 exec, exec, s[48:49]
	s_waitcnt lgkmcnt(0)
	v_cndmask_b32_e64 v8, v41, v36, s[30:31]
	v_mov_b32_e32 v13, 0
	v_cndmask_b32_e64 v9, v40, v5, s[30:31]
	v_cndmask_b32_e64 v12, v37, v4, s[30:31]
	v_cmp_eq_u16_sdwa vcc, v1, v13 src0_sel:BYTE_0 src1_sel:DWORD
	v_and_b32_e32 v20, 1, v1
	v_and_b32_e32 v8, 1, v8
	s_barrier
	ds_read_b64 v[4:5], v13 offset:48
	v_cndmask_b32_e32 v12, 0, v12, vcc
	v_cndmask_b32_e32 v9, 0, v9, vcc
	v_cmp_eq_u32_e32 vcc, 1, v20
	v_cmp_eq_u32_e64 s[2:3], 1, v8
	s_or_b64 s[2:3], vcc, s[2:3]
	v_cmp_eq_u32_e32 vcc, 0, v0
	v_cndmask_b32_e64 v8, 0, 1, s[2:3]
	s_nop 0
	v_cndmask_b32_e32 v20, v8, v1, vcc
	v_cndmask_b32_e64 v9, v9, 0, vcc
	v_cndmask_b32_e64 v8, v12, 0, vcc
	v_cmp_eq_u16_sdwa vcc, v20, v13 src0_sel:BYTE_0 src1_sel:DWORD
	v_lshl_add_u64 v[8:9], v[8:9], 0, v[2:3]
	s_waitcnt lgkmcnt(0)
	v_cndmask_b32_e32 v5, 0, v5, vcc
	v_cndmask_b32_e32 v4, 0, v4, vcc
	v_lshl_add_u64 v[48:49], v[8:9], 0, v[4:5]
	v_cndmask_b32_e64 v5, 0, v49, s[4:5]
	v_cndmask_b32_e64 v4, 0, v48, s[4:5]
	v_lshl_add_u64 v[50:51], v[4:5], 0, v[14:15]
	v_cndmask_b32_e64 v5, 0, v51, s[6:7]
	v_cndmask_b32_e64 v4, 0, v50, s[6:7]
	;; [unrolled: 3-line block ×13, first 2 shown]
	v_lshl_add_u64 v[74:75], v[4:5], 0, v[16:17]
	s_load_dwordx2 s[36:37], s[0:1], 0x20
	s_branch .LBB96_170
.LBB96_140:
                                        ; implicit-def: $vgpr74_vgpr75
                                        ; implicit-def: $vgpr70_vgpr71
                                        ; implicit-def: $vgpr66_vgpr67
                                        ; implicit-def: $vgpr62_vgpr63
                                        ; implicit-def: $vgpr58_vgpr59
                                        ; implicit-def: $vgpr54_vgpr55
                                        ; implicit-def: $vgpr50_vgpr51
	s_load_dwordx2 s[36:37], s[0:1], 0x20
	s_cbranch_execz .LBB96_170
; %bb.141:
	s_cmp_lg_u64 s[56:57], 0
	s_cselect_b32 s3, s51, 0
	s_cselect_b32 s2, s50, 0
	s_cmp_lg_u64 s[2:3], 0
	s_cselect_b64 s[4:5], -1, 0
	v_cmp_eq_u32_e32 vcc, 0, v0
	v_cmp_ne_u32_e64 s[0:1], 0, v0
	s_and_b64 s[6:7], vcc, s[4:5]
	s_and_saveexec_b64 s[4:5], s[6:7]
	s_cbranch_execz .LBB96_143
; %bb.142:
	v_mov_b32_e32 v8, 0
	global_load_dwordx2 v[4:5], v8, s[2:3]
	global_load_ubyte v9, v8, s[2:3] offset:8
	v_cmp_eq_u16_sdwa s[2:3], v1, v8 src0_sel:BYTE_0 src1_sel:DWORD
	s_waitcnt vmcnt(0)
	v_or_b32_e32 v1, v1, v9
	v_cndmask_b32_e64 v5, 0, v5, s[2:3]
	v_cndmask_b32_e64 v4, 0, v4, s[2:3]
	v_lshl_add_u64 v[2:3], v[4:5], 0, v[2:3]
	v_and_b32_e32 v1, 1, v1
.LBB96_143:
	s_or_b64 exec, exec, s[4:5]
	v_mov_b32_e32 v9, 0
	v_cmp_eq_u16_sdwa s[4:5], v82, v9 src0_sel:BYTE_0 src1_sel:DWORD
	v_cmp_eq_u16_sdwa s[6:7], v81, v9 src0_sel:BYTE_0 src1_sel:DWORD
	v_cmp_eq_u16_sdwa s[8:9], v83, v9 src0_sel:BYTE_0 src1_sel:DWORD
	v_cndmask_b32_e64 v5, 0, v3, s[4:5]
	v_cndmask_b32_e64 v4, 0, v2, s[4:5]
	v_lshl_add_u64 v[50:51], v[4:5], 0, v[14:15]
	v_cndmask_b32_e64 v5, 0, v51, s[6:7]
	v_cndmask_b32_e64 v4, 0, v50, s[6:7]
	v_lshl_add_u64 v[52:53], v[4:5], 0, v[6:7]
	v_cndmask_b32_e64 v5, 0, v53, s[8:9]
	v_cndmask_b32_e64 v4, 0, v52, s[8:9]
	v_lshl_add_u64 v[54:55], v[4:5], 0, v[22:23]
	v_cmp_eq_u16_sdwa s[10:11], v84, v9 src0_sel:BYTE_0 src1_sel:DWORD
	v_cmp_eq_u16_sdwa s[12:13], v85, v9 src0_sel:BYTE_0 src1_sel:DWORD
	v_cmp_eq_u16_sdwa s[14:15], v86, v9 src0_sel:BYTE_0 src1_sel:DWORD
	v_cndmask_b32_e64 v5, 0, v55, s[10:11]
	v_cndmask_b32_e64 v4, 0, v54, s[10:11]
	v_lshl_add_u64 v[56:57], v[4:5], 0, v[10:11]
	v_cndmask_b32_e64 v5, 0, v57, s[12:13]
	v_cndmask_b32_e64 v4, 0, v56, s[12:13]
	v_lshl_add_u64 v[58:59], v[4:5], 0, v[30:31]
	v_cndmask_b32_e64 v5, 0, v59, s[14:15]
	v_cndmask_b32_e64 v4, 0, v58, s[14:15]
	v_lshl_add_u64 v[60:61], v[4:5], 0, v[18:19]
	;; [unrolled: 12-line block ×4, first 2 shown]
	v_cmp_eq_u16_sdwa s[28:29], v33, v9 src0_sel:BYTE_0 src1_sel:DWORD
	v_and_b32_e32 v8, 0xff, v1
	v_mbcnt_hi_u32_b32 v12, -1, v28
	v_cndmask_b32_e64 v5, 0, v73, s[28:29]
	v_cndmask_b32_e64 v4, 0, v72, s[28:29]
	v_lshl_add_u64 v[74:75], v[4:5], 0, v[16:17]
	v_or_b32_e32 v4, v29, v90
	v_or_b32_e32 v4, v4, v89
	v_or_b32_e32 v4, v4, v88
	v_or_b32_e32 v4, v4, v87
	v_or_b32_e32 v4, v4, v86
	v_or_b32_e32 v4, v4, v85
	v_or_b32_e32 v4, v4, v84
	v_or_b32_e32 v4, v4, v83
	v_or_b32_e32 v4, v4, v81
	v_or_b32_e32 v4, v4, v82
	v_and_b32_e32 v4, 1, v4
	v_cmp_eq_u32_e64 s[2:3], 1, v4
	v_and_b32_e32 v20, 15, v12
	v_mov_b32_dpp v24, v74 row_shr:1 row_mask:0xf bank_mask:0xf
	v_cndmask_b32_e64 v13, v8, 1, s[2:3]
	v_mov_b32_dpp v25, v75 row_shr:1 row_mask:0xf bank_mask:0xf
	v_cmp_ne_u32_e64 s[2:3], 0, v20
	v_mov_b32_dpp v21, v13 row_shr:1 row_mask:0xf bank_mask:0xf
	v_mov_b64_e32 v[4:5], v[74:75]
	v_mov_b32_e32 v9, v75
	v_mov_b32_e32 v8, v74
	s_and_saveexec_b64 s[30:31], s[2:3]
; %bb.144:
	v_cmp_eq_u32_e64 s[2:3], 0, v13
	v_and_or_b32 v13, v21, 1, v13
	s_nop 0
	v_cndmask_b32_e64 v5, 0, v25, s[2:3]
	v_cndmask_b32_e64 v4, 0, v24, s[2:3]
	v_lshl_add_u64 v[4:5], v[74:75], 0, v[4:5]
	v_mov_b32_e32 v9, v5
	v_mov_b32_e32 v8, v4
; %bb.145:
	s_or_b64 exec, exec, s[30:31]
	s_nop 0
	v_mov_b32_dpp v24, v8 row_shr:2 row_mask:0xf bank_mask:0xf
	v_mov_b32_dpp v25, v9 row_shr:2 row_mask:0xf bank_mask:0xf
	v_mov_b32_dpp v21, v13 row_shr:2 row_mask:0xf bank_mask:0xf
	v_cmp_lt_u32_e64 s[2:3], 1, v20
	s_and_saveexec_b64 s[30:31], s[2:3]
; %bb.146:
	v_cmp_eq_u32_e64 s[2:3], 0, v13
	s_nop 1
	v_cndmask_b32_e64 v9, 0, v25, s[2:3]
	v_cndmask_b32_e64 v8, 0, v24, s[2:3]
	v_lshl_add_u64 v[8:9], v[8:9], 0, v[4:5]
	v_or_b32_e32 v4, v21, v13
	v_and_b32_e32 v13, 1, v4
	v_mov_b64_e32 v[4:5], v[8:9]
; %bb.147:
	s_or_b64 exec, exec, s[30:31]
	v_mov_b32_dpp v24, v8 row_shr:4 row_mask:0xf bank_mask:0xf
	v_mov_b32_dpp v25, v9 row_shr:4 row_mask:0xf bank_mask:0xf
	v_mov_b32_dpp v21, v13 row_shr:4 row_mask:0xf bank_mask:0xf
	v_cmp_lt_u32_e64 s[2:3], 3, v20
	s_and_saveexec_b64 s[30:31], s[2:3]
; %bb.148:
	v_cmp_eq_u32_e64 s[2:3], 0, v13
	s_nop 1
	v_cndmask_b32_e64 v9, 0, v25, s[2:3]
	v_cndmask_b32_e64 v8, 0, v24, s[2:3]
	v_lshl_add_u64 v[8:9], v[8:9], 0, v[4:5]
	v_or_b32_e32 v4, v21, v13
	v_and_b32_e32 v13, 1, v4
	v_mov_b64_e32 v[4:5], v[8:9]
; %bb.149:
	s_or_b64 exec, exec, s[30:31]
	v_mov_b32_dpp v24, v8 row_shr:8 row_mask:0xf bank_mask:0xf
	v_mov_b32_dpp v25, v9 row_shr:8 row_mask:0xf bank_mask:0xf
	v_mov_b32_dpp v21, v13 row_shr:8 row_mask:0xf bank_mask:0xf
	v_cmp_lt_u32_e64 s[2:3], 7, v20
	s_and_saveexec_b64 s[30:31], s[2:3]
; %bb.150:
	v_cmp_eq_u32_e64 s[2:3], 0, v13
	s_nop 1
	v_cndmask_b32_e64 v9, 0, v25, s[2:3]
	v_cndmask_b32_e64 v8, 0, v24, s[2:3]
	v_lshl_add_u64 v[8:9], v[8:9], 0, v[4:5]
	v_or_b32_e32 v4, v21, v13
	v_and_b32_e32 v13, 1, v4
	v_mov_b64_e32 v[4:5], v[8:9]
; %bb.151:
	s_or_b64 exec, exec, s[30:31]
	v_and_b32_e32 v25, 16, v12
	v_mov_b32_dpp v21, v8 row_bcast:15 row_mask:0xf bank_mask:0xf
	v_mov_b32_dpp v24, v9 row_bcast:15 row_mask:0xf bank_mask:0xf
	;; [unrolled: 1-line block ×3, first 2 shown]
	v_cmp_ne_u32_e64 s[2:3], 0, v25
	s_and_saveexec_b64 s[30:31], s[2:3]
; %bb.152:
	v_cmp_eq_u32_e64 s[2:3], 0, v13
	s_nop 1
	v_cndmask_b32_e64 v9, 0, v24, s[2:3]
	v_cndmask_b32_e64 v8, 0, v21, s[2:3]
	v_lshl_add_u64 v[4:5], v[8:9], 0, v[4:5]
	v_or_b32_e32 v8, v20, v13
	v_and_b32_e32 v13, 1, v8
	v_mov_b32_e32 v9, v5
	v_mov_b32_e32 v8, v4
; %bb.153:
	s_or_b64 exec, exec, s[30:31]
	s_nop 0
	v_mov_b32_dpp v20, v8 row_bcast:31 row_mask:0xf bank_mask:0xf
	v_mov_b32_dpp v21, v9 row_bcast:31 row_mask:0xf bank_mask:0xf
	;; [unrolled: 1-line block ×3, first 2 shown]
	v_cmp_lt_u32_e64 s[2:3], 31, v12
	v_mov_b32_e32 v8, v13
	s_and_saveexec_b64 s[30:31], s[2:3]
; %bb.154:
	v_cmp_eq_u32_e64 s[2:3], 0, v13
	v_or_b32_e32 v9, v9, v13
	v_and_b32_e32 v8, 1, v9
	v_cndmask_b32_e64 v21, 0, v21, s[2:3]
	v_cndmask_b32_e64 v20, 0, v20, s[2:3]
	v_lshl_add_u64 v[4:5], v[20:21], 0, v[4:5]
	v_and_b32_e32 v13, 1, v9
; %bb.155:
	s_or_b64 exec, exec, s[30:31]
	v_or_b32_e32 v9, 63, v0
	v_lshrrev_b32_e32 v20, 6, v0
	v_cmp_eq_u32_e64 s[2:3], v9, v0
	s_and_saveexec_b64 s[30:31], s[2:3]
	s_cbranch_execz .LBB96_157
; %bb.156:
	v_lshlrev_b32_e32 v9, 4, v20
	ds_write_b64 v9, v[4:5]
	ds_write_b8 v9, v8 offset:8
.LBB96_157:
	s_or_b64 exec, exec, s[30:31]
	v_cmp_gt_u32_e64 s[2:3], 4, v0
	s_waitcnt lgkmcnt(0)
	s_barrier
	s_and_saveexec_b64 s[40:41], s[2:3]
	s_cbranch_execz .LBB96_163
; %bb.158:
	v_lshlrev_b32_e32 v21, 4, v0
	ds_read_b64 v[8:9], v21
	ds_read_b32 v24, v21 offset:8
	v_and_b32_e32 v25, 3, v12
	v_cmp_ne_u32_e64 s[2:3], 0, v25
	s_waitcnt lgkmcnt(1)
	v_mov_b32_dpp v36, v8 row_shr:1 row_mask:0xf bank_mask:0xf
	v_mov_b32_dpp v37, v9 row_shr:1 row_mask:0xf bank_mask:0xf
	s_waitcnt lgkmcnt(0)
	v_mov_b32_dpp v33, v24 row_shr:1 row_mask:0xf bank_mask:0xf
	v_mov_b32_e32 v28, v24
	v_mov_b32_e32 v29, v24
	s_and_saveexec_b64 s[30:31], s[2:3]
; %bb.159:
	v_mov_b32_e32 v28, 0
	v_cmp_eq_u16_sdwa s[2:3], v24, v28 src0_sel:BYTE_0 src1_sel:DWORD
	s_nop 1
	v_cndmask_b32_e64 v29, 0, v37, s[2:3]
	v_cndmask_b32_e64 v28, 0, v36, s[2:3]
	v_lshl_add_u64 v[8:9], v[28:29], 0, v[8:9]
	v_or_b32_e32 v29, v33, v24
	v_and_b32_e32 v28, 1, v29
	v_and_b32_e32 v29, 1, v29
	s_movk_i32 s2, 0xff00
	v_and_or_b32 v24, v24, s2, v29
; %bb.160:
	s_or_b64 exec, exec, s[30:31]
	v_mov_b32_dpp v33, v8 row_shr:2 row_mask:0xf bank_mask:0xf
	v_mov_b32_dpp v36, v9 row_shr:2 row_mask:0xf bank_mask:0xf
	;; [unrolled: 1-line block ×3, first 2 shown]
	v_cmp_lt_u32_e64 s[2:3], 1, v25
	s_and_saveexec_b64 s[48:49], s[2:3]
; %bb.161:
	v_mov_b32_e32 v25, 0
	v_cmp_eq_u16_sdwa s[2:3], v29, v25 src0_sel:BYTE_0 src1_sel:DWORD
	v_and_b32_e32 v25, 1, v29
	v_and_b32_e32 v24, 1, v24
	v_cndmask_b32_e64 v37, 0, v36, s[2:3]
	v_cndmask_b32_e64 v36, 0, v33, s[2:3]
	v_cmp_eq_u32_e64 s[2:3], 1, v25
	v_cmp_eq_u32_e64 s[30:31], 1, v24
	s_or_b64 s[2:3], s[2:3], s[30:31]
	v_lshl_add_u64 v[8:9], v[36:37], 0, v[8:9]
	v_cndmask_b32_e64 v28, 0, 1, s[2:3]
; %bb.162:
	s_or_b64 exec, exec, s[48:49]
	ds_write_b64 v21, v[8:9]
	ds_write_b8 v21, v28 offset:8
.LBB96_163:
	s_or_b64 exec, exec, s[40:41]
	v_cmp_lt_u32_e64 s[2:3], 63, v0
	v_mov_b64_e32 v[8:9], 0
	s_waitcnt lgkmcnt(0)
	s_barrier
	s_and_saveexec_b64 s[30:31], s[2:3]
	s_cbranch_execz .LBB96_165
; %bb.164:
	v_lshl_add_u32 v8, v20, 4, -16
	ds_read_b64 v[8:9], v8
	v_cmp_eq_u32_e64 s[2:3], 0, v13
	s_waitcnt lgkmcnt(0)
	s_nop 0
	v_cndmask_b32_e64 v21, 0, v9, s[2:3]
	v_cndmask_b32_e64 v20, 0, v8, s[2:3]
	v_lshl_add_u64 v[4:5], v[20:21], 0, v[4:5]
.LBB96_165:
	s_or_b64 exec, exec, s[30:31]
	v_add_u32_e32 v13, -1, v12
	v_and_b32_e32 v20, 64, v12
	v_cmp_lt_i32_e64 s[2:3], v13, v20
	s_nop 1
	v_cndmask_b32_e64 v13, v13, v12, s[2:3]
	v_lshlrev_b32_e32 v13, 2, v13
	ds_bpermute_b32 v4, v13, v4
	ds_bpermute_b32 v5, v13, v5
	s_and_saveexec_b64 s[2:3], s[0:1]
	s_cbranch_execz .LBB96_167
; %bb.166:
	v_cmp_eq_u32_e64 s[0:1], 0, v12
	;;#ASMSTART
	;;#ASMEND
	s_waitcnt lgkmcnt(1)
	s_nop 0
	v_cndmask_b32_e64 v4, v4, v8, s[0:1]
	v_mov_b32_e32 v8, 0
	s_waitcnt lgkmcnt(0)
	v_cndmask_b32_e64 v5, v5, v9, s[0:1]
	v_cmp_eq_u16_sdwa s[0:1], v1, v8 src0_sel:BYTE_0 src1_sel:DWORD
	s_nop 1
	v_cndmask_b32_e64 v5, 0, v5, s[0:1]
	v_cndmask_b32_e64 v4, 0, v4, s[0:1]
	v_lshl_add_u64 v[2:3], v[4:5], 0, v[2:3]
	v_cndmask_b32_e64 v5, 0, v3, s[4:5]
	v_cndmask_b32_e64 v4, 0, v2, s[4:5]
	v_lshl_add_u64 v[50:51], v[4:5], 0, v[14:15]
	;; [unrolled: 3-line block ×14, first 2 shown]
.LBB96_167:
	s_or_b64 exec, exec, s[2:3]
	s_and_saveexec_b64 s[0:1], vcc
	s_cbranch_execz .LBB96_169
; %bb.168:
	v_mov_b32_e32 v1, 0
	s_waitcnt lgkmcnt(0)
	ds_read_b64 v[4:5], v1 offset:48
	ds_read_u8 v6, v1 offset:56
	s_waitcnt lgkmcnt(1)
	global_store_dword v1, v4, s[42:43] offset:1024 sc1
	global_store_dword v1, v5, s[42:43] offset:1028 sc1
	s_waitcnt lgkmcnt(0)
	global_store_dword v1, v6, s[42:43] offset:1032 sc1
	global_store_dword v1, v1, s[42:43] offset:1036 sc1
	v_mov_b32_e32 v4, 2
	s_waitcnt vmcnt(0)
	global_store_byte v1, v4, s[44:45] offset:64 sc1
.LBB96_169:
	s_or_b64 exec, exec, s[0:1]
	v_mov_b64_e32 v[48:49], v[2:3]
.LBB96_170:
	s_waitcnt lgkmcnt(0)
	s_add_u32 s0, s36, s38
	s_addc_u32 s1, s37, s39
	s_add_u32 s0, s0, s52
	v_mul_u32_u24_e32 v1, 14, v0
	s_addc_u32 s1, s1, s53
	s_and_b64 vcc, exec, s[34:35]
	v_lshlrev_b32_e32 v30, 3, v1
	s_cbranch_vccz .LBB96_198
; %bb.171:
	s_movk_i32 s2, 0xff98
	v_mad_i32_i24 v1, v0, s2, v30
	s_barrier
	ds_write_b128 v30, v[48:51]
	ds_write_b128 v30, v[52:55] offset:16
	ds_write_b128 v30, v[56:59] offset:32
	;; [unrolled: 1-line block ×6, first 2 shown]
	s_waitcnt lgkmcnt(0)
	s_barrier
	ds_read2st64_b64 v[26:29], v1 offset0:4 offset1:8
	ds_read2st64_b64 v[22:25], v1 offset0:12 offset1:16
	ds_read2st64_b64 v[18:21], v1 offset0:20 offset1:24
	ds_read2st64_b64 v[14:17], v1 offset0:28 offset1:32
	ds_read2st64_b64 v[10:13], v1 offset0:36 offset1:40
	ds_read2st64_b64 v[6:9], v1 offset0:44 offset1:48
	ds_read_b64 v[4:5], v1 offset:26624
	s_add_i32 s33, s33, s46
	v_mov_b32_e32 v33, 0
	v_lshl_add_u64 v[2:3], s[0:1], 0, v[32:33]
	v_cmp_gt_u32_e32 vcc, s33, v0
	s_and_saveexec_b64 s[2:3], vcc
	s_cbranch_execz .LBB96_173
; %bb.172:
	v_mul_i32_i24_e32 v1, 0xffffff98, v0
	v_add_u32_e32 v1, v30, v1
	ds_read_b64 v[34:35], v1
	s_waitcnt lgkmcnt(0)
	global_store_dwordx2 v[2:3], v[34:35], off
.LBB96_173:
	s_or_b64 exec, exec, s[2:3]
	v_or_b32_e32 v1, 0x100, v0
	v_cmp_gt_u32_e32 vcc, s33, v1
	s_and_saveexec_b64 s[2:3], vcc
	s_cbranch_execz .LBB96_175
; %bb.174:
	s_waitcnt lgkmcnt(6)
	global_store_dwordx2 v[2:3], v[26:27], off offset:2048
.LBB96_175:
	s_or_b64 exec, exec, s[2:3]
	v_or_b32_e32 v1, 0x200, v0
	v_cmp_gt_u32_e32 vcc, s33, v1
	s_and_saveexec_b64 s[2:3], vcc
	s_cbranch_execz .LBB96_177
; %bb.176:
	s_waitcnt lgkmcnt(6)
	v_add_co_u32_e32 v26, vcc, 0x1000, v2
	s_nop 1
	v_addc_co_u32_e32 v27, vcc, 0, v3, vcc
	global_store_dwordx2 v[26:27], v[28:29], off
.LBB96_177:
	s_or_b64 exec, exec, s[2:3]
	v_or_b32_e32 v1, 0x300, v0
	v_cmp_gt_u32_e32 vcc, s33, v1
	s_and_saveexec_b64 s[2:3], vcc
	s_cbranch_execz .LBB96_179
; %bb.178:
	s_waitcnt lgkmcnt(6)
	v_add_co_u32_e32 v26, vcc, 0x1000, v2
	s_nop 1
	v_addc_co_u32_e32 v27, vcc, 0, v3, vcc
	s_waitcnt lgkmcnt(5)
	global_store_dwordx2 v[26:27], v[22:23], off offset:2048
.LBB96_179:
	s_or_b64 exec, exec, s[2:3]
	v_or_b32_e32 v1, 0x400, v0
	v_cmp_gt_u32_e32 vcc, s33, v1
	s_and_saveexec_b64 s[2:3], vcc
	s_cbranch_execz .LBB96_181
; %bb.180:
	s_waitcnt lgkmcnt(5)
	v_add_co_u32_e32 v22, vcc, 0x2000, v2
	s_nop 1
	v_addc_co_u32_e32 v23, vcc, 0, v3, vcc
	global_store_dwordx2 v[22:23], v[24:25], off
.LBB96_181:
	s_or_b64 exec, exec, s[2:3]
	v_or_b32_e32 v1, 0x500, v0
	v_cmp_gt_u32_e32 vcc, s33, v1
	s_and_saveexec_b64 s[2:3], vcc
	s_cbranch_execz .LBB96_183
; %bb.182:
	s_waitcnt lgkmcnt(5)
	v_add_co_u32_e32 v22, vcc, 0x2000, v2
	s_nop 1
	v_addc_co_u32_e32 v23, vcc, 0, v3, vcc
	s_waitcnt lgkmcnt(4)
	global_store_dwordx2 v[22:23], v[18:19], off offset:2048
.LBB96_183:
	;; [unrolled: 25-line block ×5, first 2 shown]
	s_or_b64 exec, exec, s[2:3]
	v_or_b32_e32 v1, 0xc00, v0
	v_cmp_gt_u32_e32 vcc, s33, v1
	s_and_saveexec_b64 s[2:3], vcc
	s_cbranch_execz .LBB96_197
; %bb.196:
	v_add_co_u32_e32 v2, vcc, 0x6000, v2
	s_nop 1
	v_addc_co_u32_e32 v3, vcc, 0, v3, vcc
	s_waitcnt lgkmcnt(1)
	global_store_dwordx2 v[2:3], v[8:9], off
.LBB96_197:
	s_or_b64 exec, exec, s[2:3]
	v_or_b32_e32 v2, 0xd00, v0
	v_mov_b32_e32 v1, v33
	v_cmp_gt_u32_e64 s[2:3], s33, v2
	s_branch .LBB96_200
.LBB96_198:
	s_mov_b64 s[2:3], 0
                                        ; implicit-def: $vgpr4_vgpr5
	s_cbranch_execz .LBB96_200
; %bb.199:
	v_mov_b32_e32 v1, 0
	s_movk_i32 s4, 0xff98
	v_mad_i32_i24 v2, v0, s4, v30
	v_mov_b32_e32 v33, v1
	s_waitcnt lgkmcnt(0)
	s_barrier
	ds_write_b128 v30, v[48:51]
	ds_write_b128 v30, v[52:55] offset:16
	ds_write_b128 v30, v[56:59] offset:32
	;; [unrolled: 1-line block ×6, first 2 shown]
	s_waitcnt lgkmcnt(0)
	s_barrier
	ds_read2st64_b64 v[6:9], v2 offset1:4
	ds_read2st64_b64 v[10:13], v2 offset0:8 offset1:12
	ds_read2st64_b64 v[14:17], v2 offset0:16 offset1:20
	;; [unrolled: 1-line block ×6, first 2 shown]
	v_lshl_add_u64 v[30:31], s[0:1], 0, v[32:33]
	s_movk_i32 s4, 0x1000
	s_waitcnt lgkmcnt(6)
	global_store_dwordx2 v32, v[6:7], s[0:1]
	global_store_dwordx2 v32, v[8:9], s[0:1] offset:2048
	v_add_co_u32_e32 v6, vcc, s4, v30
	s_movk_i32 s4, 0x2000
	s_nop 0
	v_addc_co_u32_e32 v7, vcc, 0, v31, vcc
	v_add_co_u32_e32 v8, vcc, s4, v30
	s_movk_i32 s4, 0x3000
	s_nop 0
	v_addc_co_u32_e32 v9, vcc, 0, v31, vcc
	s_waitcnt lgkmcnt(5)
	global_store_dwordx2 v[8:9], v[10:11], off offset:-4096
	global_store_dwordx2 v[6:7], v[12:13], off offset:2048
	s_waitcnt lgkmcnt(4)
	global_store_dwordx2 v[8:9], v[14:15], off
	global_store_dwordx2 v[8:9], v[16:17], off offset:2048
	v_add_co_u32_e32 v6, vcc, s4, v30
	s_movk_i32 s4, 0x4000
	s_nop 0
	v_addc_co_u32_e32 v7, vcc, 0, v31, vcc
	v_add_co_u32_e32 v8, vcc, s4, v30
	s_or_b64 s[2:3], s[2:3], exec
	s_nop 0
	v_addc_co_u32_e32 v9, vcc, 0, v31, vcc
	s_waitcnt lgkmcnt(3)
	global_store_dwordx2 v[8:9], v[18:19], off offset:-4096
	global_store_dwordx2 v[6:7], v[20:21], off offset:2048
	s_waitcnt lgkmcnt(2)
	global_store_dwordx2 v[8:9], v[22:23], off
	global_store_dwordx2 v[8:9], v[24:25], off offset:2048
	v_add_co_u32_e32 v6, vcc, 0x5000, v30
	s_nop 1
	v_addc_co_u32_e32 v7, vcc, 0, v31, vcc
	s_waitcnt lgkmcnt(1)
	global_store_dwordx2 v[6:7], v[26:27], off
	global_store_dwordx2 v[6:7], v[28:29], off offset:2048
	v_add_co_u32_e32 v6, vcc, 0x6000, v30
	s_nop 1
	v_addc_co_u32_e32 v7, vcc, 0, v31, vcc
	s_waitcnt lgkmcnt(0)
	global_store_dwordx2 v[6:7], v[2:3], off
.LBB96_200:
	s_and_saveexec_b64 s[4:5], s[2:3]
	s_cbranch_execnz .LBB96_202
; %bb.201:
	s_endpgm
.LBB96_202:
	v_lshl_add_u64 v[0:1], v[0:1], 3, s[0:1]
	v_add_co_u32_e32 v0, vcc, 0x6000, v0
	s_nop 1
	v_addc_co_u32_e32 v1, vcc, 0, v1, vcc
	s_waitcnt lgkmcnt(0)
	global_store_dwordx2 v[0:1], v[4:5], off offset:2048
	s_endpgm
.LBB96_203:
                                        ; implicit-def: $sgpr4_sgpr5
	s_branch .LBB96_32
.LBB96_204:
                                        ; implicit-def: $sgpr4_sgpr5
	s_branch .LBB96_66
	.section	.rodata,"a",@progbits
	.p2align	6, 0x0
	.amdhsa_kernel _ZN7rocprim17ROCPRIM_400000_NS6detail17trampoline_kernelINS0_14default_configENS1_27scan_by_key_config_selectorIllEEZZNS1_16scan_by_key_implILNS1_25lookback_scan_determinismE0ELb0ES3_PKlN6hipcub16HIPCUB_304000_NS21ConstantInputIteratorIllEEPllNSB_3SumENSB_8EqualityElEE10hipError_tPvRmT2_T3_T4_T5_mT6_T7_P12ihipStream_tbENKUlT_T0_E_clISt17integral_constantIbLb0EESX_EEDaSS_ST_EUlSS_E_NS1_11comp_targetILNS1_3genE5ELNS1_11target_archE942ELNS1_3gpuE9ELNS1_3repE0EEENS1_30default_config_static_selectorELNS0_4arch9wavefront6targetE1EEEvT1_
		.amdhsa_group_segment_fixed_size 32768
		.amdhsa_private_segment_fixed_size 0
		.amdhsa_kernarg_size 144
		.amdhsa_user_sgpr_count 2
		.amdhsa_user_sgpr_dispatch_ptr 0
		.amdhsa_user_sgpr_queue_ptr 0
		.amdhsa_user_sgpr_kernarg_segment_ptr 1
		.amdhsa_user_sgpr_dispatch_id 0
		.amdhsa_user_sgpr_kernarg_preload_length 0
		.amdhsa_user_sgpr_kernarg_preload_offset 0
		.amdhsa_user_sgpr_private_segment_size 0
		.amdhsa_uses_dynamic_stack 0
		.amdhsa_enable_private_segment 0
		.amdhsa_system_sgpr_workgroup_id_x 1
		.amdhsa_system_sgpr_workgroup_id_y 0
		.amdhsa_system_sgpr_workgroup_id_z 0
		.amdhsa_system_sgpr_workgroup_info 0
		.amdhsa_system_vgpr_workitem_id 0
		.amdhsa_next_free_vgpr 92
		.amdhsa_next_free_sgpr 66
		.amdhsa_accum_offset 92
		.amdhsa_reserve_vcc 1
		.amdhsa_float_round_mode_32 0
		.amdhsa_float_round_mode_16_64 0
		.amdhsa_float_denorm_mode_32 3
		.amdhsa_float_denorm_mode_16_64 3
		.amdhsa_dx10_clamp 1
		.amdhsa_ieee_mode 1
		.amdhsa_fp16_overflow 0
		.amdhsa_tg_split 0
		.amdhsa_exception_fp_ieee_invalid_op 0
		.amdhsa_exception_fp_denorm_src 0
		.amdhsa_exception_fp_ieee_div_zero 0
		.amdhsa_exception_fp_ieee_overflow 0
		.amdhsa_exception_fp_ieee_underflow 0
		.amdhsa_exception_fp_ieee_inexact 0
		.amdhsa_exception_int_div_zero 0
	.end_amdhsa_kernel
	.section	.text._ZN7rocprim17ROCPRIM_400000_NS6detail17trampoline_kernelINS0_14default_configENS1_27scan_by_key_config_selectorIllEEZZNS1_16scan_by_key_implILNS1_25lookback_scan_determinismE0ELb0ES3_PKlN6hipcub16HIPCUB_304000_NS21ConstantInputIteratorIllEEPllNSB_3SumENSB_8EqualityElEE10hipError_tPvRmT2_T3_T4_T5_mT6_T7_P12ihipStream_tbENKUlT_T0_E_clISt17integral_constantIbLb0EESX_EEDaSS_ST_EUlSS_E_NS1_11comp_targetILNS1_3genE5ELNS1_11target_archE942ELNS1_3gpuE9ELNS1_3repE0EEENS1_30default_config_static_selectorELNS0_4arch9wavefront6targetE1EEEvT1_,"axG",@progbits,_ZN7rocprim17ROCPRIM_400000_NS6detail17trampoline_kernelINS0_14default_configENS1_27scan_by_key_config_selectorIllEEZZNS1_16scan_by_key_implILNS1_25lookback_scan_determinismE0ELb0ES3_PKlN6hipcub16HIPCUB_304000_NS21ConstantInputIteratorIllEEPllNSB_3SumENSB_8EqualityElEE10hipError_tPvRmT2_T3_T4_T5_mT6_T7_P12ihipStream_tbENKUlT_T0_E_clISt17integral_constantIbLb0EESX_EEDaSS_ST_EUlSS_E_NS1_11comp_targetILNS1_3genE5ELNS1_11target_archE942ELNS1_3gpuE9ELNS1_3repE0EEENS1_30default_config_static_selectorELNS0_4arch9wavefront6targetE1EEEvT1_,comdat
.Lfunc_end96:
	.size	_ZN7rocprim17ROCPRIM_400000_NS6detail17trampoline_kernelINS0_14default_configENS1_27scan_by_key_config_selectorIllEEZZNS1_16scan_by_key_implILNS1_25lookback_scan_determinismE0ELb0ES3_PKlN6hipcub16HIPCUB_304000_NS21ConstantInputIteratorIllEEPllNSB_3SumENSB_8EqualityElEE10hipError_tPvRmT2_T3_T4_T5_mT6_T7_P12ihipStream_tbENKUlT_T0_E_clISt17integral_constantIbLb0EESX_EEDaSS_ST_EUlSS_E_NS1_11comp_targetILNS1_3genE5ELNS1_11target_archE942ELNS1_3gpuE9ELNS1_3repE0EEENS1_30default_config_static_selectorELNS0_4arch9wavefront6targetE1EEEvT1_, .Lfunc_end96-_ZN7rocprim17ROCPRIM_400000_NS6detail17trampoline_kernelINS0_14default_configENS1_27scan_by_key_config_selectorIllEEZZNS1_16scan_by_key_implILNS1_25lookback_scan_determinismE0ELb0ES3_PKlN6hipcub16HIPCUB_304000_NS21ConstantInputIteratorIllEEPllNSB_3SumENSB_8EqualityElEE10hipError_tPvRmT2_T3_T4_T5_mT6_T7_P12ihipStream_tbENKUlT_T0_E_clISt17integral_constantIbLb0EESX_EEDaSS_ST_EUlSS_E_NS1_11comp_targetILNS1_3genE5ELNS1_11target_archE942ELNS1_3gpuE9ELNS1_3repE0EEENS1_30default_config_static_selectorELNS0_4arch9wavefront6targetE1EEEvT1_
                                        ; -- End function
	.section	.AMDGPU.csdata,"",@progbits
; Kernel info:
; codeLenInByte = 11368
; NumSgprs: 72
; NumVgprs: 92
; NumAgprs: 0
; TotalNumVgprs: 92
; ScratchSize: 0
; MemoryBound: 0
; FloatMode: 240
; IeeeMode: 1
; LDSByteSize: 32768 bytes/workgroup (compile time only)
; SGPRBlocks: 8
; VGPRBlocks: 11
; NumSGPRsForWavesPerEU: 72
; NumVGPRsForWavesPerEU: 92
; AccumOffset: 92
; Occupancy: 2
; WaveLimiterHint : 1
; COMPUTE_PGM_RSRC2:SCRATCH_EN: 0
; COMPUTE_PGM_RSRC2:USER_SGPR: 2
; COMPUTE_PGM_RSRC2:TRAP_HANDLER: 0
; COMPUTE_PGM_RSRC2:TGID_X_EN: 1
; COMPUTE_PGM_RSRC2:TGID_Y_EN: 0
; COMPUTE_PGM_RSRC2:TGID_Z_EN: 0
; COMPUTE_PGM_RSRC2:TIDIG_COMP_CNT: 0
; COMPUTE_PGM_RSRC3_GFX90A:ACCUM_OFFSET: 22
; COMPUTE_PGM_RSRC3_GFX90A:TG_SPLIT: 0
	.section	.text._ZN7rocprim17ROCPRIM_400000_NS6detail17trampoline_kernelINS0_14default_configENS1_27scan_by_key_config_selectorIllEEZZNS1_16scan_by_key_implILNS1_25lookback_scan_determinismE0ELb0ES3_PKlN6hipcub16HIPCUB_304000_NS21ConstantInputIteratorIllEEPllNSB_3SumENSB_8EqualityElEE10hipError_tPvRmT2_T3_T4_T5_mT6_T7_P12ihipStream_tbENKUlT_T0_E_clISt17integral_constantIbLb0EESX_EEDaSS_ST_EUlSS_E_NS1_11comp_targetILNS1_3genE4ELNS1_11target_archE910ELNS1_3gpuE8ELNS1_3repE0EEENS1_30default_config_static_selectorELNS0_4arch9wavefront6targetE1EEEvT1_,"axG",@progbits,_ZN7rocprim17ROCPRIM_400000_NS6detail17trampoline_kernelINS0_14default_configENS1_27scan_by_key_config_selectorIllEEZZNS1_16scan_by_key_implILNS1_25lookback_scan_determinismE0ELb0ES3_PKlN6hipcub16HIPCUB_304000_NS21ConstantInputIteratorIllEEPllNSB_3SumENSB_8EqualityElEE10hipError_tPvRmT2_T3_T4_T5_mT6_T7_P12ihipStream_tbENKUlT_T0_E_clISt17integral_constantIbLb0EESX_EEDaSS_ST_EUlSS_E_NS1_11comp_targetILNS1_3genE4ELNS1_11target_archE910ELNS1_3gpuE8ELNS1_3repE0EEENS1_30default_config_static_selectorELNS0_4arch9wavefront6targetE1EEEvT1_,comdat
	.protected	_ZN7rocprim17ROCPRIM_400000_NS6detail17trampoline_kernelINS0_14default_configENS1_27scan_by_key_config_selectorIllEEZZNS1_16scan_by_key_implILNS1_25lookback_scan_determinismE0ELb0ES3_PKlN6hipcub16HIPCUB_304000_NS21ConstantInputIteratorIllEEPllNSB_3SumENSB_8EqualityElEE10hipError_tPvRmT2_T3_T4_T5_mT6_T7_P12ihipStream_tbENKUlT_T0_E_clISt17integral_constantIbLb0EESX_EEDaSS_ST_EUlSS_E_NS1_11comp_targetILNS1_3genE4ELNS1_11target_archE910ELNS1_3gpuE8ELNS1_3repE0EEENS1_30default_config_static_selectorELNS0_4arch9wavefront6targetE1EEEvT1_ ; -- Begin function _ZN7rocprim17ROCPRIM_400000_NS6detail17trampoline_kernelINS0_14default_configENS1_27scan_by_key_config_selectorIllEEZZNS1_16scan_by_key_implILNS1_25lookback_scan_determinismE0ELb0ES3_PKlN6hipcub16HIPCUB_304000_NS21ConstantInputIteratorIllEEPllNSB_3SumENSB_8EqualityElEE10hipError_tPvRmT2_T3_T4_T5_mT6_T7_P12ihipStream_tbENKUlT_T0_E_clISt17integral_constantIbLb0EESX_EEDaSS_ST_EUlSS_E_NS1_11comp_targetILNS1_3genE4ELNS1_11target_archE910ELNS1_3gpuE8ELNS1_3repE0EEENS1_30default_config_static_selectorELNS0_4arch9wavefront6targetE1EEEvT1_
	.globl	_ZN7rocprim17ROCPRIM_400000_NS6detail17trampoline_kernelINS0_14default_configENS1_27scan_by_key_config_selectorIllEEZZNS1_16scan_by_key_implILNS1_25lookback_scan_determinismE0ELb0ES3_PKlN6hipcub16HIPCUB_304000_NS21ConstantInputIteratorIllEEPllNSB_3SumENSB_8EqualityElEE10hipError_tPvRmT2_T3_T4_T5_mT6_T7_P12ihipStream_tbENKUlT_T0_E_clISt17integral_constantIbLb0EESX_EEDaSS_ST_EUlSS_E_NS1_11comp_targetILNS1_3genE4ELNS1_11target_archE910ELNS1_3gpuE8ELNS1_3repE0EEENS1_30default_config_static_selectorELNS0_4arch9wavefront6targetE1EEEvT1_
	.p2align	8
	.type	_ZN7rocprim17ROCPRIM_400000_NS6detail17trampoline_kernelINS0_14default_configENS1_27scan_by_key_config_selectorIllEEZZNS1_16scan_by_key_implILNS1_25lookback_scan_determinismE0ELb0ES3_PKlN6hipcub16HIPCUB_304000_NS21ConstantInputIteratorIllEEPllNSB_3SumENSB_8EqualityElEE10hipError_tPvRmT2_T3_T4_T5_mT6_T7_P12ihipStream_tbENKUlT_T0_E_clISt17integral_constantIbLb0EESX_EEDaSS_ST_EUlSS_E_NS1_11comp_targetILNS1_3genE4ELNS1_11target_archE910ELNS1_3gpuE8ELNS1_3repE0EEENS1_30default_config_static_selectorELNS0_4arch9wavefront6targetE1EEEvT1_,@function
_ZN7rocprim17ROCPRIM_400000_NS6detail17trampoline_kernelINS0_14default_configENS1_27scan_by_key_config_selectorIllEEZZNS1_16scan_by_key_implILNS1_25lookback_scan_determinismE0ELb0ES3_PKlN6hipcub16HIPCUB_304000_NS21ConstantInputIteratorIllEEPllNSB_3SumENSB_8EqualityElEE10hipError_tPvRmT2_T3_T4_T5_mT6_T7_P12ihipStream_tbENKUlT_T0_E_clISt17integral_constantIbLb0EESX_EEDaSS_ST_EUlSS_E_NS1_11comp_targetILNS1_3genE4ELNS1_11target_archE910ELNS1_3gpuE8ELNS1_3repE0EEENS1_30default_config_static_selectorELNS0_4arch9wavefront6targetE1EEEvT1_: ; @_ZN7rocprim17ROCPRIM_400000_NS6detail17trampoline_kernelINS0_14default_configENS1_27scan_by_key_config_selectorIllEEZZNS1_16scan_by_key_implILNS1_25lookback_scan_determinismE0ELb0ES3_PKlN6hipcub16HIPCUB_304000_NS21ConstantInputIteratorIllEEPllNSB_3SumENSB_8EqualityElEE10hipError_tPvRmT2_T3_T4_T5_mT6_T7_P12ihipStream_tbENKUlT_T0_E_clISt17integral_constantIbLb0EESX_EEDaSS_ST_EUlSS_E_NS1_11comp_targetILNS1_3genE4ELNS1_11target_archE910ELNS1_3gpuE8ELNS1_3repE0EEENS1_30default_config_static_selectorELNS0_4arch9wavefront6targetE1EEEvT1_
; %bb.0:
	.section	.rodata,"a",@progbits
	.p2align	6, 0x0
	.amdhsa_kernel _ZN7rocprim17ROCPRIM_400000_NS6detail17trampoline_kernelINS0_14default_configENS1_27scan_by_key_config_selectorIllEEZZNS1_16scan_by_key_implILNS1_25lookback_scan_determinismE0ELb0ES3_PKlN6hipcub16HIPCUB_304000_NS21ConstantInputIteratorIllEEPllNSB_3SumENSB_8EqualityElEE10hipError_tPvRmT2_T3_T4_T5_mT6_T7_P12ihipStream_tbENKUlT_T0_E_clISt17integral_constantIbLb0EESX_EEDaSS_ST_EUlSS_E_NS1_11comp_targetILNS1_3genE4ELNS1_11target_archE910ELNS1_3gpuE8ELNS1_3repE0EEENS1_30default_config_static_selectorELNS0_4arch9wavefront6targetE1EEEvT1_
		.amdhsa_group_segment_fixed_size 0
		.amdhsa_private_segment_fixed_size 0
		.amdhsa_kernarg_size 144
		.amdhsa_user_sgpr_count 2
		.amdhsa_user_sgpr_dispatch_ptr 0
		.amdhsa_user_sgpr_queue_ptr 0
		.amdhsa_user_sgpr_kernarg_segment_ptr 1
		.amdhsa_user_sgpr_dispatch_id 0
		.amdhsa_user_sgpr_kernarg_preload_length 0
		.amdhsa_user_sgpr_kernarg_preload_offset 0
		.amdhsa_user_sgpr_private_segment_size 0
		.amdhsa_uses_dynamic_stack 0
		.amdhsa_enable_private_segment 0
		.amdhsa_system_sgpr_workgroup_id_x 1
		.amdhsa_system_sgpr_workgroup_id_y 0
		.amdhsa_system_sgpr_workgroup_id_z 0
		.amdhsa_system_sgpr_workgroup_info 0
		.amdhsa_system_vgpr_workitem_id 0
		.amdhsa_next_free_vgpr 1
		.amdhsa_next_free_sgpr 0
		.amdhsa_accum_offset 4
		.amdhsa_reserve_vcc 0
		.amdhsa_float_round_mode_32 0
		.amdhsa_float_round_mode_16_64 0
		.amdhsa_float_denorm_mode_32 3
		.amdhsa_float_denorm_mode_16_64 3
		.amdhsa_dx10_clamp 1
		.amdhsa_ieee_mode 1
		.amdhsa_fp16_overflow 0
		.amdhsa_tg_split 0
		.amdhsa_exception_fp_ieee_invalid_op 0
		.amdhsa_exception_fp_denorm_src 0
		.amdhsa_exception_fp_ieee_div_zero 0
		.amdhsa_exception_fp_ieee_overflow 0
		.amdhsa_exception_fp_ieee_underflow 0
		.amdhsa_exception_fp_ieee_inexact 0
		.amdhsa_exception_int_div_zero 0
	.end_amdhsa_kernel
	.section	.text._ZN7rocprim17ROCPRIM_400000_NS6detail17trampoline_kernelINS0_14default_configENS1_27scan_by_key_config_selectorIllEEZZNS1_16scan_by_key_implILNS1_25lookback_scan_determinismE0ELb0ES3_PKlN6hipcub16HIPCUB_304000_NS21ConstantInputIteratorIllEEPllNSB_3SumENSB_8EqualityElEE10hipError_tPvRmT2_T3_T4_T5_mT6_T7_P12ihipStream_tbENKUlT_T0_E_clISt17integral_constantIbLb0EESX_EEDaSS_ST_EUlSS_E_NS1_11comp_targetILNS1_3genE4ELNS1_11target_archE910ELNS1_3gpuE8ELNS1_3repE0EEENS1_30default_config_static_selectorELNS0_4arch9wavefront6targetE1EEEvT1_,"axG",@progbits,_ZN7rocprim17ROCPRIM_400000_NS6detail17trampoline_kernelINS0_14default_configENS1_27scan_by_key_config_selectorIllEEZZNS1_16scan_by_key_implILNS1_25lookback_scan_determinismE0ELb0ES3_PKlN6hipcub16HIPCUB_304000_NS21ConstantInputIteratorIllEEPllNSB_3SumENSB_8EqualityElEE10hipError_tPvRmT2_T3_T4_T5_mT6_T7_P12ihipStream_tbENKUlT_T0_E_clISt17integral_constantIbLb0EESX_EEDaSS_ST_EUlSS_E_NS1_11comp_targetILNS1_3genE4ELNS1_11target_archE910ELNS1_3gpuE8ELNS1_3repE0EEENS1_30default_config_static_selectorELNS0_4arch9wavefront6targetE1EEEvT1_,comdat
.Lfunc_end97:
	.size	_ZN7rocprim17ROCPRIM_400000_NS6detail17trampoline_kernelINS0_14default_configENS1_27scan_by_key_config_selectorIllEEZZNS1_16scan_by_key_implILNS1_25lookback_scan_determinismE0ELb0ES3_PKlN6hipcub16HIPCUB_304000_NS21ConstantInputIteratorIllEEPllNSB_3SumENSB_8EqualityElEE10hipError_tPvRmT2_T3_T4_T5_mT6_T7_P12ihipStream_tbENKUlT_T0_E_clISt17integral_constantIbLb0EESX_EEDaSS_ST_EUlSS_E_NS1_11comp_targetILNS1_3genE4ELNS1_11target_archE910ELNS1_3gpuE8ELNS1_3repE0EEENS1_30default_config_static_selectorELNS0_4arch9wavefront6targetE1EEEvT1_, .Lfunc_end97-_ZN7rocprim17ROCPRIM_400000_NS6detail17trampoline_kernelINS0_14default_configENS1_27scan_by_key_config_selectorIllEEZZNS1_16scan_by_key_implILNS1_25lookback_scan_determinismE0ELb0ES3_PKlN6hipcub16HIPCUB_304000_NS21ConstantInputIteratorIllEEPllNSB_3SumENSB_8EqualityElEE10hipError_tPvRmT2_T3_T4_T5_mT6_T7_P12ihipStream_tbENKUlT_T0_E_clISt17integral_constantIbLb0EESX_EEDaSS_ST_EUlSS_E_NS1_11comp_targetILNS1_3genE4ELNS1_11target_archE910ELNS1_3gpuE8ELNS1_3repE0EEENS1_30default_config_static_selectorELNS0_4arch9wavefront6targetE1EEEvT1_
                                        ; -- End function
	.section	.AMDGPU.csdata,"",@progbits
; Kernel info:
; codeLenInByte = 0
; NumSgprs: 6
; NumVgprs: 0
; NumAgprs: 0
; TotalNumVgprs: 0
; ScratchSize: 0
; MemoryBound: 0
; FloatMode: 240
; IeeeMode: 1
; LDSByteSize: 0 bytes/workgroup (compile time only)
; SGPRBlocks: 0
; VGPRBlocks: 0
; NumSGPRsForWavesPerEU: 6
; NumVGPRsForWavesPerEU: 1
; AccumOffset: 4
; Occupancy: 8
; WaveLimiterHint : 0
; COMPUTE_PGM_RSRC2:SCRATCH_EN: 0
; COMPUTE_PGM_RSRC2:USER_SGPR: 2
; COMPUTE_PGM_RSRC2:TRAP_HANDLER: 0
; COMPUTE_PGM_RSRC2:TGID_X_EN: 1
; COMPUTE_PGM_RSRC2:TGID_Y_EN: 0
; COMPUTE_PGM_RSRC2:TGID_Z_EN: 0
; COMPUTE_PGM_RSRC2:TIDIG_COMP_CNT: 0
; COMPUTE_PGM_RSRC3_GFX90A:ACCUM_OFFSET: 0
; COMPUTE_PGM_RSRC3_GFX90A:TG_SPLIT: 0
	.section	.text._ZN7rocprim17ROCPRIM_400000_NS6detail17trampoline_kernelINS0_14default_configENS1_27scan_by_key_config_selectorIllEEZZNS1_16scan_by_key_implILNS1_25lookback_scan_determinismE0ELb0ES3_PKlN6hipcub16HIPCUB_304000_NS21ConstantInputIteratorIllEEPllNSB_3SumENSB_8EqualityElEE10hipError_tPvRmT2_T3_T4_T5_mT6_T7_P12ihipStream_tbENKUlT_T0_E_clISt17integral_constantIbLb0EESX_EEDaSS_ST_EUlSS_E_NS1_11comp_targetILNS1_3genE3ELNS1_11target_archE908ELNS1_3gpuE7ELNS1_3repE0EEENS1_30default_config_static_selectorELNS0_4arch9wavefront6targetE1EEEvT1_,"axG",@progbits,_ZN7rocprim17ROCPRIM_400000_NS6detail17trampoline_kernelINS0_14default_configENS1_27scan_by_key_config_selectorIllEEZZNS1_16scan_by_key_implILNS1_25lookback_scan_determinismE0ELb0ES3_PKlN6hipcub16HIPCUB_304000_NS21ConstantInputIteratorIllEEPllNSB_3SumENSB_8EqualityElEE10hipError_tPvRmT2_T3_T4_T5_mT6_T7_P12ihipStream_tbENKUlT_T0_E_clISt17integral_constantIbLb0EESX_EEDaSS_ST_EUlSS_E_NS1_11comp_targetILNS1_3genE3ELNS1_11target_archE908ELNS1_3gpuE7ELNS1_3repE0EEENS1_30default_config_static_selectorELNS0_4arch9wavefront6targetE1EEEvT1_,comdat
	.protected	_ZN7rocprim17ROCPRIM_400000_NS6detail17trampoline_kernelINS0_14default_configENS1_27scan_by_key_config_selectorIllEEZZNS1_16scan_by_key_implILNS1_25lookback_scan_determinismE0ELb0ES3_PKlN6hipcub16HIPCUB_304000_NS21ConstantInputIteratorIllEEPllNSB_3SumENSB_8EqualityElEE10hipError_tPvRmT2_T3_T4_T5_mT6_T7_P12ihipStream_tbENKUlT_T0_E_clISt17integral_constantIbLb0EESX_EEDaSS_ST_EUlSS_E_NS1_11comp_targetILNS1_3genE3ELNS1_11target_archE908ELNS1_3gpuE7ELNS1_3repE0EEENS1_30default_config_static_selectorELNS0_4arch9wavefront6targetE1EEEvT1_ ; -- Begin function _ZN7rocprim17ROCPRIM_400000_NS6detail17trampoline_kernelINS0_14default_configENS1_27scan_by_key_config_selectorIllEEZZNS1_16scan_by_key_implILNS1_25lookback_scan_determinismE0ELb0ES3_PKlN6hipcub16HIPCUB_304000_NS21ConstantInputIteratorIllEEPllNSB_3SumENSB_8EqualityElEE10hipError_tPvRmT2_T3_T4_T5_mT6_T7_P12ihipStream_tbENKUlT_T0_E_clISt17integral_constantIbLb0EESX_EEDaSS_ST_EUlSS_E_NS1_11comp_targetILNS1_3genE3ELNS1_11target_archE908ELNS1_3gpuE7ELNS1_3repE0EEENS1_30default_config_static_selectorELNS0_4arch9wavefront6targetE1EEEvT1_
	.globl	_ZN7rocprim17ROCPRIM_400000_NS6detail17trampoline_kernelINS0_14default_configENS1_27scan_by_key_config_selectorIllEEZZNS1_16scan_by_key_implILNS1_25lookback_scan_determinismE0ELb0ES3_PKlN6hipcub16HIPCUB_304000_NS21ConstantInputIteratorIllEEPllNSB_3SumENSB_8EqualityElEE10hipError_tPvRmT2_T3_T4_T5_mT6_T7_P12ihipStream_tbENKUlT_T0_E_clISt17integral_constantIbLb0EESX_EEDaSS_ST_EUlSS_E_NS1_11comp_targetILNS1_3genE3ELNS1_11target_archE908ELNS1_3gpuE7ELNS1_3repE0EEENS1_30default_config_static_selectorELNS0_4arch9wavefront6targetE1EEEvT1_
	.p2align	8
	.type	_ZN7rocprim17ROCPRIM_400000_NS6detail17trampoline_kernelINS0_14default_configENS1_27scan_by_key_config_selectorIllEEZZNS1_16scan_by_key_implILNS1_25lookback_scan_determinismE0ELb0ES3_PKlN6hipcub16HIPCUB_304000_NS21ConstantInputIteratorIllEEPllNSB_3SumENSB_8EqualityElEE10hipError_tPvRmT2_T3_T4_T5_mT6_T7_P12ihipStream_tbENKUlT_T0_E_clISt17integral_constantIbLb0EESX_EEDaSS_ST_EUlSS_E_NS1_11comp_targetILNS1_3genE3ELNS1_11target_archE908ELNS1_3gpuE7ELNS1_3repE0EEENS1_30default_config_static_selectorELNS0_4arch9wavefront6targetE1EEEvT1_,@function
_ZN7rocprim17ROCPRIM_400000_NS6detail17trampoline_kernelINS0_14default_configENS1_27scan_by_key_config_selectorIllEEZZNS1_16scan_by_key_implILNS1_25lookback_scan_determinismE0ELb0ES3_PKlN6hipcub16HIPCUB_304000_NS21ConstantInputIteratorIllEEPllNSB_3SumENSB_8EqualityElEE10hipError_tPvRmT2_T3_T4_T5_mT6_T7_P12ihipStream_tbENKUlT_T0_E_clISt17integral_constantIbLb0EESX_EEDaSS_ST_EUlSS_E_NS1_11comp_targetILNS1_3genE3ELNS1_11target_archE908ELNS1_3gpuE7ELNS1_3repE0EEENS1_30default_config_static_selectorELNS0_4arch9wavefront6targetE1EEEvT1_: ; @_ZN7rocprim17ROCPRIM_400000_NS6detail17trampoline_kernelINS0_14default_configENS1_27scan_by_key_config_selectorIllEEZZNS1_16scan_by_key_implILNS1_25lookback_scan_determinismE0ELb0ES3_PKlN6hipcub16HIPCUB_304000_NS21ConstantInputIteratorIllEEPllNSB_3SumENSB_8EqualityElEE10hipError_tPvRmT2_T3_T4_T5_mT6_T7_P12ihipStream_tbENKUlT_T0_E_clISt17integral_constantIbLb0EESX_EEDaSS_ST_EUlSS_E_NS1_11comp_targetILNS1_3genE3ELNS1_11target_archE908ELNS1_3gpuE7ELNS1_3repE0EEENS1_30default_config_static_selectorELNS0_4arch9wavefront6targetE1EEEvT1_
; %bb.0:
	.section	.rodata,"a",@progbits
	.p2align	6, 0x0
	.amdhsa_kernel _ZN7rocprim17ROCPRIM_400000_NS6detail17trampoline_kernelINS0_14default_configENS1_27scan_by_key_config_selectorIllEEZZNS1_16scan_by_key_implILNS1_25lookback_scan_determinismE0ELb0ES3_PKlN6hipcub16HIPCUB_304000_NS21ConstantInputIteratorIllEEPllNSB_3SumENSB_8EqualityElEE10hipError_tPvRmT2_T3_T4_T5_mT6_T7_P12ihipStream_tbENKUlT_T0_E_clISt17integral_constantIbLb0EESX_EEDaSS_ST_EUlSS_E_NS1_11comp_targetILNS1_3genE3ELNS1_11target_archE908ELNS1_3gpuE7ELNS1_3repE0EEENS1_30default_config_static_selectorELNS0_4arch9wavefront6targetE1EEEvT1_
		.amdhsa_group_segment_fixed_size 0
		.amdhsa_private_segment_fixed_size 0
		.amdhsa_kernarg_size 144
		.amdhsa_user_sgpr_count 2
		.amdhsa_user_sgpr_dispatch_ptr 0
		.amdhsa_user_sgpr_queue_ptr 0
		.amdhsa_user_sgpr_kernarg_segment_ptr 1
		.amdhsa_user_sgpr_dispatch_id 0
		.amdhsa_user_sgpr_kernarg_preload_length 0
		.amdhsa_user_sgpr_kernarg_preload_offset 0
		.amdhsa_user_sgpr_private_segment_size 0
		.amdhsa_uses_dynamic_stack 0
		.amdhsa_enable_private_segment 0
		.amdhsa_system_sgpr_workgroup_id_x 1
		.amdhsa_system_sgpr_workgroup_id_y 0
		.amdhsa_system_sgpr_workgroup_id_z 0
		.amdhsa_system_sgpr_workgroup_info 0
		.amdhsa_system_vgpr_workitem_id 0
		.amdhsa_next_free_vgpr 1
		.amdhsa_next_free_sgpr 0
		.amdhsa_accum_offset 4
		.amdhsa_reserve_vcc 0
		.amdhsa_float_round_mode_32 0
		.amdhsa_float_round_mode_16_64 0
		.amdhsa_float_denorm_mode_32 3
		.amdhsa_float_denorm_mode_16_64 3
		.amdhsa_dx10_clamp 1
		.amdhsa_ieee_mode 1
		.amdhsa_fp16_overflow 0
		.amdhsa_tg_split 0
		.amdhsa_exception_fp_ieee_invalid_op 0
		.amdhsa_exception_fp_denorm_src 0
		.amdhsa_exception_fp_ieee_div_zero 0
		.amdhsa_exception_fp_ieee_overflow 0
		.amdhsa_exception_fp_ieee_underflow 0
		.amdhsa_exception_fp_ieee_inexact 0
		.amdhsa_exception_int_div_zero 0
	.end_amdhsa_kernel
	.section	.text._ZN7rocprim17ROCPRIM_400000_NS6detail17trampoline_kernelINS0_14default_configENS1_27scan_by_key_config_selectorIllEEZZNS1_16scan_by_key_implILNS1_25lookback_scan_determinismE0ELb0ES3_PKlN6hipcub16HIPCUB_304000_NS21ConstantInputIteratorIllEEPllNSB_3SumENSB_8EqualityElEE10hipError_tPvRmT2_T3_T4_T5_mT6_T7_P12ihipStream_tbENKUlT_T0_E_clISt17integral_constantIbLb0EESX_EEDaSS_ST_EUlSS_E_NS1_11comp_targetILNS1_3genE3ELNS1_11target_archE908ELNS1_3gpuE7ELNS1_3repE0EEENS1_30default_config_static_selectorELNS0_4arch9wavefront6targetE1EEEvT1_,"axG",@progbits,_ZN7rocprim17ROCPRIM_400000_NS6detail17trampoline_kernelINS0_14default_configENS1_27scan_by_key_config_selectorIllEEZZNS1_16scan_by_key_implILNS1_25lookback_scan_determinismE0ELb0ES3_PKlN6hipcub16HIPCUB_304000_NS21ConstantInputIteratorIllEEPllNSB_3SumENSB_8EqualityElEE10hipError_tPvRmT2_T3_T4_T5_mT6_T7_P12ihipStream_tbENKUlT_T0_E_clISt17integral_constantIbLb0EESX_EEDaSS_ST_EUlSS_E_NS1_11comp_targetILNS1_3genE3ELNS1_11target_archE908ELNS1_3gpuE7ELNS1_3repE0EEENS1_30default_config_static_selectorELNS0_4arch9wavefront6targetE1EEEvT1_,comdat
.Lfunc_end98:
	.size	_ZN7rocprim17ROCPRIM_400000_NS6detail17trampoline_kernelINS0_14default_configENS1_27scan_by_key_config_selectorIllEEZZNS1_16scan_by_key_implILNS1_25lookback_scan_determinismE0ELb0ES3_PKlN6hipcub16HIPCUB_304000_NS21ConstantInputIteratorIllEEPllNSB_3SumENSB_8EqualityElEE10hipError_tPvRmT2_T3_T4_T5_mT6_T7_P12ihipStream_tbENKUlT_T0_E_clISt17integral_constantIbLb0EESX_EEDaSS_ST_EUlSS_E_NS1_11comp_targetILNS1_3genE3ELNS1_11target_archE908ELNS1_3gpuE7ELNS1_3repE0EEENS1_30default_config_static_selectorELNS0_4arch9wavefront6targetE1EEEvT1_, .Lfunc_end98-_ZN7rocprim17ROCPRIM_400000_NS6detail17trampoline_kernelINS0_14default_configENS1_27scan_by_key_config_selectorIllEEZZNS1_16scan_by_key_implILNS1_25lookback_scan_determinismE0ELb0ES3_PKlN6hipcub16HIPCUB_304000_NS21ConstantInputIteratorIllEEPllNSB_3SumENSB_8EqualityElEE10hipError_tPvRmT2_T3_T4_T5_mT6_T7_P12ihipStream_tbENKUlT_T0_E_clISt17integral_constantIbLb0EESX_EEDaSS_ST_EUlSS_E_NS1_11comp_targetILNS1_3genE3ELNS1_11target_archE908ELNS1_3gpuE7ELNS1_3repE0EEENS1_30default_config_static_selectorELNS0_4arch9wavefront6targetE1EEEvT1_
                                        ; -- End function
	.section	.AMDGPU.csdata,"",@progbits
; Kernel info:
; codeLenInByte = 0
; NumSgprs: 6
; NumVgprs: 0
; NumAgprs: 0
; TotalNumVgprs: 0
; ScratchSize: 0
; MemoryBound: 0
; FloatMode: 240
; IeeeMode: 1
; LDSByteSize: 0 bytes/workgroup (compile time only)
; SGPRBlocks: 0
; VGPRBlocks: 0
; NumSGPRsForWavesPerEU: 6
; NumVGPRsForWavesPerEU: 1
; AccumOffset: 4
; Occupancy: 8
; WaveLimiterHint : 0
; COMPUTE_PGM_RSRC2:SCRATCH_EN: 0
; COMPUTE_PGM_RSRC2:USER_SGPR: 2
; COMPUTE_PGM_RSRC2:TRAP_HANDLER: 0
; COMPUTE_PGM_RSRC2:TGID_X_EN: 1
; COMPUTE_PGM_RSRC2:TGID_Y_EN: 0
; COMPUTE_PGM_RSRC2:TGID_Z_EN: 0
; COMPUTE_PGM_RSRC2:TIDIG_COMP_CNT: 0
; COMPUTE_PGM_RSRC3_GFX90A:ACCUM_OFFSET: 0
; COMPUTE_PGM_RSRC3_GFX90A:TG_SPLIT: 0
	.section	.text._ZN7rocprim17ROCPRIM_400000_NS6detail17trampoline_kernelINS0_14default_configENS1_27scan_by_key_config_selectorIllEEZZNS1_16scan_by_key_implILNS1_25lookback_scan_determinismE0ELb0ES3_PKlN6hipcub16HIPCUB_304000_NS21ConstantInputIteratorIllEEPllNSB_3SumENSB_8EqualityElEE10hipError_tPvRmT2_T3_T4_T5_mT6_T7_P12ihipStream_tbENKUlT_T0_E_clISt17integral_constantIbLb0EESX_EEDaSS_ST_EUlSS_E_NS1_11comp_targetILNS1_3genE2ELNS1_11target_archE906ELNS1_3gpuE6ELNS1_3repE0EEENS1_30default_config_static_selectorELNS0_4arch9wavefront6targetE1EEEvT1_,"axG",@progbits,_ZN7rocprim17ROCPRIM_400000_NS6detail17trampoline_kernelINS0_14default_configENS1_27scan_by_key_config_selectorIllEEZZNS1_16scan_by_key_implILNS1_25lookback_scan_determinismE0ELb0ES3_PKlN6hipcub16HIPCUB_304000_NS21ConstantInputIteratorIllEEPllNSB_3SumENSB_8EqualityElEE10hipError_tPvRmT2_T3_T4_T5_mT6_T7_P12ihipStream_tbENKUlT_T0_E_clISt17integral_constantIbLb0EESX_EEDaSS_ST_EUlSS_E_NS1_11comp_targetILNS1_3genE2ELNS1_11target_archE906ELNS1_3gpuE6ELNS1_3repE0EEENS1_30default_config_static_selectorELNS0_4arch9wavefront6targetE1EEEvT1_,comdat
	.protected	_ZN7rocprim17ROCPRIM_400000_NS6detail17trampoline_kernelINS0_14default_configENS1_27scan_by_key_config_selectorIllEEZZNS1_16scan_by_key_implILNS1_25lookback_scan_determinismE0ELb0ES3_PKlN6hipcub16HIPCUB_304000_NS21ConstantInputIteratorIllEEPllNSB_3SumENSB_8EqualityElEE10hipError_tPvRmT2_T3_T4_T5_mT6_T7_P12ihipStream_tbENKUlT_T0_E_clISt17integral_constantIbLb0EESX_EEDaSS_ST_EUlSS_E_NS1_11comp_targetILNS1_3genE2ELNS1_11target_archE906ELNS1_3gpuE6ELNS1_3repE0EEENS1_30default_config_static_selectorELNS0_4arch9wavefront6targetE1EEEvT1_ ; -- Begin function _ZN7rocprim17ROCPRIM_400000_NS6detail17trampoline_kernelINS0_14default_configENS1_27scan_by_key_config_selectorIllEEZZNS1_16scan_by_key_implILNS1_25lookback_scan_determinismE0ELb0ES3_PKlN6hipcub16HIPCUB_304000_NS21ConstantInputIteratorIllEEPllNSB_3SumENSB_8EqualityElEE10hipError_tPvRmT2_T3_T4_T5_mT6_T7_P12ihipStream_tbENKUlT_T0_E_clISt17integral_constantIbLb0EESX_EEDaSS_ST_EUlSS_E_NS1_11comp_targetILNS1_3genE2ELNS1_11target_archE906ELNS1_3gpuE6ELNS1_3repE0EEENS1_30default_config_static_selectorELNS0_4arch9wavefront6targetE1EEEvT1_
	.globl	_ZN7rocprim17ROCPRIM_400000_NS6detail17trampoline_kernelINS0_14default_configENS1_27scan_by_key_config_selectorIllEEZZNS1_16scan_by_key_implILNS1_25lookback_scan_determinismE0ELb0ES3_PKlN6hipcub16HIPCUB_304000_NS21ConstantInputIteratorIllEEPllNSB_3SumENSB_8EqualityElEE10hipError_tPvRmT2_T3_T4_T5_mT6_T7_P12ihipStream_tbENKUlT_T0_E_clISt17integral_constantIbLb0EESX_EEDaSS_ST_EUlSS_E_NS1_11comp_targetILNS1_3genE2ELNS1_11target_archE906ELNS1_3gpuE6ELNS1_3repE0EEENS1_30default_config_static_selectorELNS0_4arch9wavefront6targetE1EEEvT1_
	.p2align	8
	.type	_ZN7rocprim17ROCPRIM_400000_NS6detail17trampoline_kernelINS0_14default_configENS1_27scan_by_key_config_selectorIllEEZZNS1_16scan_by_key_implILNS1_25lookback_scan_determinismE0ELb0ES3_PKlN6hipcub16HIPCUB_304000_NS21ConstantInputIteratorIllEEPllNSB_3SumENSB_8EqualityElEE10hipError_tPvRmT2_T3_T4_T5_mT6_T7_P12ihipStream_tbENKUlT_T0_E_clISt17integral_constantIbLb0EESX_EEDaSS_ST_EUlSS_E_NS1_11comp_targetILNS1_3genE2ELNS1_11target_archE906ELNS1_3gpuE6ELNS1_3repE0EEENS1_30default_config_static_selectorELNS0_4arch9wavefront6targetE1EEEvT1_,@function
_ZN7rocprim17ROCPRIM_400000_NS6detail17trampoline_kernelINS0_14default_configENS1_27scan_by_key_config_selectorIllEEZZNS1_16scan_by_key_implILNS1_25lookback_scan_determinismE0ELb0ES3_PKlN6hipcub16HIPCUB_304000_NS21ConstantInputIteratorIllEEPllNSB_3SumENSB_8EqualityElEE10hipError_tPvRmT2_T3_T4_T5_mT6_T7_P12ihipStream_tbENKUlT_T0_E_clISt17integral_constantIbLb0EESX_EEDaSS_ST_EUlSS_E_NS1_11comp_targetILNS1_3genE2ELNS1_11target_archE906ELNS1_3gpuE6ELNS1_3repE0EEENS1_30default_config_static_selectorELNS0_4arch9wavefront6targetE1EEEvT1_: ; @_ZN7rocprim17ROCPRIM_400000_NS6detail17trampoline_kernelINS0_14default_configENS1_27scan_by_key_config_selectorIllEEZZNS1_16scan_by_key_implILNS1_25lookback_scan_determinismE0ELb0ES3_PKlN6hipcub16HIPCUB_304000_NS21ConstantInputIteratorIllEEPllNSB_3SumENSB_8EqualityElEE10hipError_tPvRmT2_T3_T4_T5_mT6_T7_P12ihipStream_tbENKUlT_T0_E_clISt17integral_constantIbLb0EESX_EEDaSS_ST_EUlSS_E_NS1_11comp_targetILNS1_3genE2ELNS1_11target_archE906ELNS1_3gpuE6ELNS1_3repE0EEENS1_30default_config_static_selectorELNS0_4arch9wavefront6targetE1EEEvT1_
; %bb.0:
	.section	.rodata,"a",@progbits
	.p2align	6, 0x0
	.amdhsa_kernel _ZN7rocprim17ROCPRIM_400000_NS6detail17trampoline_kernelINS0_14default_configENS1_27scan_by_key_config_selectorIllEEZZNS1_16scan_by_key_implILNS1_25lookback_scan_determinismE0ELb0ES3_PKlN6hipcub16HIPCUB_304000_NS21ConstantInputIteratorIllEEPllNSB_3SumENSB_8EqualityElEE10hipError_tPvRmT2_T3_T4_T5_mT6_T7_P12ihipStream_tbENKUlT_T0_E_clISt17integral_constantIbLb0EESX_EEDaSS_ST_EUlSS_E_NS1_11comp_targetILNS1_3genE2ELNS1_11target_archE906ELNS1_3gpuE6ELNS1_3repE0EEENS1_30default_config_static_selectorELNS0_4arch9wavefront6targetE1EEEvT1_
		.amdhsa_group_segment_fixed_size 0
		.amdhsa_private_segment_fixed_size 0
		.amdhsa_kernarg_size 144
		.amdhsa_user_sgpr_count 2
		.amdhsa_user_sgpr_dispatch_ptr 0
		.amdhsa_user_sgpr_queue_ptr 0
		.amdhsa_user_sgpr_kernarg_segment_ptr 1
		.amdhsa_user_sgpr_dispatch_id 0
		.amdhsa_user_sgpr_kernarg_preload_length 0
		.amdhsa_user_sgpr_kernarg_preload_offset 0
		.amdhsa_user_sgpr_private_segment_size 0
		.amdhsa_uses_dynamic_stack 0
		.amdhsa_enable_private_segment 0
		.amdhsa_system_sgpr_workgroup_id_x 1
		.amdhsa_system_sgpr_workgroup_id_y 0
		.amdhsa_system_sgpr_workgroup_id_z 0
		.amdhsa_system_sgpr_workgroup_info 0
		.amdhsa_system_vgpr_workitem_id 0
		.amdhsa_next_free_vgpr 1
		.amdhsa_next_free_sgpr 0
		.amdhsa_accum_offset 4
		.amdhsa_reserve_vcc 0
		.amdhsa_float_round_mode_32 0
		.amdhsa_float_round_mode_16_64 0
		.amdhsa_float_denorm_mode_32 3
		.amdhsa_float_denorm_mode_16_64 3
		.amdhsa_dx10_clamp 1
		.amdhsa_ieee_mode 1
		.amdhsa_fp16_overflow 0
		.amdhsa_tg_split 0
		.amdhsa_exception_fp_ieee_invalid_op 0
		.amdhsa_exception_fp_denorm_src 0
		.amdhsa_exception_fp_ieee_div_zero 0
		.amdhsa_exception_fp_ieee_overflow 0
		.amdhsa_exception_fp_ieee_underflow 0
		.amdhsa_exception_fp_ieee_inexact 0
		.amdhsa_exception_int_div_zero 0
	.end_amdhsa_kernel
	.section	.text._ZN7rocprim17ROCPRIM_400000_NS6detail17trampoline_kernelINS0_14default_configENS1_27scan_by_key_config_selectorIllEEZZNS1_16scan_by_key_implILNS1_25lookback_scan_determinismE0ELb0ES3_PKlN6hipcub16HIPCUB_304000_NS21ConstantInputIteratorIllEEPllNSB_3SumENSB_8EqualityElEE10hipError_tPvRmT2_T3_T4_T5_mT6_T7_P12ihipStream_tbENKUlT_T0_E_clISt17integral_constantIbLb0EESX_EEDaSS_ST_EUlSS_E_NS1_11comp_targetILNS1_3genE2ELNS1_11target_archE906ELNS1_3gpuE6ELNS1_3repE0EEENS1_30default_config_static_selectorELNS0_4arch9wavefront6targetE1EEEvT1_,"axG",@progbits,_ZN7rocprim17ROCPRIM_400000_NS6detail17trampoline_kernelINS0_14default_configENS1_27scan_by_key_config_selectorIllEEZZNS1_16scan_by_key_implILNS1_25lookback_scan_determinismE0ELb0ES3_PKlN6hipcub16HIPCUB_304000_NS21ConstantInputIteratorIllEEPllNSB_3SumENSB_8EqualityElEE10hipError_tPvRmT2_T3_T4_T5_mT6_T7_P12ihipStream_tbENKUlT_T0_E_clISt17integral_constantIbLb0EESX_EEDaSS_ST_EUlSS_E_NS1_11comp_targetILNS1_3genE2ELNS1_11target_archE906ELNS1_3gpuE6ELNS1_3repE0EEENS1_30default_config_static_selectorELNS0_4arch9wavefront6targetE1EEEvT1_,comdat
.Lfunc_end99:
	.size	_ZN7rocprim17ROCPRIM_400000_NS6detail17trampoline_kernelINS0_14default_configENS1_27scan_by_key_config_selectorIllEEZZNS1_16scan_by_key_implILNS1_25lookback_scan_determinismE0ELb0ES3_PKlN6hipcub16HIPCUB_304000_NS21ConstantInputIteratorIllEEPllNSB_3SumENSB_8EqualityElEE10hipError_tPvRmT2_T3_T4_T5_mT6_T7_P12ihipStream_tbENKUlT_T0_E_clISt17integral_constantIbLb0EESX_EEDaSS_ST_EUlSS_E_NS1_11comp_targetILNS1_3genE2ELNS1_11target_archE906ELNS1_3gpuE6ELNS1_3repE0EEENS1_30default_config_static_selectorELNS0_4arch9wavefront6targetE1EEEvT1_, .Lfunc_end99-_ZN7rocprim17ROCPRIM_400000_NS6detail17trampoline_kernelINS0_14default_configENS1_27scan_by_key_config_selectorIllEEZZNS1_16scan_by_key_implILNS1_25lookback_scan_determinismE0ELb0ES3_PKlN6hipcub16HIPCUB_304000_NS21ConstantInputIteratorIllEEPllNSB_3SumENSB_8EqualityElEE10hipError_tPvRmT2_T3_T4_T5_mT6_T7_P12ihipStream_tbENKUlT_T0_E_clISt17integral_constantIbLb0EESX_EEDaSS_ST_EUlSS_E_NS1_11comp_targetILNS1_3genE2ELNS1_11target_archE906ELNS1_3gpuE6ELNS1_3repE0EEENS1_30default_config_static_selectorELNS0_4arch9wavefront6targetE1EEEvT1_
                                        ; -- End function
	.section	.AMDGPU.csdata,"",@progbits
; Kernel info:
; codeLenInByte = 0
; NumSgprs: 6
; NumVgprs: 0
; NumAgprs: 0
; TotalNumVgprs: 0
; ScratchSize: 0
; MemoryBound: 0
; FloatMode: 240
; IeeeMode: 1
; LDSByteSize: 0 bytes/workgroup (compile time only)
; SGPRBlocks: 0
; VGPRBlocks: 0
; NumSGPRsForWavesPerEU: 6
; NumVGPRsForWavesPerEU: 1
; AccumOffset: 4
; Occupancy: 8
; WaveLimiterHint : 0
; COMPUTE_PGM_RSRC2:SCRATCH_EN: 0
; COMPUTE_PGM_RSRC2:USER_SGPR: 2
; COMPUTE_PGM_RSRC2:TRAP_HANDLER: 0
; COMPUTE_PGM_RSRC2:TGID_X_EN: 1
; COMPUTE_PGM_RSRC2:TGID_Y_EN: 0
; COMPUTE_PGM_RSRC2:TGID_Z_EN: 0
; COMPUTE_PGM_RSRC2:TIDIG_COMP_CNT: 0
; COMPUTE_PGM_RSRC3_GFX90A:ACCUM_OFFSET: 0
; COMPUTE_PGM_RSRC3_GFX90A:TG_SPLIT: 0
	.section	.text._ZN7rocprim17ROCPRIM_400000_NS6detail17trampoline_kernelINS0_14default_configENS1_27scan_by_key_config_selectorIllEEZZNS1_16scan_by_key_implILNS1_25lookback_scan_determinismE0ELb0ES3_PKlN6hipcub16HIPCUB_304000_NS21ConstantInputIteratorIllEEPllNSB_3SumENSB_8EqualityElEE10hipError_tPvRmT2_T3_T4_T5_mT6_T7_P12ihipStream_tbENKUlT_T0_E_clISt17integral_constantIbLb0EESX_EEDaSS_ST_EUlSS_E_NS1_11comp_targetILNS1_3genE10ELNS1_11target_archE1200ELNS1_3gpuE4ELNS1_3repE0EEENS1_30default_config_static_selectorELNS0_4arch9wavefront6targetE1EEEvT1_,"axG",@progbits,_ZN7rocprim17ROCPRIM_400000_NS6detail17trampoline_kernelINS0_14default_configENS1_27scan_by_key_config_selectorIllEEZZNS1_16scan_by_key_implILNS1_25lookback_scan_determinismE0ELb0ES3_PKlN6hipcub16HIPCUB_304000_NS21ConstantInputIteratorIllEEPllNSB_3SumENSB_8EqualityElEE10hipError_tPvRmT2_T3_T4_T5_mT6_T7_P12ihipStream_tbENKUlT_T0_E_clISt17integral_constantIbLb0EESX_EEDaSS_ST_EUlSS_E_NS1_11comp_targetILNS1_3genE10ELNS1_11target_archE1200ELNS1_3gpuE4ELNS1_3repE0EEENS1_30default_config_static_selectorELNS0_4arch9wavefront6targetE1EEEvT1_,comdat
	.protected	_ZN7rocprim17ROCPRIM_400000_NS6detail17trampoline_kernelINS0_14default_configENS1_27scan_by_key_config_selectorIllEEZZNS1_16scan_by_key_implILNS1_25lookback_scan_determinismE0ELb0ES3_PKlN6hipcub16HIPCUB_304000_NS21ConstantInputIteratorIllEEPllNSB_3SumENSB_8EqualityElEE10hipError_tPvRmT2_T3_T4_T5_mT6_T7_P12ihipStream_tbENKUlT_T0_E_clISt17integral_constantIbLb0EESX_EEDaSS_ST_EUlSS_E_NS1_11comp_targetILNS1_3genE10ELNS1_11target_archE1200ELNS1_3gpuE4ELNS1_3repE0EEENS1_30default_config_static_selectorELNS0_4arch9wavefront6targetE1EEEvT1_ ; -- Begin function _ZN7rocprim17ROCPRIM_400000_NS6detail17trampoline_kernelINS0_14default_configENS1_27scan_by_key_config_selectorIllEEZZNS1_16scan_by_key_implILNS1_25lookback_scan_determinismE0ELb0ES3_PKlN6hipcub16HIPCUB_304000_NS21ConstantInputIteratorIllEEPllNSB_3SumENSB_8EqualityElEE10hipError_tPvRmT2_T3_T4_T5_mT6_T7_P12ihipStream_tbENKUlT_T0_E_clISt17integral_constantIbLb0EESX_EEDaSS_ST_EUlSS_E_NS1_11comp_targetILNS1_3genE10ELNS1_11target_archE1200ELNS1_3gpuE4ELNS1_3repE0EEENS1_30default_config_static_selectorELNS0_4arch9wavefront6targetE1EEEvT1_
	.globl	_ZN7rocprim17ROCPRIM_400000_NS6detail17trampoline_kernelINS0_14default_configENS1_27scan_by_key_config_selectorIllEEZZNS1_16scan_by_key_implILNS1_25lookback_scan_determinismE0ELb0ES3_PKlN6hipcub16HIPCUB_304000_NS21ConstantInputIteratorIllEEPllNSB_3SumENSB_8EqualityElEE10hipError_tPvRmT2_T3_T4_T5_mT6_T7_P12ihipStream_tbENKUlT_T0_E_clISt17integral_constantIbLb0EESX_EEDaSS_ST_EUlSS_E_NS1_11comp_targetILNS1_3genE10ELNS1_11target_archE1200ELNS1_3gpuE4ELNS1_3repE0EEENS1_30default_config_static_selectorELNS0_4arch9wavefront6targetE1EEEvT1_
	.p2align	8
	.type	_ZN7rocprim17ROCPRIM_400000_NS6detail17trampoline_kernelINS0_14default_configENS1_27scan_by_key_config_selectorIllEEZZNS1_16scan_by_key_implILNS1_25lookback_scan_determinismE0ELb0ES3_PKlN6hipcub16HIPCUB_304000_NS21ConstantInputIteratorIllEEPllNSB_3SumENSB_8EqualityElEE10hipError_tPvRmT2_T3_T4_T5_mT6_T7_P12ihipStream_tbENKUlT_T0_E_clISt17integral_constantIbLb0EESX_EEDaSS_ST_EUlSS_E_NS1_11comp_targetILNS1_3genE10ELNS1_11target_archE1200ELNS1_3gpuE4ELNS1_3repE0EEENS1_30default_config_static_selectorELNS0_4arch9wavefront6targetE1EEEvT1_,@function
_ZN7rocprim17ROCPRIM_400000_NS6detail17trampoline_kernelINS0_14default_configENS1_27scan_by_key_config_selectorIllEEZZNS1_16scan_by_key_implILNS1_25lookback_scan_determinismE0ELb0ES3_PKlN6hipcub16HIPCUB_304000_NS21ConstantInputIteratorIllEEPllNSB_3SumENSB_8EqualityElEE10hipError_tPvRmT2_T3_T4_T5_mT6_T7_P12ihipStream_tbENKUlT_T0_E_clISt17integral_constantIbLb0EESX_EEDaSS_ST_EUlSS_E_NS1_11comp_targetILNS1_3genE10ELNS1_11target_archE1200ELNS1_3gpuE4ELNS1_3repE0EEENS1_30default_config_static_selectorELNS0_4arch9wavefront6targetE1EEEvT1_: ; @_ZN7rocprim17ROCPRIM_400000_NS6detail17trampoline_kernelINS0_14default_configENS1_27scan_by_key_config_selectorIllEEZZNS1_16scan_by_key_implILNS1_25lookback_scan_determinismE0ELb0ES3_PKlN6hipcub16HIPCUB_304000_NS21ConstantInputIteratorIllEEPllNSB_3SumENSB_8EqualityElEE10hipError_tPvRmT2_T3_T4_T5_mT6_T7_P12ihipStream_tbENKUlT_T0_E_clISt17integral_constantIbLb0EESX_EEDaSS_ST_EUlSS_E_NS1_11comp_targetILNS1_3genE10ELNS1_11target_archE1200ELNS1_3gpuE4ELNS1_3repE0EEENS1_30default_config_static_selectorELNS0_4arch9wavefront6targetE1EEEvT1_
; %bb.0:
	.section	.rodata,"a",@progbits
	.p2align	6, 0x0
	.amdhsa_kernel _ZN7rocprim17ROCPRIM_400000_NS6detail17trampoline_kernelINS0_14default_configENS1_27scan_by_key_config_selectorIllEEZZNS1_16scan_by_key_implILNS1_25lookback_scan_determinismE0ELb0ES3_PKlN6hipcub16HIPCUB_304000_NS21ConstantInputIteratorIllEEPllNSB_3SumENSB_8EqualityElEE10hipError_tPvRmT2_T3_T4_T5_mT6_T7_P12ihipStream_tbENKUlT_T0_E_clISt17integral_constantIbLb0EESX_EEDaSS_ST_EUlSS_E_NS1_11comp_targetILNS1_3genE10ELNS1_11target_archE1200ELNS1_3gpuE4ELNS1_3repE0EEENS1_30default_config_static_selectorELNS0_4arch9wavefront6targetE1EEEvT1_
		.amdhsa_group_segment_fixed_size 0
		.amdhsa_private_segment_fixed_size 0
		.amdhsa_kernarg_size 144
		.amdhsa_user_sgpr_count 2
		.amdhsa_user_sgpr_dispatch_ptr 0
		.amdhsa_user_sgpr_queue_ptr 0
		.amdhsa_user_sgpr_kernarg_segment_ptr 1
		.amdhsa_user_sgpr_dispatch_id 0
		.amdhsa_user_sgpr_kernarg_preload_length 0
		.amdhsa_user_sgpr_kernarg_preload_offset 0
		.amdhsa_user_sgpr_private_segment_size 0
		.amdhsa_uses_dynamic_stack 0
		.amdhsa_enable_private_segment 0
		.amdhsa_system_sgpr_workgroup_id_x 1
		.amdhsa_system_sgpr_workgroup_id_y 0
		.amdhsa_system_sgpr_workgroup_id_z 0
		.amdhsa_system_sgpr_workgroup_info 0
		.amdhsa_system_vgpr_workitem_id 0
		.amdhsa_next_free_vgpr 1
		.amdhsa_next_free_sgpr 0
		.amdhsa_accum_offset 4
		.amdhsa_reserve_vcc 0
		.amdhsa_float_round_mode_32 0
		.amdhsa_float_round_mode_16_64 0
		.amdhsa_float_denorm_mode_32 3
		.amdhsa_float_denorm_mode_16_64 3
		.amdhsa_dx10_clamp 1
		.amdhsa_ieee_mode 1
		.amdhsa_fp16_overflow 0
		.amdhsa_tg_split 0
		.amdhsa_exception_fp_ieee_invalid_op 0
		.amdhsa_exception_fp_denorm_src 0
		.amdhsa_exception_fp_ieee_div_zero 0
		.amdhsa_exception_fp_ieee_overflow 0
		.amdhsa_exception_fp_ieee_underflow 0
		.amdhsa_exception_fp_ieee_inexact 0
		.amdhsa_exception_int_div_zero 0
	.end_amdhsa_kernel
	.section	.text._ZN7rocprim17ROCPRIM_400000_NS6detail17trampoline_kernelINS0_14default_configENS1_27scan_by_key_config_selectorIllEEZZNS1_16scan_by_key_implILNS1_25lookback_scan_determinismE0ELb0ES3_PKlN6hipcub16HIPCUB_304000_NS21ConstantInputIteratorIllEEPllNSB_3SumENSB_8EqualityElEE10hipError_tPvRmT2_T3_T4_T5_mT6_T7_P12ihipStream_tbENKUlT_T0_E_clISt17integral_constantIbLb0EESX_EEDaSS_ST_EUlSS_E_NS1_11comp_targetILNS1_3genE10ELNS1_11target_archE1200ELNS1_3gpuE4ELNS1_3repE0EEENS1_30default_config_static_selectorELNS0_4arch9wavefront6targetE1EEEvT1_,"axG",@progbits,_ZN7rocprim17ROCPRIM_400000_NS6detail17trampoline_kernelINS0_14default_configENS1_27scan_by_key_config_selectorIllEEZZNS1_16scan_by_key_implILNS1_25lookback_scan_determinismE0ELb0ES3_PKlN6hipcub16HIPCUB_304000_NS21ConstantInputIteratorIllEEPllNSB_3SumENSB_8EqualityElEE10hipError_tPvRmT2_T3_T4_T5_mT6_T7_P12ihipStream_tbENKUlT_T0_E_clISt17integral_constantIbLb0EESX_EEDaSS_ST_EUlSS_E_NS1_11comp_targetILNS1_3genE10ELNS1_11target_archE1200ELNS1_3gpuE4ELNS1_3repE0EEENS1_30default_config_static_selectorELNS0_4arch9wavefront6targetE1EEEvT1_,comdat
.Lfunc_end100:
	.size	_ZN7rocprim17ROCPRIM_400000_NS6detail17trampoline_kernelINS0_14default_configENS1_27scan_by_key_config_selectorIllEEZZNS1_16scan_by_key_implILNS1_25lookback_scan_determinismE0ELb0ES3_PKlN6hipcub16HIPCUB_304000_NS21ConstantInputIteratorIllEEPllNSB_3SumENSB_8EqualityElEE10hipError_tPvRmT2_T3_T4_T5_mT6_T7_P12ihipStream_tbENKUlT_T0_E_clISt17integral_constantIbLb0EESX_EEDaSS_ST_EUlSS_E_NS1_11comp_targetILNS1_3genE10ELNS1_11target_archE1200ELNS1_3gpuE4ELNS1_3repE0EEENS1_30default_config_static_selectorELNS0_4arch9wavefront6targetE1EEEvT1_, .Lfunc_end100-_ZN7rocprim17ROCPRIM_400000_NS6detail17trampoline_kernelINS0_14default_configENS1_27scan_by_key_config_selectorIllEEZZNS1_16scan_by_key_implILNS1_25lookback_scan_determinismE0ELb0ES3_PKlN6hipcub16HIPCUB_304000_NS21ConstantInputIteratorIllEEPllNSB_3SumENSB_8EqualityElEE10hipError_tPvRmT2_T3_T4_T5_mT6_T7_P12ihipStream_tbENKUlT_T0_E_clISt17integral_constantIbLb0EESX_EEDaSS_ST_EUlSS_E_NS1_11comp_targetILNS1_3genE10ELNS1_11target_archE1200ELNS1_3gpuE4ELNS1_3repE0EEENS1_30default_config_static_selectorELNS0_4arch9wavefront6targetE1EEEvT1_
                                        ; -- End function
	.section	.AMDGPU.csdata,"",@progbits
; Kernel info:
; codeLenInByte = 0
; NumSgprs: 6
; NumVgprs: 0
; NumAgprs: 0
; TotalNumVgprs: 0
; ScratchSize: 0
; MemoryBound: 0
; FloatMode: 240
; IeeeMode: 1
; LDSByteSize: 0 bytes/workgroup (compile time only)
; SGPRBlocks: 0
; VGPRBlocks: 0
; NumSGPRsForWavesPerEU: 6
; NumVGPRsForWavesPerEU: 1
; AccumOffset: 4
; Occupancy: 8
; WaveLimiterHint : 0
; COMPUTE_PGM_RSRC2:SCRATCH_EN: 0
; COMPUTE_PGM_RSRC2:USER_SGPR: 2
; COMPUTE_PGM_RSRC2:TRAP_HANDLER: 0
; COMPUTE_PGM_RSRC2:TGID_X_EN: 1
; COMPUTE_PGM_RSRC2:TGID_Y_EN: 0
; COMPUTE_PGM_RSRC2:TGID_Z_EN: 0
; COMPUTE_PGM_RSRC2:TIDIG_COMP_CNT: 0
; COMPUTE_PGM_RSRC3_GFX90A:ACCUM_OFFSET: 0
; COMPUTE_PGM_RSRC3_GFX90A:TG_SPLIT: 0
	.section	.text._ZN7rocprim17ROCPRIM_400000_NS6detail17trampoline_kernelINS0_14default_configENS1_27scan_by_key_config_selectorIllEEZZNS1_16scan_by_key_implILNS1_25lookback_scan_determinismE0ELb0ES3_PKlN6hipcub16HIPCUB_304000_NS21ConstantInputIteratorIllEEPllNSB_3SumENSB_8EqualityElEE10hipError_tPvRmT2_T3_T4_T5_mT6_T7_P12ihipStream_tbENKUlT_T0_E_clISt17integral_constantIbLb0EESX_EEDaSS_ST_EUlSS_E_NS1_11comp_targetILNS1_3genE9ELNS1_11target_archE1100ELNS1_3gpuE3ELNS1_3repE0EEENS1_30default_config_static_selectorELNS0_4arch9wavefront6targetE1EEEvT1_,"axG",@progbits,_ZN7rocprim17ROCPRIM_400000_NS6detail17trampoline_kernelINS0_14default_configENS1_27scan_by_key_config_selectorIllEEZZNS1_16scan_by_key_implILNS1_25lookback_scan_determinismE0ELb0ES3_PKlN6hipcub16HIPCUB_304000_NS21ConstantInputIteratorIllEEPllNSB_3SumENSB_8EqualityElEE10hipError_tPvRmT2_T3_T4_T5_mT6_T7_P12ihipStream_tbENKUlT_T0_E_clISt17integral_constantIbLb0EESX_EEDaSS_ST_EUlSS_E_NS1_11comp_targetILNS1_3genE9ELNS1_11target_archE1100ELNS1_3gpuE3ELNS1_3repE0EEENS1_30default_config_static_selectorELNS0_4arch9wavefront6targetE1EEEvT1_,comdat
	.protected	_ZN7rocprim17ROCPRIM_400000_NS6detail17trampoline_kernelINS0_14default_configENS1_27scan_by_key_config_selectorIllEEZZNS1_16scan_by_key_implILNS1_25lookback_scan_determinismE0ELb0ES3_PKlN6hipcub16HIPCUB_304000_NS21ConstantInputIteratorIllEEPllNSB_3SumENSB_8EqualityElEE10hipError_tPvRmT2_T3_T4_T5_mT6_T7_P12ihipStream_tbENKUlT_T0_E_clISt17integral_constantIbLb0EESX_EEDaSS_ST_EUlSS_E_NS1_11comp_targetILNS1_3genE9ELNS1_11target_archE1100ELNS1_3gpuE3ELNS1_3repE0EEENS1_30default_config_static_selectorELNS0_4arch9wavefront6targetE1EEEvT1_ ; -- Begin function _ZN7rocprim17ROCPRIM_400000_NS6detail17trampoline_kernelINS0_14default_configENS1_27scan_by_key_config_selectorIllEEZZNS1_16scan_by_key_implILNS1_25lookback_scan_determinismE0ELb0ES3_PKlN6hipcub16HIPCUB_304000_NS21ConstantInputIteratorIllEEPllNSB_3SumENSB_8EqualityElEE10hipError_tPvRmT2_T3_T4_T5_mT6_T7_P12ihipStream_tbENKUlT_T0_E_clISt17integral_constantIbLb0EESX_EEDaSS_ST_EUlSS_E_NS1_11comp_targetILNS1_3genE9ELNS1_11target_archE1100ELNS1_3gpuE3ELNS1_3repE0EEENS1_30default_config_static_selectorELNS0_4arch9wavefront6targetE1EEEvT1_
	.globl	_ZN7rocprim17ROCPRIM_400000_NS6detail17trampoline_kernelINS0_14default_configENS1_27scan_by_key_config_selectorIllEEZZNS1_16scan_by_key_implILNS1_25lookback_scan_determinismE0ELb0ES3_PKlN6hipcub16HIPCUB_304000_NS21ConstantInputIteratorIllEEPllNSB_3SumENSB_8EqualityElEE10hipError_tPvRmT2_T3_T4_T5_mT6_T7_P12ihipStream_tbENKUlT_T0_E_clISt17integral_constantIbLb0EESX_EEDaSS_ST_EUlSS_E_NS1_11comp_targetILNS1_3genE9ELNS1_11target_archE1100ELNS1_3gpuE3ELNS1_3repE0EEENS1_30default_config_static_selectorELNS0_4arch9wavefront6targetE1EEEvT1_
	.p2align	8
	.type	_ZN7rocprim17ROCPRIM_400000_NS6detail17trampoline_kernelINS0_14default_configENS1_27scan_by_key_config_selectorIllEEZZNS1_16scan_by_key_implILNS1_25lookback_scan_determinismE0ELb0ES3_PKlN6hipcub16HIPCUB_304000_NS21ConstantInputIteratorIllEEPllNSB_3SumENSB_8EqualityElEE10hipError_tPvRmT2_T3_T4_T5_mT6_T7_P12ihipStream_tbENKUlT_T0_E_clISt17integral_constantIbLb0EESX_EEDaSS_ST_EUlSS_E_NS1_11comp_targetILNS1_3genE9ELNS1_11target_archE1100ELNS1_3gpuE3ELNS1_3repE0EEENS1_30default_config_static_selectorELNS0_4arch9wavefront6targetE1EEEvT1_,@function
_ZN7rocprim17ROCPRIM_400000_NS6detail17trampoline_kernelINS0_14default_configENS1_27scan_by_key_config_selectorIllEEZZNS1_16scan_by_key_implILNS1_25lookback_scan_determinismE0ELb0ES3_PKlN6hipcub16HIPCUB_304000_NS21ConstantInputIteratorIllEEPllNSB_3SumENSB_8EqualityElEE10hipError_tPvRmT2_T3_T4_T5_mT6_T7_P12ihipStream_tbENKUlT_T0_E_clISt17integral_constantIbLb0EESX_EEDaSS_ST_EUlSS_E_NS1_11comp_targetILNS1_3genE9ELNS1_11target_archE1100ELNS1_3gpuE3ELNS1_3repE0EEENS1_30default_config_static_selectorELNS0_4arch9wavefront6targetE1EEEvT1_: ; @_ZN7rocprim17ROCPRIM_400000_NS6detail17trampoline_kernelINS0_14default_configENS1_27scan_by_key_config_selectorIllEEZZNS1_16scan_by_key_implILNS1_25lookback_scan_determinismE0ELb0ES3_PKlN6hipcub16HIPCUB_304000_NS21ConstantInputIteratorIllEEPllNSB_3SumENSB_8EqualityElEE10hipError_tPvRmT2_T3_T4_T5_mT6_T7_P12ihipStream_tbENKUlT_T0_E_clISt17integral_constantIbLb0EESX_EEDaSS_ST_EUlSS_E_NS1_11comp_targetILNS1_3genE9ELNS1_11target_archE1100ELNS1_3gpuE3ELNS1_3repE0EEENS1_30default_config_static_selectorELNS0_4arch9wavefront6targetE1EEEvT1_
; %bb.0:
	.section	.rodata,"a",@progbits
	.p2align	6, 0x0
	.amdhsa_kernel _ZN7rocprim17ROCPRIM_400000_NS6detail17trampoline_kernelINS0_14default_configENS1_27scan_by_key_config_selectorIllEEZZNS1_16scan_by_key_implILNS1_25lookback_scan_determinismE0ELb0ES3_PKlN6hipcub16HIPCUB_304000_NS21ConstantInputIteratorIllEEPllNSB_3SumENSB_8EqualityElEE10hipError_tPvRmT2_T3_T4_T5_mT6_T7_P12ihipStream_tbENKUlT_T0_E_clISt17integral_constantIbLb0EESX_EEDaSS_ST_EUlSS_E_NS1_11comp_targetILNS1_3genE9ELNS1_11target_archE1100ELNS1_3gpuE3ELNS1_3repE0EEENS1_30default_config_static_selectorELNS0_4arch9wavefront6targetE1EEEvT1_
		.amdhsa_group_segment_fixed_size 0
		.amdhsa_private_segment_fixed_size 0
		.amdhsa_kernarg_size 144
		.amdhsa_user_sgpr_count 2
		.amdhsa_user_sgpr_dispatch_ptr 0
		.amdhsa_user_sgpr_queue_ptr 0
		.amdhsa_user_sgpr_kernarg_segment_ptr 1
		.amdhsa_user_sgpr_dispatch_id 0
		.amdhsa_user_sgpr_kernarg_preload_length 0
		.amdhsa_user_sgpr_kernarg_preload_offset 0
		.amdhsa_user_sgpr_private_segment_size 0
		.amdhsa_uses_dynamic_stack 0
		.amdhsa_enable_private_segment 0
		.amdhsa_system_sgpr_workgroup_id_x 1
		.amdhsa_system_sgpr_workgroup_id_y 0
		.amdhsa_system_sgpr_workgroup_id_z 0
		.amdhsa_system_sgpr_workgroup_info 0
		.amdhsa_system_vgpr_workitem_id 0
		.amdhsa_next_free_vgpr 1
		.amdhsa_next_free_sgpr 0
		.amdhsa_accum_offset 4
		.amdhsa_reserve_vcc 0
		.amdhsa_float_round_mode_32 0
		.amdhsa_float_round_mode_16_64 0
		.amdhsa_float_denorm_mode_32 3
		.amdhsa_float_denorm_mode_16_64 3
		.amdhsa_dx10_clamp 1
		.amdhsa_ieee_mode 1
		.amdhsa_fp16_overflow 0
		.amdhsa_tg_split 0
		.amdhsa_exception_fp_ieee_invalid_op 0
		.amdhsa_exception_fp_denorm_src 0
		.amdhsa_exception_fp_ieee_div_zero 0
		.amdhsa_exception_fp_ieee_overflow 0
		.amdhsa_exception_fp_ieee_underflow 0
		.amdhsa_exception_fp_ieee_inexact 0
		.amdhsa_exception_int_div_zero 0
	.end_amdhsa_kernel
	.section	.text._ZN7rocprim17ROCPRIM_400000_NS6detail17trampoline_kernelINS0_14default_configENS1_27scan_by_key_config_selectorIllEEZZNS1_16scan_by_key_implILNS1_25lookback_scan_determinismE0ELb0ES3_PKlN6hipcub16HIPCUB_304000_NS21ConstantInputIteratorIllEEPllNSB_3SumENSB_8EqualityElEE10hipError_tPvRmT2_T3_T4_T5_mT6_T7_P12ihipStream_tbENKUlT_T0_E_clISt17integral_constantIbLb0EESX_EEDaSS_ST_EUlSS_E_NS1_11comp_targetILNS1_3genE9ELNS1_11target_archE1100ELNS1_3gpuE3ELNS1_3repE0EEENS1_30default_config_static_selectorELNS0_4arch9wavefront6targetE1EEEvT1_,"axG",@progbits,_ZN7rocprim17ROCPRIM_400000_NS6detail17trampoline_kernelINS0_14default_configENS1_27scan_by_key_config_selectorIllEEZZNS1_16scan_by_key_implILNS1_25lookback_scan_determinismE0ELb0ES3_PKlN6hipcub16HIPCUB_304000_NS21ConstantInputIteratorIllEEPllNSB_3SumENSB_8EqualityElEE10hipError_tPvRmT2_T3_T4_T5_mT6_T7_P12ihipStream_tbENKUlT_T0_E_clISt17integral_constantIbLb0EESX_EEDaSS_ST_EUlSS_E_NS1_11comp_targetILNS1_3genE9ELNS1_11target_archE1100ELNS1_3gpuE3ELNS1_3repE0EEENS1_30default_config_static_selectorELNS0_4arch9wavefront6targetE1EEEvT1_,comdat
.Lfunc_end101:
	.size	_ZN7rocprim17ROCPRIM_400000_NS6detail17trampoline_kernelINS0_14default_configENS1_27scan_by_key_config_selectorIllEEZZNS1_16scan_by_key_implILNS1_25lookback_scan_determinismE0ELb0ES3_PKlN6hipcub16HIPCUB_304000_NS21ConstantInputIteratorIllEEPllNSB_3SumENSB_8EqualityElEE10hipError_tPvRmT2_T3_T4_T5_mT6_T7_P12ihipStream_tbENKUlT_T0_E_clISt17integral_constantIbLb0EESX_EEDaSS_ST_EUlSS_E_NS1_11comp_targetILNS1_3genE9ELNS1_11target_archE1100ELNS1_3gpuE3ELNS1_3repE0EEENS1_30default_config_static_selectorELNS0_4arch9wavefront6targetE1EEEvT1_, .Lfunc_end101-_ZN7rocprim17ROCPRIM_400000_NS6detail17trampoline_kernelINS0_14default_configENS1_27scan_by_key_config_selectorIllEEZZNS1_16scan_by_key_implILNS1_25lookback_scan_determinismE0ELb0ES3_PKlN6hipcub16HIPCUB_304000_NS21ConstantInputIteratorIllEEPllNSB_3SumENSB_8EqualityElEE10hipError_tPvRmT2_T3_T4_T5_mT6_T7_P12ihipStream_tbENKUlT_T0_E_clISt17integral_constantIbLb0EESX_EEDaSS_ST_EUlSS_E_NS1_11comp_targetILNS1_3genE9ELNS1_11target_archE1100ELNS1_3gpuE3ELNS1_3repE0EEENS1_30default_config_static_selectorELNS0_4arch9wavefront6targetE1EEEvT1_
                                        ; -- End function
	.section	.AMDGPU.csdata,"",@progbits
; Kernel info:
; codeLenInByte = 0
; NumSgprs: 6
; NumVgprs: 0
; NumAgprs: 0
; TotalNumVgprs: 0
; ScratchSize: 0
; MemoryBound: 0
; FloatMode: 240
; IeeeMode: 1
; LDSByteSize: 0 bytes/workgroup (compile time only)
; SGPRBlocks: 0
; VGPRBlocks: 0
; NumSGPRsForWavesPerEU: 6
; NumVGPRsForWavesPerEU: 1
; AccumOffset: 4
; Occupancy: 8
; WaveLimiterHint : 0
; COMPUTE_PGM_RSRC2:SCRATCH_EN: 0
; COMPUTE_PGM_RSRC2:USER_SGPR: 2
; COMPUTE_PGM_RSRC2:TRAP_HANDLER: 0
; COMPUTE_PGM_RSRC2:TGID_X_EN: 1
; COMPUTE_PGM_RSRC2:TGID_Y_EN: 0
; COMPUTE_PGM_RSRC2:TGID_Z_EN: 0
; COMPUTE_PGM_RSRC2:TIDIG_COMP_CNT: 0
; COMPUTE_PGM_RSRC3_GFX90A:ACCUM_OFFSET: 0
; COMPUTE_PGM_RSRC3_GFX90A:TG_SPLIT: 0
	.section	.text._ZN7rocprim17ROCPRIM_400000_NS6detail17trampoline_kernelINS0_14default_configENS1_27scan_by_key_config_selectorIllEEZZNS1_16scan_by_key_implILNS1_25lookback_scan_determinismE0ELb0ES3_PKlN6hipcub16HIPCUB_304000_NS21ConstantInputIteratorIllEEPllNSB_3SumENSB_8EqualityElEE10hipError_tPvRmT2_T3_T4_T5_mT6_T7_P12ihipStream_tbENKUlT_T0_E_clISt17integral_constantIbLb0EESX_EEDaSS_ST_EUlSS_E_NS1_11comp_targetILNS1_3genE8ELNS1_11target_archE1030ELNS1_3gpuE2ELNS1_3repE0EEENS1_30default_config_static_selectorELNS0_4arch9wavefront6targetE1EEEvT1_,"axG",@progbits,_ZN7rocprim17ROCPRIM_400000_NS6detail17trampoline_kernelINS0_14default_configENS1_27scan_by_key_config_selectorIllEEZZNS1_16scan_by_key_implILNS1_25lookback_scan_determinismE0ELb0ES3_PKlN6hipcub16HIPCUB_304000_NS21ConstantInputIteratorIllEEPllNSB_3SumENSB_8EqualityElEE10hipError_tPvRmT2_T3_T4_T5_mT6_T7_P12ihipStream_tbENKUlT_T0_E_clISt17integral_constantIbLb0EESX_EEDaSS_ST_EUlSS_E_NS1_11comp_targetILNS1_3genE8ELNS1_11target_archE1030ELNS1_3gpuE2ELNS1_3repE0EEENS1_30default_config_static_selectorELNS0_4arch9wavefront6targetE1EEEvT1_,comdat
	.protected	_ZN7rocprim17ROCPRIM_400000_NS6detail17trampoline_kernelINS0_14default_configENS1_27scan_by_key_config_selectorIllEEZZNS1_16scan_by_key_implILNS1_25lookback_scan_determinismE0ELb0ES3_PKlN6hipcub16HIPCUB_304000_NS21ConstantInputIteratorIllEEPllNSB_3SumENSB_8EqualityElEE10hipError_tPvRmT2_T3_T4_T5_mT6_T7_P12ihipStream_tbENKUlT_T0_E_clISt17integral_constantIbLb0EESX_EEDaSS_ST_EUlSS_E_NS1_11comp_targetILNS1_3genE8ELNS1_11target_archE1030ELNS1_3gpuE2ELNS1_3repE0EEENS1_30default_config_static_selectorELNS0_4arch9wavefront6targetE1EEEvT1_ ; -- Begin function _ZN7rocprim17ROCPRIM_400000_NS6detail17trampoline_kernelINS0_14default_configENS1_27scan_by_key_config_selectorIllEEZZNS1_16scan_by_key_implILNS1_25lookback_scan_determinismE0ELb0ES3_PKlN6hipcub16HIPCUB_304000_NS21ConstantInputIteratorIllEEPllNSB_3SumENSB_8EqualityElEE10hipError_tPvRmT2_T3_T4_T5_mT6_T7_P12ihipStream_tbENKUlT_T0_E_clISt17integral_constantIbLb0EESX_EEDaSS_ST_EUlSS_E_NS1_11comp_targetILNS1_3genE8ELNS1_11target_archE1030ELNS1_3gpuE2ELNS1_3repE0EEENS1_30default_config_static_selectorELNS0_4arch9wavefront6targetE1EEEvT1_
	.globl	_ZN7rocprim17ROCPRIM_400000_NS6detail17trampoline_kernelINS0_14default_configENS1_27scan_by_key_config_selectorIllEEZZNS1_16scan_by_key_implILNS1_25lookback_scan_determinismE0ELb0ES3_PKlN6hipcub16HIPCUB_304000_NS21ConstantInputIteratorIllEEPllNSB_3SumENSB_8EqualityElEE10hipError_tPvRmT2_T3_T4_T5_mT6_T7_P12ihipStream_tbENKUlT_T0_E_clISt17integral_constantIbLb0EESX_EEDaSS_ST_EUlSS_E_NS1_11comp_targetILNS1_3genE8ELNS1_11target_archE1030ELNS1_3gpuE2ELNS1_3repE0EEENS1_30default_config_static_selectorELNS0_4arch9wavefront6targetE1EEEvT1_
	.p2align	8
	.type	_ZN7rocprim17ROCPRIM_400000_NS6detail17trampoline_kernelINS0_14default_configENS1_27scan_by_key_config_selectorIllEEZZNS1_16scan_by_key_implILNS1_25lookback_scan_determinismE0ELb0ES3_PKlN6hipcub16HIPCUB_304000_NS21ConstantInputIteratorIllEEPllNSB_3SumENSB_8EqualityElEE10hipError_tPvRmT2_T3_T4_T5_mT6_T7_P12ihipStream_tbENKUlT_T0_E_clISt17integral_constantIbLb0EESX_EEDaSS_ST_EUlSS_E_NS1_11comp_targetILNS1_3genE8ELNS1_11target_archE1030ELNS1_3gpuE2ELNS1_3repE0EEENS1_30default_config_static_selectorELNS0_4arch9wavefront6targetE1EEEvT1_,@function
_ZN7rocprim17ROCPRIM_400000_NS6detail17trampoline_kernelINS0_14default_configENS1_27scan_by_key_config_selectorIllEEZZNS1_16scan_by_key_implILNS1_25lookback_scan_determinismE0ELb0ES3_PKlN6hipcub16HIPCUB_304000_NS21ConstantInputIteratorIllEEPllNSB_3SumENSB_8EqualityElEE10hipError_tPvRmT2_T3_T4_T5_mT6_T7_P12ihipStream_tbENKUlT_T0_E_clISt17integral_constantIbLb0EESX_EEDaSS_ST_EUlSS_E_NS1_11comp_targetILNS1_3genE8ELNS1_11target_archE1030ELNS1_3gpuE2ELNS1_3repE0EEENS1_30default_config_static_selectorELNS0_4arch9wavefront6targetE1EEEvT1_: ; @_ZN7rocprim17ROCPRIM_400000_NS6detail17trampoline_kernelINS0_14default_configENS1_27scan_by_key_config_selectorIllEEZZNS1_16scan_by_key_implILNS1_25lookback_scan_determinismE0ELb0ES3_PKlN6hipcub16HIPCUB_304000_NS21ConstantInputIteratorIllEEPllNSB_3SumENSB_8EqualityElEE10hipError_tPvRmT2_T3_T4_T5_mT6_T7_P12ihipStream_tbENKUlT_T0_E_clISt17integral_constantIbLb0EESX_EEDaSS_ST_EUlSS_E_NS1_11comp_targetILNS1_3genE8ELNS1_11target_archE1030ELNS1_3gpuE2ELNS1_3repE0EEENS1_30default_config_static_selectorELNS0_4arch9wavefront6targetE1EEEvT1_
; %bb.0:
	.section	.rodata,"a",@progbits
	.p2align	6, 0x0
	.amdhsa_kernel _ZN7rocprim17ROCPRIM_400000_NS6detail17trampoline_kernelINS0_14default_configENS1_27scan_by_key_config_selectorIllEEZZNS1_16scan_by_key_implILNS1_25lookback_scan_determinismE0ELb0ES3_PKlN6hipcub16HIPCUB_304000_NS21ConstantInputIteratorIllEEPllNSB_3SumENSB_8EqualityElEE10hipError_tPvRmT2_T3_T4_T5_mT6_T7_P12ihipStream_tbENKUlT_T0_E_clISt17integral_constantIbLb0EESX_EEDaSS_ST_EUlSS_E_NS1_11comp_targetILNS1_3genE8ELNS1_11target_archE1030ELNS1_3gpuE2ELNS1_3repE0EEENS1_30default_config_static_selectorELNS0_4arch9wavefront6targetE1EEEvT1_
		.amdhsa_group_segment_fixed_size 0
		.amdhsa_private_segment_fixed_size 0
		.amdhsa_kernarg_size 144
		.amdhsa_user_sgpr_count 2
		.amdhsa_user_sgpr_dispatch_ptr 0
		.amdhsa_user_sgpr_queue_ptr 0
		.amdhsa_user_sgpr_kernarg_segment_ptr 1
		.amdhsa_user_sgpr_dispatch_id 0
		.amdhsa_user_sgpr_kernarg_preload_length 0
		.amdhsa_user_sgpr_kernarg_preload_offset 0
		.amdhsa_user_sgpr_private_segment_size 0
		.amdhsa_uses_dynamic_stack 0
		.amdhsa_enable_private_segment 0
		.amdhsa_system_sgpr_workgroup_id_x 1
		.amdhsa_system_sgpr_workgroup_id_y 0
		.amdhsa_system_sgpr_workgroup_id_z 0
		.amdhsa_system_sgpr_workgroup_info 0
		.amdhsa_system_vgpr_workitem_id 0
		.amdhsa_next_free_vgpr 1
		.amdhsa_next_free_sgpr 0
		.amdhsa_accum_offset 4
		.amdhsa_reserve_vcc 0
		.amdhsa_float_round_mode_32 0
		.amdhsa_float_round_mode_16_64 0
		.amdhsa_float_denorm_mode_32 3
		.amdhsa_float_denorm_mode_16_64 3
		.amdhsa_dx10_clamp 1
		.amdhsa_ieee_mode 1
		.amdhsa_fp16_overflow 0
		.amdhsa_tg_split 0
		.amdhsa_exception_fp_ieee_invalid_op 0
		.amdhsa_exception_fp_denorm_src 0
		.amdhsa_exception_fp_ieee_div_zero 0
		.amdhsa_exception_fp_ieee_overflow 0
		.amdhsa_exception_fp_ieee_underflow 0
		.amdhsa_exception_fp_ieee_inexact 0
		.amdhsa_exception_int_div_zero 0
	.end_amdhsa_kernel
	.section	.text._ZN7rocprim17ROCPRIM_400000_NS6detail17trampoline_kernelINS0_14default_configENS1_27scan_by_key_config_selectorIllEEZZNS1_16scan_by_key_implILNS1_25lookback_scan_determinismE0ELb0ES3_PKlN6hipcub16HIPCUB_304000_NS21ConstantInputIteratorIllEEPllNSB_3SumENSB_8EqualityElEE10hipError_tPvRmT2_T3_T4_T5_mT6_T7_P12ihipStream_tbENKUlT_T0_E_clISt17integral_constantIbLb0EESX_EEDaSS_ST_EUlSS_E_NS1_11comp_targetILNS1_3genE8ELNS1_11target_archE1030ELNS1_3gpuE2ELNS1_3repE0EEENS1_30default_config_static_selectorELNS0_4arch9wavefront6targetE1EEEvT1_,"axG",@progbits,_ZN7rocprim17ROCPRIM_400000_NS6detail17trampoline_kernelINS0_14default_configENS1_27scan_by_key_config_selectorIllEEZZNS1_16scan_by_key_implILNS1_25lookback_scan_determinismE0ELb0ES3_PKlN6hipcub16HIPCUB_304000_NS21ConstantInputIteratorIllEEPllNSB_3SumENSB_8EqualityElEE10hipError_tPvRmT2_T3_T4_T5_mT6_T7_P12ihipStream_tbENKUlT_T0_E_clISt17integral_constantIbLb0EESX_EEDaSS_ST_EUlSS_E_NS1_11comp_targetILNS1_3genE8ELNS1_11target_archE1030ELNS1_3gpuE2ELNS1_3repE0EEENS1_30default_config_static_selectorELNS0_4arch9wavefront6targetE1EEEvT1_,comdat
.Lfunc_end102:
	.size	_ZN7rocprim17ROCPRIM_400000_NS6detail17trampoline_kernelINS0_14default_configENS1_27scan_by_key_config_selectorIllEEZZNS1_16scan_by_key_implILNS1_25lookback_scan_determinismE0ELb0ES3_PKlN6hipcub16HIPCUB_304000_NS21ConstantInputIteratorIllEEPllNSB_3SumENSB_8EqualityElEE10hipError_tPvRmT2_T3_T4_T5_mT6_T7_P12ihipStream_tbENKUlT_T0_E_clISt17integral_constantIbLb0EESX_EEDaSS_ST_EUlSS_E_NS1_11comp_targetILNS1_3genE8ELNS1_11target_archE1030ELNS1_3gpuE2ELNS1_3repE0EEENS1_30default_config_static_selectorELNS0_4arch9wavefront6targetE1EEEvT1_, .Lfunc_end102-_ZN7rocprim17ROCPRIM_400000_NS6detail17trampoline_kernelINS0_14default_configENS1_27scan_by_key_config_selectorIllEEZZNS1_16scan_by_key_implILNS1_25lookback_scan_determinismE0ELb0ES3_PKlN6hipcub16HIPCUB_304000_NS21ConstantInputIteratorIllEEPllNSB_3SumENSB_8EqualityElEE10hipError_tPvRmT2_T3_T4_T5_mT6_T7_P12ihipStream_tbENKUlT_T0_E_clISt17integral_constantIbLb0EESX_EEDaSS_ST_EUlSS_E_NS1_11comp_targetILNS1_3genE8ELNS1_11target_archE1030ELNS1_3gpuE2ELNS1_3repE0EEENS1_30default_config_static_selectorELNS0_4arch9wavefront6targetE1EEEvT1_
                                        ; -- End function
	.section	.AMDGPU.csdata,"",@progbits
; Kernel info:
; codeLenInByte = 0
; NumSgprs: 6
; NumVgprs: 0
; NumAgprs: 0
; TotalNumVgprs: 0
; ScratchSize: 0
; MemoryBound: 0
; FloatMode: 240
; IeeeMode: 1
; LDSByteSize: 0 bytes/workgroup (compile time only)
; SGPRBlocks: 0
; VGPRBlocks: 0
; NumSGPRsForWavesPerEU: 6
; NumVGPRsForWavesPerEU: 1
; AccumOffset: 4
; Occupancy: 8
; WaveLimiterHint : 0
; COMPUTE_PGM_RSRC2:SCRATCH_EN: 0
; COMPUTE_PGM_RSRC2:USER_SGPR: 2
; COMPUTE_PGM_RSRC2:TRAP_HANDLER: 0
; COMPUTE_PGM_RSRC2:TGID_X_EN: 1
; COMPUTE_PGM_RSRC2:TGID_Y_EN: 0
; COMPUTE_PGM_RSRC2:TGID_Z_EN: 0
; COMPUTE_PGM_RSRC2:TIDIG_COMP_CNT: 0
; COMPUTE_PGM_RSRC3_GFX90A:ACCUM_OFFSET: 0
; COMPUTE_PGM_RSRC3_GFX90A:TG_SPLIT: 0
	.section	.text._ZN7rocprim17ROCPRIM_400000_NS6detail30init_device_scan_by_key_kernelINS1_19lookback_scan_stateINS0_5tupleIJlbEEELb1ELb0EEEPKljNS1_16block_id_wrapperIjLb1EEEEEvT_jjPNSB_10value_typeET0_PNSt15iterator_traitsISE_E10value_typeEmT1_T2_,"axG",@progbits,_ZN7rocprim17ROCPRIM_400000_NS6detail30init_device_scan_by_key_kernelINS1_19lookback_scan_stateINS0_5tupleIJlbEEELb1ELb0EEEPKljNS1_16block_id_wrapperIjLb1EEEEEvT_jjPNSB_10value_typeET0_PNSt15iterator_traitsISE_E10value_typeEmT1_T2_,comdat
	.protected	_ZN7rocprim17ROCPRIM_400000_NS6detail30init_device_scan_by_key_kernelINS1_19lookback_scan_stateINS0_5tupleIJlbEEELb1ELb0EEEPKljNS1_16block_id_wrapperIjLb1EEEEEvT_jjPNSB_10value_typeET0_PNSt15iterator_traitsISE_E10value_typeEmT1_T2_ ; -- Begin function _ZN7rocprim17ROCPRIM_400000_NS6detail30init_device_scan_by_key_kernelINS1_19lookback_scan_stateINS0_5tupleIJlbEEELb1ELb0EEEPKljNS1_16block_id_wrapperIjLb1EEEEEvT_jjPNSB_10value_typeET0_PNSt15iterator_traitsISE_E10value_typeEmT1_T2_
	.globl	_ZN7rocprim17ROCPRIM_400000_NS6detail30init_device_scan_by_key_kernelINS1_19lookback_scan_stateINS0_5tupleIJlbEEELb1ELb0EEEPKljNS1_16block_id_wrapperIjLb1EEEEEvT_jjPNSB_10value_typeET0_PNSt15iterator_traitsISE_E10value_typeEmT1_T2_
	.p2align	8
	.type	_ZN7rocprim17ROCPRIM_400000_NS6detail30init_device_scan_by_key_kernelINS1_19lookback_scan_stateINS0_5tupleIJlbEEELb1ELb0EEEPKljNS1_16block_id_wrapperIjLb1EEEEEvT_jjPNSB_10value_typeET0_PNSt15iterator_traitsISE_E10value_typeEmT1_T2_,@function
_ZN7rocprim17ROCPRIM_400000_NS6detail30init_device_scan_by_key_kernelINS1_19lookback_scan_stateINS0_5tupleIJlbEEELb1ELb0EEEPKljNS1_16block_id_wrapperIjLb1EEEEEvT_jjPNSB_10value_typeET0_PNSt15iterator_traitsISE_E10value_typeEmT1_T2_: ; @_ZN7rocprim17ROCPRIM_400000_NS6detail30init_device_scan_by_key_kernelINS1_19lookback_scan_stateINS0_5tupleIJlbEEELb1ELb0EEEPKljNS1_16block_id_wrapperIjLb1EEEEEvT_jjPNSB_10value_typeET0_PNSt15iterator_traitsISE_E10value_typeEmT1_T2_
; %bb.0:
	s_load_dword s3, s[0:1], 0x5c
	s_load_dwordx8 s[4:11], s[0:1], 0x10
	s_load_dword s20, s[0:1], 0x50
	s_waitcnt lgkmcnt(0)
	s_and_b32 s21, s3, 0xffff
	s_mul_i32 s2, s2, s21
	s_cmp_eq_u64 s[8:9], 0
	v_add_u32_e32 v0, s2, v0
	s_cbranch_scc1 .LBB103_11
; %bb.1:
	s_cmp_lt_u32 s7, s6
	s_cselect_b32 s2, s7, 0
	s_mov_b32 s17, 0
	v_cmp_eq_u32_e32 vcc, s2, v0
	s_and_saveexec_b64 s[2:3], vcc
	s_cbranch_execz .LBB103_10
; %bb.2:
	s_add_i32 s16, s7, 64
	v_mov_b32_e32 v1, s16
	global_load_ubyte v1, v1, s[4:5] sc1
	s_load_dwordx4 s[12:15], s[0:1], 0x0
	s_add_u32 s18, s4, s16
	s_addc_u32 s19, s5, 0
	s_waitcnt vmcnt(0)
	v_cmp_ne_u16_e32 vcc, 0, v1
	v_readfirstlane_b32 s7, v1
	s_cbranch_vccz .LBB103_4
; %bb.3:
	s_and_b32 s7, 0xffff, s7
	s_branch .LBB103_9
.LBB103_4:
	s_mov_b32 s7, 1
	v_mov_b32_e32 v1, 0
.LBB103_5:                              ; =>This Loop Header: Depth=1
                                        ;     Child Loop BB103_6 Depth 2
	s_max_u32 s22, s7, 1
.LBB103_6:                              ;   Parent Loop BB103_5 Depth=1
                                        ; =>  This Inner Loop Header: Depth=2
	s_add_i32 s22, s22, -1
	s_cmp_eq_u32 s22, 0
	s_sleep 1
	s_cbranch_scc0 .LBB103_6
; %bb.7:                                ;   in Loop: Header=BB103_5 Depth=1
	global_load_ubyte v2, v1, s[18:19] sc1
	s_cmp_lt_u32 s7, 32
	s_cselect_b64 s[22:23], -1, 0
	s_cmp_lg_u64 s[22:23], 0
	s_addc_u32 s7, s7, 0
	s_waitcnt vmcnt(0)
	v_cmp_ne_u16_e32 vcc, 0, v2
	v_readfirstlane_b32 s22, v2
	s_cbranch_vccz .LBB103_5
; %bb.8:
	s_and_b32 s7, 0xffff, s22
.LBB103_9:
	s_cmp_eq_u32 s7, 1
	s_waitcnt lgkmcnt(0)
	s_cselect_b32 s7, s13, s15
	s_cselect_b32 s14, s12, s14
	s_lshl_b64 s[12:13], s[16:17], 4
	s_add_u32 s12, s14, s12
	s_addc_u32 s13, s7, s13
	v_mov_b32_e32 v1, 0
	s_waitcnt vmcnt(0)
	global_load_dword v2, v1, s[12:13] sc1
	global_load_dword v3, v1, s[12:13] offset:4 sc1
	global_load_dword v4, v1, s[12:13] offset:8 sc1
	;; [unrolled: 1-line block ×3, first 2 shown]
	s_waitcnt vmcnt(2)
	global_store_dwordx2 v1, v[2:3], s[8:9]
	s_waitcnt vmcnt(2)
	global_store_byte v1, v4, s[8:9] offset:8
.LBB103_10:
	s_or_b64 exec, exec, s[2:3]
.LBB103_11:
	v_cmp_eq_u32_e32 vcc, 0, v0
	s_and_saveexec_b64 s[2:3], vcc
	s_cbranch_execz .LBB103_13
; %bb.12:
	s_load_dwordx2 s[8:9], s[0:1], 0x48
	v_mov_b32_e32 v1, 0
	s_waitcnt lgkmcnt(0)
	global_store_dword v1, v1, s[8:9]
.LBB103_13:
	s_or_b64 exec, exec, s[2:3]
	v_cmp_gt_u32_e32 vcc, s6, v0
	s_and_saveexec_b64 s[2:3], vcc
	s_cbranch_execz .LBB103_15
; %bb.14:
	v_add_u32_e32 v1, 64, v0
	v_mov_b32_e32 v2, 0
	global_store_byte v1, v2, s[4:5]
.LBB103_15:
	s_or_b64 exec, exec, s[2:3]
	v_cmp_gt_u32_e32 vcc, 64, v0
	v_mov_b32_e32 v1, 0
	s_and_saveexec_b64 s[2:3], vcc
	s_cbranch_execz .LBB103_17
; %bb.16:
	v_lshl_add_u64 v[2:3], s[4:5], 0, v[0:1]
	v_mov_b32_e32 v4, 0xff
	global_store_byte v[2:3], v4, off
.LBB103_17:
	s_or_b64 exec, exec, s[2:3]
	s_load_dwordx2 s[2:3], s[0:1], 0x38
	s_waitcnt lgkmcnt(0)
	v_cmp_gt_u64_e32 vcc, s[2:3], v[0:1]
	s_and_saveexec_b64 s[4:5], vcc
	s_cbranch_execz .LBB103_20
; %bb.18:
	s_load_dword s12, s[0:1], 0x40
	s_load_dwordx2 s[6:7], s[0:1], 0x30
	s_mov_b32 s5, 0
	s_mov_b32 s1, s5
	s_mul_i32 s0, s20, s21
	s_waitcnt lgkmcnt(0)
	s_add_i32 s4, s12, -1
	s_lshl_b64 s[4:5], s[4:5], 3
	s_add_u32 s4, s10, s4
	v_mad_u64_u32 v[2:3], s[8:9], s12, v0, 0
	s_addc_u32 s5, s11, s5
	v_lshl_add_u64 v[2:3], v[2:3], 3, s[4:5]
	s_mul_hi_u32 s5, s12, s0
	s_mul_i32 s4, s12, s0
	s_lshl_b64 s[4:5], s[4:5], 3
	s_waitcnt vmcnt(2)
	v_lshl_add_u64 v[4:5], v[0:1], 3, s[6:7]
	s_lshl_b64 s[6:7], s[0:1], 3
	s_mov_b64 s[8:9], 0
.LBB103_19:                             ; =>This Inner Loop Header: Depth=1
	global_load_dwordx2 v[6:7], v[2:3], off
	v_lshl_add_u64 v[0:1], v[0:1], 0, s[0:1]
	v_cmp_le_u64_e32 vcc, s[2:3], v[0:1]
	v_lshl_add_u64 v[2:3], v[2:3], 0, s[4:5]
	s_or_b64 s[8:9], vcc, s[8:9]
	s_waitcnt vmcnt(0)
	global_store_dwordx2 v[4:5], v[6:7], off
	v_lshl_add_u64 v[4:5], v[4:5], 0, s[6:7]
	s_andn2_b64 exec, exec, s[8:9]
	s_cbranch_execnz .LBB103_19
.LBB103_20:
	s_endpgm
	.section	.rodata,"a",@progbits
	.p2align	6, 0x0
	.amdhsa_kernel _ZN7rocprim17ROCPRIM_400000_NS6detail30init_device_scan_by_key_kernelINS1_19lookback_scan_stateINS0_5tupleIJlbEEELb1ELb0EEEPKljNS1_16block_id_wrapperIjLb1EEEEEvT_jjPNSB_10value_typeET0_PNSt15iterator_traitsISE_E10value_typeEmT1_T2_
		.amdhsa_group_segment_fixed_size 0
		.amdhsa_private_segment_fixed_size 0
		.amdhsa_kernarg_size 336
		.amdhsa_user_sgpr_count 2
		.amdhsa_user_sgpr_dispatch_ptr 0
		.amdhsa_user_sgpr_queue_ptr 0
		.amdhsa_user_sgpr_kernarg_segment_ptr 1
		.amdhsa_user_sgpr_dispatch_id 0
		.amdhsa_user_sgpr_kernarg_preload_length 0
		.amdhsa_user_sgpr_kernarg_preload_offset 0
		.amdhsa_user_sgpr_private_segment_size 0
		.amdhsa_uses_dynamic_stack 0
		.amdhsa_enable_private_segment 0
		.amdhsa_system_sgpr_workgroup_id_x 1
		.amdhsa_system_sgpr_workgroup_id_y 0
		.amdhsa_system_sgpr_workgroup_id_z 0
		.amdhsa_system_sgpr_workgroup_info 0
		.amdhsa_system_vgpr_workitem_id 0
		.amdhsa_next_free_vgpr 8
		.amdhsa_next_free_sgpr 24
		.amdhsa_accum_offset 8
		.amdhsa_reserve_vcc 1
		.amdhsa_float_round_mode_32 0
		.amdhsa_float_round_mode_16_64 0
		.amdhsa_float_denorm_mode_32 3
		.amdhsa_float_denorm_mode_16_64 3
		.amdhsa_dx10_clamp 1
		.amdhsa_ieee_mode 1
		.amdhsa_fp16_overflow 0
		.amdhsa_tg_split 0
		.amdhsa_exception_fp_ieee_invalid_op 0
		.amdhsa_exception_fp_denorm_src 0
		.amdhsa_exception_fp_ieee_div_zero 0
		.amdhsa_exception_fp_ieee_overflow 0
		.amdhsa_exception_fp_ieee_underflow 0
		.amdhsa_exception_fp_ieee_inexact 0
		.amdhsa_exception_int_div_zero 0
	.end_amdhsa_kernel
	.section	.text._ZN7rocprim17ROCPRIM_400000_NS6detail30init_device_scan_by_key_kernelINS1_19lookback_scan_stateINS0_5tupleIJlbEEELb1ELb0EEEPKljNS1_16block_id_wrapperIjLb1EEEEEvT_jjPNSB_10value_typeET0_PNSt15iterator_traitsISE_E10value_typeEmT1_T2_,"axG",@progbits,_ZN7rocprim17ROCPRIM_400000_NS6detail30init_device_scan_by_key_kernelINS1_19lookback_scan_stateINS0_5tupleIJlbEEELb1ELb0EEEPKljNS1_16block_id_wrapperIjLb1EEEEEvT_jjPNSB_10value_typeET0_PNSt15iterator_traitsISE_E10value_typeEmT1_T2_,comdat
.Lfunc_end103:
	.size	_ZN7rocprim17ROCPRIM_400000_NS6detail30init_device_scan_by_key_kernelINS1_19lookback_scan_stateINS0_5tupleIJlbEEELb1ELb0EEEPKljNS1_16block_id_wrapperIjLb1EEEEEvT_jjPNSB_10value_typeET0_PNSt15iterator_traitsISE_E10value_typeEmT1_T2_, .Lfunc_end103-_ZN7rocprim17ROCPRIM_400000_NS6detail30init_device_scan_by_key_kernelINS1_19lookback_scan_stateINS0_5tupleIJlbEEELb1ELb0EEEPKljNS1_16block_id_wrapperIjLb1EEEEEvT_jjPNSB_10value_typeET0_PNSt15iterator_traitsISE_E10value_typeEmT1_T2_
                                        ; -- End function
	.section	.AMDGPU.csdata,"",@progbits
; Kernel info:
; codeLenInByte = 608
; NumSgprs: 30
; NumVgprs: 8
; NumAgprs: 0
; TotalNumVgprs: 8
; ScratchSize: 0
; MemoryBound: 0
; FloatMode: 240
; IeeeMode: 1
; LDSByteSize: 0 bytes/workgroup (compile time only)
; SGPRBlocks: 3
; VGPRBlocks: 0
; NumSGPRsForWavesPerEU: 30
; NumVGPRsForWavesPerEU: 8
; AccumOffset: 8
; Occupancy: 8
; WaveLimiterHint : 0
; COMPUTE_PGM_RSRC2:SCRATCH_EN: 0
; COMPUTE_PGM_RSRC2:USER_SGPR: 2
; COMPUTE_PGM_RSRC2:TRAP_HANDLER: 0
; COMPUTE_PGM_RSRC2:TGID_X_EN: 1
; COMPUTE_PGM_RSRC2:TGID_Y_EN: 0
; COMPUTE_PGM_RSRC2:TGID_Z_EN: 0
; COMPUTE_PGM_RSRC2:TIDIG_COMP_CNT: 0
; COMPUTE_PGM_RSRC3_GFX90A:ACCUM_OFFSET: 1
; COMPUTE_PGM_RSRC3_GFX90A:TG_SPLIT: 0
	.section	.text._ZN7rocprim17ROCPRIM_400000_NS6detail30init_device_scan_by_key_kernelINS1_19lookback_scan_stateINS0_5tupleIJlbEEELb1ELb0EEENS1_16block_id_wrapperIjLb1EEEEEvT_jjPNS9_10value_typeET0_,"axG",@progbits,_ZN7rocprim17ROCPRIM_400000_NS6detail30init_device_scan_by_key_kernelINS1_19lookback_scan_stateINS0_5tupleIJlbEEELb1ELb0EEENS1_16block_id_wrapperIjLb1EEEEEvT_jjPNS9_10value_typeET0_,comdat
	.protected	_ZN7rocprim17ROCPRIM_400000_NS6detail30init_device_scan_by_key_kernelINS1_19lookback_scan_stateINS0_5tupleIJlbEEELb1ELb0EEENS1_16block_id_wrapperIjLb1EEEEEvT_jjPNS9_10value_typeET0_ ; -- Begin function _ZN7rocprim17ROCPRIM_400000_NS6detail30init_device_scan_by_key_kernelINS1_19lookback_scan_stateINS0_5tupleIJlbEEELb1ELb0EEENS1_16block_id_wrapperIjLb1EEEEEvT_jjPNS9_10value_typeET0_
	.globl	_ZN7rocprim17ROCPRIM_400000_NS6detail30init_device_scan_by_key_kernelINS1_19lookback_scan_stateINS0_5tupleIJlbEEELb1ELb0EEENS1_16block_id_wrapperIjLb1EEEEEvT_jjPNS9_10value_typeET0_
	.p2align	8
	.type	_ZN7rocprim17ROCPRIM_400000_NS6detail30init_device_scan_by_key_kernelINS1_19lookback_scan_stateINS0_5tupleIJlbEEELb1ELb0EEENS1_16block_id_wrapperIjLb1EEEEEvT_jjPNS9_10value_typeET0_,@function
_ZN7rocprim17ROCPRIM_400000_NS6detail30init_device_scan_by_key_kernelINS1_19lookback_scan_stateINS0_5tupleIJlbEEELb1ELb0EEENS1_16block_id_wrapperIjLb1EEEEEvT_jjPNS9_10value_typeET0_: ; @_ZN7rocprim17ROCPRIM_400000_NS6detail30init_device_scan_by_key_kernelINS1_19lookback_scan_stateINS0_5tupleIJlbEEELb1ELb0EEENS1_16block_id_wrapperIjLb1EEEEEvT_jjPNS9_10value_typeET0_
; %bb.0:
	s_load_dword s3, s[0:1], 0x3c
	s_load_dwordx8 s[4:11], s[0:1], 0x10
	s_waitcnt lgkmcnt(0)
	s_and_b32 s3, s3, 0xffff
	s_mul_i32 s2, s2, s3
	s_cmp_eq_u64 s[8:9], 0
	v_add_u32_e32 v0, s2, v0
	s_cbranch_scc1 .LBB104_11
; %bb.1:
	s_cmp_lt_u32 s7, s6
	s_cselect_b32 s2, s7, 0
	s_mov_b32 s15, 0
	v_cmp_eq_u32_e32 vcc, s2, v0
	s_and_saveexec_b64 s[12:13], vcc
	s_cbranch_execz .LBB104_10
; %bb.2:
	s_add_i32 s14, s7, 64
	v_mov_b32_e32 v1, s14
	global_load_ubyte v1, v1, s[4:5] sc1
	s_load_dwordx4 s[0:3], s[0:1], 0x0
	s_add_u32 s16, s4, s14
	s_addc_u32 s17, s5, 0
	s_waitcnt vmcnt(0)
	v_cmp_ne_u16_e32 vcc, 0, v1
	v_readfirstlane_b32 s7, v1
	s_cbranch_vccz .LBB104_4
; %bb.3:
	s_and_b32 s7, 0xffff, s7
	s_branch .LBB104_9
.LBB104_4:
	s_mov_b32 s7, 1
	v_mov_b32_e32 v1, 0
.LBB104_5:                              ; =>This Loop Header: Depth=1
                                        ;     Child Loop BB104_6 Depth 2
	s_max_u32 s18, s7, 1
.LBB104_6:                              ;   Parent Loop BB104_5 Depth=1
                                        ; =>  This Inner Loop Header: Depth=2
	s_add_i32 s18, s18, -1
	s_cmp_eq_u32 s18, 0
	s_sleep 1
	s_cbranch_scc0 .LBB104_6
; %bb.7:                                ;   in Loop: Header=BB104_5 Depth=1
	global_load_ubyte v2, v1, s[16:17] sc1
	s_cmp_lt_u32 s7, 32
	s_cselect_b64 s[18:19], -1, 0
	s_cmp_lg_u64 s[18:19], 0
	s_addc_u32 s7, s7, 0
	s_waitcnt vmcnt(0)
	v_cmp_ne_u16_e32 vcc, 0, v2
	v_readfirstlane_b32 s18, v2
	s_cbranch_vccz .LBB104_5
; %bb.8:
	s_and_b32 s7, 0xffff, s18
.LBB104_9:
	s_cmp_eq_u32 s7, 1
	s_waitcnt lgkmcnt(0)
	s_cselect_b32 s3, s1, s3
	s_cselect_b32 s2, s0, s2
	s_lshl_b64 s[0:1], s[14:15], 4
	s_add_u32 s0, s2, s0
	s_addc_u32 s1, s3, s1
	v_mov_b32_e32 v1, 0
	s_waitcnt vmcnt(0)
	global_load_dword v2, v1, s[0:1] sc1
	global_load_dword v3, v1, s[0:1] offset:4 sc1
	global_load_dword v4, v1, s[0:1] offset:8 sc1
	;; [unrolled: 1-line block ×3, first 2 shown]
	s_waitcnt vmcnt(2)
	global_store_dwordx2 v1, v[2:3], s[8:9]
	s_waitcnt vmcnt(2)
	global_store_byte v1, v4, s[8:9] offset:8
.LBB104_10:
	s_or_b64 exec, exec, s[12:13]
.LBB104_11:
	v_cmp_eq_u32_e32 vcc, 0, v0
	s_and_saveexec_b64 s[0:1], vcc
	s_cbranch_execnz .LBB104_15
; %bb.12:
	s_or_b64 exec, exec, s[0:1]
	v_cmp_gt_u32_e32 vcc, s6, v0
	s_and_saveexec_b64 s[0:1], vcc
	s_cbranch_execnz .LBB104_16
.LBB104_13:
	s_or_b64 exec, exec, s[0:1]
	v_cmp_gt_u32_e32 vcc, 64, v0
	s_and_saveexec_b64 s[0:1], vcc
	s_cbranch_execnz .LBB104_17
.LBB104_14:
	s_endpgm
.LBB104_15:
	v_mov_b32_e32 v1, 0
	global_store_dword v1, v1, s[10:11]
	s_or_b64 exec, exec, s[0:1]
	v_cmp_gt_u32_e32 vcc, s6, v0
	s_and_saveexec_b64 s[0:1], vcc
	s_cbranch_execz .LBB104_13
.LBB104_16:
	v_add_u32_e32 v1, 64, v0
	v_mov_b32_e32 v2, 0
	global_store_byte v1, v2, s[4:5]
	s_or_b64 exec, exec, s[0:1]
	v_cmp_gt_u32_e32 vcc, 64, v0
	s_and_saveexec_b64 s[0:1], vcc
	s_cbranch_execz .LBB104_14
.LBB104_17:
	v_mov_b32_e32 v1, 0xff
	global_store_byte v0, v1, s[4:5]
	s_endpgm
	.section	.rodata,"a",@progbits
	.p2align	6, 0x0
	.amdhsa_kernel _ZN7rocprim17ROCPRIM_400000_NS6detail30init_device_scan_by_key_kernelINS1_19lookback_scan_stateINS0_5tupleIJlbEEELb1ELb0EEENS1_16block_id_wrapperIjLb1EEEEEvT_jjPNS9_10value_typeET0_
		.amdhsa_group_segment_fixed_size 0
		.amdhsa_private_segment_fixed_size 0
		.amdhsa_kernarg_size 304
		.amdhsa_user_sgpr_count 2
		.amdhsa_user_sgpr_dispatch_ptr 0
		.amdhsa_user_sgpr_queue_ptr 0
		.amdhsa_user_sgpr_kernarg_segment_ptr 1
		.amdhsa_user_sgpr_dispatch_id 0
		.amdhsa_user_sgpr_kernarg_preload_length 0
		.amdhsa_user_sgpr_kernarg_preload_offset 0
		.amdhsa_user_sgpr_private_segment_size 0
		.amdhsa_uses_dynamic_stack 0
		.amdhsa_enable_private_segment 0
		.amdhsa_system_sgpr_workgroup_id_x 1
		.amdhsa_system_sgpr_workgroup_id_y 0
		.amdhsa_system_sgpr_workgroup_id_z 0
		.amdhsa_system_sgpr_workgroup_info 0
		.amdhsa_system_vgpr_workitem_id 0
		.amdhsa_next_free_vgpr 6
		.amdhsa_next_free_sgpr 20
		.amdhsa_accum_offset 8
		.amdhsa_reserve_vcc 1
		.amdhsa_float_round_mode_32 0
		.amdhsa_float_round_mode_16_64 0
		.amdhsa_float_denorm_mode_32 3
		.amdhsa_float_denorm_mode_16_64 3
		.amdhsa_dx10_clamp 1
		.amdhsa_ieee_mode 1
		.amdhsa_fp16_overflow 0
		.amdhsa_tg_split 0
		.amdhsa_exception_fp_ieee_invalid_op 0
		.amdhsa_exception_fp_denorm_src 0
		.amdhsa_exception_fp_ieee_div_zero 0
		.amdhsa_exception_fp_ieee_overflow 0
		.amdhsa_exception_fp_ieee_underflow 0
		.amdhsa_exception_fp_ieee_inexact 0
		.amdhsa_exception_int_div_zero 0
	.end_amdhsa_kernel
	.section	.text._ZN7rocprim17ROCPRIM_400000_NS6detail30init_device_scan_by_key_kernelINS1_19lookback_scan_stateINS0_5tupleIJlbEEELb1ELb0EEENS1_16block_id_wrapperIjLb1EEEEEvT_jjPNS9_10value_typeET0_,"axG",@progbits,_ZN7rocprim17ROCPRIM_400000_NS6detail30init_device_scan_by_key_kernelINS1_19lookback_scan_stateINS0_5tupleIJlbEEELb1ELb0EEENS1_16block_id_wrapperIjLb1EEEEEvT_jjPNS9_10value_typeET0_,comdat
.Lfunc_end104:
	.size	_ZN7rocprim17ROCPRIM_400000_NS6detail30init_device_scan_by_key_kernelINS1_19lookback_scan_stateINS0_5tupleIJlbEEELb1ELb0EEENS1_16block_id_wrapperIjLb1EEEEEvT_jjPNS9_10value_typeET0_, .Lfunc_end104-_ZN7rocprim17ROCPRIM_400000_NS6detail30init_device_scan_by_key_kernelINS1_19lookback_scan_stateINS0_5tupleIJlbEEELb1ELb0EEENS1_16block_id_wrapperIjLb1EEEEEvT_jjPNS9_10value_typeET0_
                                        ; -- End function
	.section	.AMDGPU.csdata,"",@progbits
; Kernel info:
; codeLenInByte = 428
; NumSgprs: 26
; NumVgprs: 6
; NumAgprs: 0
; TotalNumVgprs: 6
; ScratchSize: 0
; MemoryBound: 0
; FloatMode: 240
; IeeeMode: 1
; LDSByteSize: 0 bytes/workgroup (compile time only)
; SGPRBlocks: 3
; VGPRBlocks: 0
; NumSGPRsForWavesPerEU: 26
; NumVGPRsForWavesPerEU: 6
; AccumOffset: 8
; Occupancy: 8
; WaveLimiterHint : 0
; COMPUTE_PGM_RSRC2:SCRATCH_EN: 0
; COMPUTE_PGM_RSRC2:USER_SGPR: 2
; COMPUTE_PGM_RSRC2:TRAP_HANDLER: 0
; COMPUTE_PGM_RSRC2:TGID_X_EN: 1
; COMPUTE_PGM_RSRC2:TGID_Y_EN: 0
; COMPUTE_PGM_RSRC2:TGID_Z_EN: 0
; COMPUTE_PGM_RSRC2:TIDIG_COMP_CNT: 0
; COMPUTE_PGM_RSRC3_GFX90A:ACCUM_OFFSET: 1
; COMPUTE_PGM_RSRC3_GFX90A:TG_SPLIT: 0
	.section	.text._ZN7rocprim17ROCPRIM_400000_NS6detail17trampoline_kernelINS0_14default_configENS1_27scan_by_key_config_selectorIllEEZZNS1_16scan_by_key_implILNS1_25lookback_scan_determinismE0ELb0ES3_PKlN6hipcub16HIPCUB_304000_NS21ConstantInputIteratorIllEEPllNSB_3SumENSB_8EqualityElEE10hipError_tPvRmT2_T3_T4_T5_mT6_T7_P12ihipStream_tbENKUlT_T0_E_clISt17integral_constantIbLb1EESX_EEDaSS_ST_EUlSS_E_NS1_11comp_targetILNS1_3genE0ELNS1_11target_archE4294967295ELNS1_3gpuE0ELNS1_3repE0EEENS1_30default_config_static_selectorELNS0_4arch9wavefront6targetE1EEEvT1_,"axG",@progbits,_ZN7rocprim17ROCPRIM_400000_NS6detail17trampoline_kernelINS0_14default_configENS1_27scan_by_key_config_selectorIllEEZZNS1_16scan_by_key_implILNS1_25lookback_scan_determinismE0ELb0ES3_PKlN6hipcub16HIPCUB_304000_NS21ConstantInputIteratorIllEEPllNSB_3SumENSB_8EqualityElEE10hipError_tPvRmT2_T3_T4_T5_mT6_T7_P12ihipStream_tbENKUlT_T0_E_clISt17integral_constantIbLb1EESX_EEDaSS_ST_EUlSS_E_NS1_11comp_targetILNS1_3genE0ELNS1_11target_archE4294967295ELNS1_3gpuE0ELNS1_3repE0EEENS1_30default_config_static_selectorELNS0_4arch9wavefront6targetE1EEEvT1_,comdat
	.protected	_ZN7rocprim17ROCPRIM_400000_NS6detail17trampoline_kernelINS0_14default_configENS1_27scan_by_key_config_selectorIllEEZZNS1_16scan_by_key_implILNS1_25lookback_scan_determinismE0ELb0ES3_PKlN6hipcub16HIPCUB_304000_NS21ConstantInputIteratorIllEEPllNSB_3SumENSB_8EqualityElEE10hipError_tPvRmT2_T3_T4_T5_mT6_T7_P12ihipStream_tbENKUlT_T0_E_clISt17integral_constantIbLb1EESX_EEDaSS_ST_EUlSS_E_NS1_11comp_targetILNS1_3genE0ELNS1_11target_archE4294967295ELNS1_3gpuE0ELNS1_3repE0EEENS1_30default_config_static_selectorELNS0_4arch9wavefront6targetE1EEEvT1_ ; -- Begin function _ZN7rocprim17ROCPRIM_400000_NS6detail17trampoline_kernelINS0_14default_configENS1_27scan_by_key_config_selectorIllEEZZNS1_16scan_by_key_implILNS1_25lookback_scan_determinismE0ELb0ES3_PKlN6hipcub16HIPCUB_304000_NS21ConstantInputIteratorIllEEPllNSB_3SumENSB_8EqualityElEE10hipError_tPvRmT2_T3_T4_T5_mT6_T7_P12ihipStream_tbENKUlT_T0_E_clISt17integral_constantIbLb1EESX_EEDaSS_ST_EUlSS_E_NS1_11comp_targetILNS1_3genE0ELNS1_11target_archE4294967295ELNS1_3gpuE0ELNS1_3repE0EEENS1_30default_config_static_selectorELNS0_4arch9wavefront6targetE1EEEvT1_
	.globl	_ZN7rocprim17ROCPRIM_400000_NS6detail17trampoline_kernelINS0_14default_configENS1_27scan_by_key_config_selectorIllEEZZNS1_16scan_by_key_implILNS1_25lookback_scan_determinismE0ELb0ES3_PKlN6hipcub16HIPCUB_304000_NS21ConstantInputIteratorIllEEPllNSB_3SumENSB_8EqualityElEE10hipError_tPvRmT2_T3_T4_T5_mT6_T7_P12ihipStream_tbENKUlT_T0_E_clISt17integral_constantIbLb1EESX_EEDaSS_ST_EUlSS_E_NS1_11comp_targetILNS1_3genE0ELNS1_11target_archE4294967295ELNS1_3gpuE0ELNS1_3repE0EEENS1_30default_config_static_selectorELNS0_4arch9wavefront6targetE1EEEvT1_
	.p2align	8
	.type	_ZN7rocprim17ROCPRIM_400000_NS6detail17trampoline_kernelINS0_14default_configENS1_27scan_by_key_config_selectorIllEEZZNS1_16scan_by_key_implILNS1_25lookback_scan_determinismE0ELb0ES3_PKlN6hipcub16HIPCUB_304000_NS21ConstantInputIteratorIllEEPllNSB_3SumENSB_8EqualityElEE10hipError_tPvRmT2_T3_T4_T5_mT6_T7_P12ihipStream_tbENKUlT_T0_E_clISt17integral_constantIbLb1EESX_EEDaSS_ST_EUlSS_E_NS1_11comp_targetILNS1_3genE0ELNS1_11target_archE4294967295ELNS1_3gpuE0ELNS1_3repE0EEENS1_30default_config_static_selectorELNS0_4arch9wavefront6targetE1EEEvT1_,@function
_ZN7rocprim17ROCPRIM_400000_NS6detail17trampoline_kernelINS0_14default_configENS1_27scan_by_key_config_selectorIllEEZZNS1_16scan_by_key_implILNS1_25lookback_scan_determinismE0ELb0ES3_PKlN6hipcub16HIPCUB_304000_NS21ConstantInputIteratorIllEEPllNSB_3SumENSB_8EqualityElEE10hipError_tPvRmT2_T3_T4_T5_mT6_T7_P12ihipStream_tbENKUlT_T0_E_clISt17integral_constantIbLb1EESX_EEDaSS_ST_EUlSS_E_NS1_11comp_targetILNS1_3genE0ELNS1_11target_archE4294967295ELNS1_3gpuE0ELNS1_3repE0EEENS1_30default_config_static_selectorELNS0_4arch9wavefront6targetE1EEEvT1_: ; @_ZN7rocprim17ROCPRIM_400000_NS6detail17trampoline_kernelINS0_14default_configENS1_27scan_by_key_config_selectorIllEEZZNS1_16scan_by_key_implILNS1_25lookback_scan_determinismE0ELb0ES3_PKlN6hipcub16HIPCUB_304000_NS21ConstantInputIteratorIllEEPllNSB_3SumENSB_8EqualityElEE10hipError_tPvRmT2_T3_T4_T5_mT6_T7_P12ihipStream_tbENKUlT_T0_E_clISt17integral_constantIbLb1EESX_EEDaSS_ST_EUlSS_E_NS1_11comp_targetILNS1_3genE0ELNS1_11target_archE4294967295ELNS1_3gpuE0ELNS1_3repE0EEENS1_30default_config_static_selectorELNS0_4arch9wavefront6targetE1EEEvT1_
; %bb.0:
	.section	.rodata,"a",@progbits
	.p2align	6, 0x0
	.amdhsa_kernel _ZN7rocprim17ROCPRIM_400000_NS6detail17trampoline_kernelINS0_14default_configENS1_27scan_by_key_config_selectorIllEEZZNS1_16scan_by_key_implILNS1_25lookback_scan_determinismE0ELb0ES3_PKlN6hipcub16HIPCUB_304000_NS21ConstantInputIteratorIllEEPllNSB_3SumENSB_8EqualityElEE10hipError_tPvRmT2_T3_T4_T5_mT6_T7_P12ihipStream_tbENKUlT_T0_E_clISt17integral_constantIbLb1EESX_EEDaSS_ST_EUlSS_E_NS1_11comp_targetILNS1_3genE0ELNS1_11target_archE4294967295ELNS1_3gpuE0ELNS1_3repE0EEENS1_30default_config_static_selectorELNS0_4arch9wavefront6targetE1EEEvT1_
		.amdhsa_group_segment_fixed_size 0
		.amdhsa_private_segment_fixed_size 0
		.amdhsa_kernarg_size 144
		.amdhsa_user_sgpr_count 2
		.amdhsa_user_sgpr_dispatch_ptr 0
		.amdhsa_user_sgpr_queue_ptr 0
		.amdhsa_user_sgpr_kernarg_segment_ptr 1
		.amdhsa_user_sgpr_dispatch_id 0
		.amdhsa_user_sgpr_kernarg_preload_length 0
		.amdhsa_user_sgpr_kernarg_preload_offset 0
		.amdhsa_user_sgpr_private_segment_size 0
		.amdhsa_uses_dynamic_stack 0
		.amdhsa_enable_private_segment 0
		.amdhsa_system_sgpr_workgroup_id_x 1
		.amdhsa_system_sgpr_workgroup_id_y 0
		.amdhsa_system_sgpr_workgroup_id_z 0
		.amdhsa_system_sgpr_workgroup_info 0
		.amdhsa_system_vgpr_workitem_id 0
		.amdhsa_next_free_vgpr 1
		.amdhsa_next_free_sgpr 0
		.amdhsa_accum_offset 4
		.amdhsa_reserve_vcc 0
		.amdhsa_float_round_mode_32 0
		.amdhsa_float_round_mode_16_64 0
		.amdhsa_float_denorm_mode_32 3
		.amdhsa_float_denorm_mode_16_64 3
		.amdhsa_dx10_clamp 1
		.amdhsa_ieee_mode 1
		.amdhsa_fp16_overflow 0
		.amdhsa_tg_split 0
		.amdhsa_exception_fp_ieee_invalid_op 0
		.amdhsa_exception_fp_denorm_src 0
		.amdhsa_exception_fp_ieee_div_zero 0
		.amdhsa_exception_fp_ieee_overflow 0
		.amdhsa_exception_fp_ieee_underflow 0
		.amdhsa_exception_fp_ieee_inexact 0
		.amdhsa_exception_int_div_zero 0
	.end_amdhsa_kernel
	.section	.text._ZN7rocprim17ROCPRIM_400000_NS6detail17trampoline_kernelINS0_14default_configENS1_27scan_by_key_config_selectorIllEEZZNS1_16scan_by_key_implILNS1_25lookback_scan_determinismE0ELb0ES3_PKlN6hipcub16HIPCUB_304000_NS21ConstantInputIteratorIllEEPllNSB_3SumENSB_8EqualityElEE10hipError_tPvRmT2_T3_T4_T5_mT6_T7_P12ihipStream_tbENKUlT_T0_E_clISt17integral_constantIbLb1EESX_EEDaSS_ST_EUlSS_E_NS1_11comp_targetILNS1_3genE0ELNS1_11target_archE4294967295ELNS1_3gpuE0ELNS1_3repE0EEENS1_30default_config_static_selectorELNS0_4arch9wavefront6targetE1EEEvT1_,"axG",@progbits,_ZN7rocprim17ROCPRIM_400000_NS6detail17trampoline_kernelINS0_14default_configENS1_27scan_by_key_config_selectorIllEEZZNS1_16scan_by_key_implILNS1_25lookback_scan_determinismE0ELb0ES3_PKlN6hipcub16HIPCUB_304000_NS21ConstantInputIteratorIllEEPllNSB_3SumENSB_8EqualityElEE10hipError_tPvRmT2_T3_T4_T5_mT6_T7_P12ihipStream_tbENKUlT_T0_E_clISt17integral_constantIbLb1EESX_EEDaSS_ST_EUlSS_E_NS1_11comp_targetILNS1_3genE0ELNS1_11target_archE4294967295ELNS1_3gpuE0ELNS1_3repE0EEENS1_30default_config_static_selectorELNS0_4arch9wavefront6targetE1EEEvT1_,comdat
.Lfunc_end105:
	.size	_ZN7rocprim17ROCPRIM_400000_NS6detail17trampoline_kernelINS0_14default_configENS1_27scan_by_key_config_selectorIllEEZZNS1_16scan_by_key_implILNS1_25lookback_scan_determinismE0ELb0ES3_PKlN6hipcub16HIPCUB_304000_NS21ConstantInputIteratorIllEEPllNSB_3SumENSB_8EqualityElEE10hipError_tPvRmT2_T3_T4_T5_mT6_T7_P12ihipStream_tbENKUlT_T0_E_clISt17integral_constantIbLb1EESX_EEDaSS_ST_EUlSS_E_NS1_11comp_targetILNS1_3genE0ELNS1_11target_archE4294967295ELNS1_3gpuE0ELNS1_3repE0EEENS1_30default_config_static_selectorELNS0_4arch9wavefront6targetE1EEEvT1_, .Lfunc_end105-_ZN7rocprim17ROCPRIM_400000_NS6detail17trampoline_kernelINS0_14default_configENS1_27scan_by_key_config_selectorIllEEZZNS1_16scan_by_key_implILNS1_25lookback_scan_determinismE0ELb0ES3_PKlN6hipcub16HIPCUB_304000_NS21ConstantInputIteratorIllEEPllNSB_3SumENSB_8EqualityElEE10hipError_tPvRmT2_T3_T4_T5_mT6_T7_P12ihipStream_tbENKUlT_T0_E_clISt17integral_constantIbLb1EESX_EEDaSS_ST_EUlSS_E_NS1_11comp_targetILNS1_3genE0ELNS1_11target_archE4294967295ELNS1_3gpuE0ELNS1_3repE0EEENS1_30default_config_static_selectorELNS0_4arch9wavefront6targetE1EEEvT1_
                                        ; -- End function
	.section	.AMDGPU.csdata,"",@progbits
; Kernel info:
; codeLenInByte = 0
; NumSgprs: 6
; NumVgprs: 0
; NumAgprs: 0
; TotalNumVgprs: 0
; ScratchSize: 0
; MemoryBound: 0
; FloatMode: 240
; IeeeMode: 1
; LDSByteSize: 0 bytes/workgroup (compile time only)
; SGPRBlocks: 0
; VGPRBlocks: 0
; NumSGPRsForWavesPerEU: 6
; NumVGPRsForWavesPerEU: 1
; AccumOffset: 4
; Occupancy: 8
; WaveLimiterHint : 0
; COMPUTE_PGM_RSRC2:SCRATCH_EN: 0
; COMPUTE_PGM_RSRC2:USER_SGPR: 2
; COMPUTE_PGM_RSRC2:TRAP_HANDLER: 0
; COMPUTE_PGM_RSRC2:TGID_X_EN: 1
; COMPUTE_PGM_RSRC2:TGID_Y_EN: 0
; COMPUTE_PGM_RSRC2:TGID_Z_EN: 0
; COMPUTE_PGM_RSRC2:TIDIG_COMP_CNT: 0
; COMPUTE_PGM_RSRC3_GFX90A:ACCUM_OFFSET: 0
; COMPUTE_PGM_RSRC3_GFX90A:TG_SPLIT: 0
	.section	.text._ZN7rocprim17ROCPRIM_400000_NS6detail17trampoline_kernelINS0_14default_configENS1_27scan_by_key_config_selectorIllEEZZNS1_16scan_by_key_implILNS1_25lookback_scan_determinismE0ELb0ES3_PKlN6hipcub16HIPCUB_304000_NS21ConstantInputIteratorIllEEPllNSB_3SumENSB_8EqualityElEE10hipError_tPvRmT2_T3_T4_T5_mT6_T7_P12ihipStream_tbENKUlT_T0_E_clISt17integral_constantIbLb1EESX_EEDaSS_ST_EUlSS_E_NS1_11comp_targetILNS1_3genE10ELNS1_11target_archE1201ELNS1_3gpuE5ELNS1_3repE0EEENS1_30default_config_static_selectorELNS0_4arch9wavefront6targetE1EEEvT1_,"axG",@progbits,_ZN7rocprim17ROCPRIM_400000_NS6detail17trampoline_kernelINS0_14default_configENS1_27scan_by_key_config_selectorIllEEZZNS1_16scan_by_key_implILNS1_25lookback_scan_determinismE0ELb0ES3_PKlN6hipcub16HIPCUB_304000_NS21ConstantInputIteratorIllEEPllNSB_3SumENSB_8EqualityElEE10hipError_tPvRmT2_T3_T4_T5_mT6_T7_P12ihipStream_tbENKUlT_T0_E_clISt17integral_constantIbLb1EESX_EEDaSS_ST_EUlSS_E_NS1_11comp_targetILNS1_3genE10ELNS1_11target_archE1201ELNS1_3gpuE5ELNS1_3repE0EEENS1_30default_config_static_selectorELNS0_4arch9wavefront6targetE1EEEvT1_,comdat
	.protected	_ZN7rocprim17ROCPRIM_400000_NS6detail17trampoline_kernelINS0_14default_configENS1_27scan_by_key_config_selectorIllEEZZNS1_16scan_by_key_implILNS1_25lookback_scan_determinismE0ELb0ES3_PKlN6hipcub16HIPCUB_304000_NS21ConstantInputIteratorIllEEPllNSB_3SumENSB_8EqualityElEE10hipError_tPvRmT2_T3_T4_T5_mT6_T7_P12ihipStream_tbENKUlT_T0_E_clISt17integral_constantIbLb1EESX_EEDaSS_ST_EUlSS_E_NS1_11comp_targetILNS1_3genE10ELNS1_11target_archE1201ELNS1_3gpuE5ELNS1_3repE0EEENS1_30default_config_static_selectorELNS0_4arch9wavefront6targetE1EEEvT1_ ; -- Begin function _ZN7rocprim17ROCPRIM_400000_NS6detail17trampoline_kernelINS0_14default_configENS1_27scan_by_key_config_selectorIllEEZZNS1_16scan_by_key_implILNS1_25lookback_scan_determinismE0ELb0ES3_PKlN6hipcub16HIPCUB_304000_NS21ConstantInputIteratorIllEEPllNSB_3SumENSB_8EqualityElEE10hipError_tPvRmT2_T3_T4_T5_mT6_T7_P12ihipStream_tbENKUlT_T0_E_clISt17integral_constantIbLb1EESX_EEDaSS_ST_EUlSS_E_NS1_11comp_targetILNS1_3genE10ELNS1_11target_archE1201ELNS1_3gpuE5ELNS1_3repE0EEENS1_30default_config_static_selectorELNS0_4arch9wavefront6targetE1EEEvT1_
	.globl	_ZN7rocprim17ROCPRIM_400000_NS6detail17trampoline_kernelINS0_14default_configENS1_27scan_by_key_config_selectorIllEEZZNS1_16scan_by_key_implILNS1_25lookback_scan_determinismE0ELb0ES3_PKlN6hipcub16HIPCUB_304000_NS21ConstantInputIteratorIllEEPllNSB_3SumENSB_8EqualityElEE10hipError_tPvRmT2_T3_T4_T5_mT6_T7_P12ihipStream_tbENKUlT_T0_E_clISt17integral_constantIbLb1EESX_EEDaSS_ST_EUlSS_E_NS1_11comp_targetILNS1_3genE10ELNS1_11target_archE1201ELNS1_3gpuE5ELNS1_3repE0EEENS1_30default_config_static_selectorELNS0_4arch9wavefront6targetE1EEEvT1_
	.p2align	8
	.type	_ZN7rocprim17ROCPRIM_400000_NS6detail17trampoline_kernelINS0_14default_configENS1_27scan_by_key_config_selectorIllEEZZNS1_16scan_by_key_implILNS1_25lookback_scan_determinismE0ELb0ES3_PKlN6hipcub16HIPCUB_304000_NS21ConstantInputIteratorIllEEPllNSB_3SumENSB_8EqualityElEE10hipError_tPvRmT2_T3_T4_T5_mT6_T7_P12ihipStream_tbENKUlT_T0_E_clISt17integral_constantIbLb1EESX_EEDaSS_ST_EUlSS_E_NS1_11comp_targetILNS1_3genE10ELNS1_11target_archE1201ELNS1_3gpuE5ELNS1_3repE0EEENS1_30default_config_static_selectorELNS0_4arch9wavefront6targetE1EEEvT1_,@function
_ZN7rocprim17ROCPRIM_400000_NS6detail17trampoline_kernelINS0_14default_configENS1_27scan_by_key_config_selectorIllEEZZNS1_16scan_by_key_implILNS1_25lookback_scan_determinismE0ELb0ES3_PKlN6hipcub16HIPCUB_304000_NS21ConstantInputIteratorIllEEPllNSB_3SumENSB_8EqualityElEE10hipError_tPvRmT2_T3_T4_T5_mT6_T7_P12ihipStream_tbENKUlT_T0_E_clISt17integral_constantIbLb1EESX_EEDaSS_ST_EUlSS_E_NS1_11comp_targetILNS1_3genE10ELNS1_11target_archE1201ELNS1_3gpuE5ELNS1_3repE0EEENS1_30default_config_static_selectorELNS0_4arch9wavefront6targetE1EEEvT1_: ; @_ZN7rocprim17ROCPRIM_400000_NS6detail17trampoline_kernelINS0_14default_configENS1_27scan_by_key_config_selectorIllEEZZNS1_16scan_by_key_implILNS1_25lookback_scan_determinismE0ELb0ES3_PKlN6hipcub16HIPCUB_304000_NS21ConstantInputIteratorIllEEPllNSB_3SumENSB_8EqualityElEE10hipError_tPvRmT2_T3_T4_T5_mT6_T7_P12ihipStream_tbENKUlT_T0_E_clISt17integral_constantIbLb1EESX_EEDaSS_ST_EUlSS_E_NS1_11comp_targetILNS1_3genE10ELNS1_11target_archE1201ELNS1_3gpuE5ELNS1_3repE0EEENS1_30default_config_static_selectorELNS0_4arch9wavefront6targetE1EEEvT1_
; %bb.0:
	.section	.rodata,"a",@progbits
	.p2align	6, 0x0
	.amdhsa_kernel _ZN7rocprim17ROCPRIM_400000_NS6detail17trampoline_kernelINS0_14default_configENS1_27scan_by_key_config_selectorIllEEZZNS1_16scan_by_key_implILNS1_25lookback_scan_determinismE0ELb0ES3_PKlN6hipcub16HIPCUB_304000_NS21ConstantInputIteratorIllEEPllNSB_3SumENSB_8EqualityElEE10hipError_tPvRmT2_T3_T4_T5_mT6_T7_P12ihipStream_tbENKUlT_T0_E_clISt17integral_constantIbLb1EESX_EEDaSS_ST_EUlSS_E_NS1_11comp_targetILNS1_3genE10ELNS1_11target_archE1201ELNS1_3gpuE5ELNS1_3repE0EEENS1_30default_config_static_selectorELNS0_4arch9wavefront6targetE1EEEvT1_
		.amdhsa_group_segment_fixed_size 0
		.amdhsa_private_segment_fixed_size 0
		.amdhsa_kernarg_size 144
		.amdhsa_user_sgpr_count 2
		.amdhsa_user_sgpr_dispatch_ptr 0
		.amdhsa_user_sgpr_queue_ptr 0
		.amdhsa_user_sgpr_kernarg_segment_ptr 1
		.amdhsa_user_sgpr_dispatch_id 0
		.amdhsa_user_sgpr_kernarg_preload_length 0
		.amdhsa_user_sgpr_kernarg_preload_offset 0
		.amdhsa_user_sgpr_private_segment_size 0
		.amdhsa_uses_dynamic_stack 0
		.amdhsa_enable_private_segment 0
		.amdhsa_system_sgpr_workgroup_id_x 1
		.amdhsa_system_sgpr_workgroup_id_y 0
		.amdhsa_system_sgpr_workgroup_id_z 0
		.amdhsa_system_sgpr_workgroup_info 0
		.amdhsa_system_vgpr_workitem_id 0
		.amdhsa_next_free_vgpr 1
		.amdhsa_next_free_sgpr 0
		.amdhsa_accum_offset 4
		.amdhsa_reserve_vcc 0
		.amdhsa_float_round_mode_32 0
		.amdhsa_float_round_mode_16_64 0
		.amdhsa_float_denorm_mode_32 3
		.amdhsa_float_denorm_mode_16_64 3
		.amdhsa_dx10_clamp 1
		.amdhsa_ieee_mode 1
		.amdhsa_fp16_overflow 0
		.amdhsa_tg_split 0
		.amdhsa_exception_fp_ieee_invalid_op 0
		.amdhsa_exception_fp_denorm_src 0
		.amdhsa_exception_fp_ieee_div_zero 0
		.amdhsa_exception_fp_ieee_overflow 0
		.amdhsa_exception_fp_ieee_underflow 0
		.amdhsa_exception_fp_ieee_inexact 0
		.amdhsa_exception_int_div_zero 0
	.end_amdhsa_kernel
	.section	.text._ZN7rocprim17ROCPRIM_400000_NS6detail17trampoline_kernelINS0_14default_configENS1_27scan_by_key_config_selectorIllEEZZNS1_16scan_by_key_implILNS1_25lookback_scan_determinismE0ELb0ES3_PKlN6hipcub16HIPCUB_304000_NS21ConstantInputIteratorIllEEPllNSB_3SumENSB_8EqualityElEE10hipError_tPvRmT2_T3_T4_T5_mT6_T7_P12ihipStream_tbENKUlT_T0_E_clISt17integral_constantIbLb1EESX_EEDaSS_ST_EUlSS_E_NS1_11comp_targetILNS1_3genE10ELNS1_11target_archE1201ELNS1_3gpuE5ELNS1_3repE0EEENS1_30default_config_static_selectorELNS0_4arch9wavefront6targetE1EEEvT1_,"axG",@progbits,_ZN7rocprim17ROCPRIM_400000_NS6detail17trampoline_kernelINS0_14default_configENS1_27scan_by_key_config_selectorIllEEZZNS1_16scan_by_key_implILNS1_25lookback_scan_determinismE0ELb0ES3_PKlN6hipcub16HIPCUB_304000_NS21ConstantInputIteratorIllEEPllNSB_3SumENSB_8EqualityElEE10hipError_tPvRmT2_T3_T4_T5_mT6_T7_P12ihipStream_tbENKUlT_T0_E_clISt17integral_constantIbLb1EESX_EEDaSS_ST_EUlSS_E_NS1_11comp_targetILNS1_3genE10ELNS1_11target_archE1201ELNS1_3gpuE5ELNS1_3repE0EEENS1_30default_config_static_selectorELNS0_4arch9wavefront6targetE1EEEvT1_,comdat
.Lfunc_end106:
	.size	_ZN7rocprim17ROCPRIM_400000_NS6detail17trampoline_kernelINS0_14default_configENS1_27scan_by_key_config_selectorIllEEZZNS1_16scan_by_key_implILNS1_25lookback_scan_determinismE0ELb0ES3_PKlN6hipcub16HIPCUB_304000_NS21ConstantInputIteratorIllEEPllNSB_3SumENSB_8EqualityElEE10hipError_tPvRmT2_T3_T4_T5_mT6_T7_P12ihipStream_tbENKUlT_T0_E_clISt17integral_constantIbLb1EESX_EEDaSS_ST_EUlSS_E_NS1_11comp_targetILNS1_3genE10ELNS1_11target_archE1201ELNS1_3gpuE5ELNS1_3repE0EEENS1_30default_config_static_selectorELNS0_4arch9wavefront6targetE1EEEvT1_, .Lfunc_end106-_ZN7rocprim17ROCPRIM_400000_NS6detail17trampoline_kernelINS0_14default_configENS1_27scan_by_key_config_selectorIllEEZZNS1_16scan_by_key_implILNS1_25lookback_scan_determinismE0ELb0ES3_PKlN6hipcub16HIPCUB_304000_NS21ConstantInputIteratorIllEEPllNSB_3SumENSB_8EqualityElEE10hipError_tPvRmT2_T3_T4_T5_mT6_T7_P12ihipStream_tbENKUlT_T0_E_clISt17integral_constantIbLb1EESX_EEDaSS_ST_EUlSS_E_NS1_11comp_targetILNS1_3genE10ELNS1_11target_archE1201ELNS1_3gpuE5ELNS1_3repE0EEENS1_30default_config_static_selectorELNS0_4arch9wavefront6targetE1EEEvT1_
                                        ; -- End function
	.section	.AMDGPU.csdata,"",@progbits
; Kernel info:
; codeLenInByte = 0
; NumSgprs: 6
; NumVgprs: 0
; NumAgprs: 0
; TotalNumVgprs: 0
; ScratchSize: 0
; MemoryBound: 0
; FloatMode: 240
; IeeeMode: 1
; LDSByteSize: 0 bytes/workgroup (compile time only)
; SGPRBlocks: 0
; VGPRBlocks: 0
; NumSGPRsForWavesPerEU: 6
; NumVGPRsForWavesPerEU: 1
; AccumOffset: 4
; Occupancy: 8
; WaveLimiterHint : 0
; COMPUTE_PGM_RSRC2:SCRATCH_EN: 0
; COMPUTE_PGM_RSRC2:USER_SGPR: 2
; COMPUTE_PGM_RSRC2:TRAP_HANDLER: 0
; COMPUTE_PGM_RSRC2:TGID_X_EN: 1
; COMPUTE_PGM_RSRC2:TGID_Y_EN: 0
; COMPUTE_PGM_RSRC2:TGID_Z_EN: 0
; COMPUTE_PGM_RSRC2:TIDIG_COMP_CNT: 0
; COMPUTE_PGM_RSRC3_GFX90A:ACCUM_OFFSET: 0
; COMPUTE_PGM_RSRC3_GFX90A:TG_SPLIT: 0
	.section	.text._ZN7rocprim17ROCPRIM_400000_NS6detail17trampoline_kernelINS0_14default_configENS1_27scan_by_key_config_selectorIllEEZZNS1_16scan_by_key_implILNS1_25lookback_scan_determinismE0ELb0ES3_PKlN6hipcub16HIPCUB_304000_NS21ConstantInputIteratorIllEEPllNSB_3SumENSB_8EqualityElEE10hipError_tPvRmT2_T3_T4_T5_mT6_T7_P12ihipStream_tbENKUlT_T0_E_clISt17integral_constantIbLb1EESX_EEDaSS_ST_EUlSS_E_NS1_11comp_targetILNS1_3genE5ELNS1_11target_archE942ELNS1_3gpuE9ELNS1_3repE0EEENS1_30default_config_static_selectorELNS0_4arch9wavefront6targetE1EEEvT1_,"axG",@progbits,_ZN7rocprim17ROCPRIM_400000_NS6detail17trampoline_kernelINS0_14default_configENS1_27scan_by_key_config_selectorIllEEZZNS1_16scan_by_key_implILNS1_25lookback_scan_determinismE0ELb0ES3_PKlN6hipcub16HIPCUB_304000_NS21ConstantInputIteratorIllEEPllNSB_3SumENSB_8EqualityElEE10hipError_tPvRmT2_T3_T4_T5_mT6_T7_P12ihipStream_tbENKUlT_T0_E_clISt17integral_constantIbLb1EESX_EEDaSS_ST_EUlSS_E_NS1_11comp_targetILNS1_3genE5ELNS1_11target_archE942ELNS1_3gpuE9ELNS1_3repE0EEENS1_30default_config_static_selectorELNS0_4arch9wavefront6targetE1EEEvT1_,comdat
	.protected	_ZN7rocprim17ROCPRIM_400000_NS6detail17trampoline_kernelINS0_14default_configENS1_27scan_by_key_config_selectorIllEEZZNS1_16scan_by_key_implILNS1_25lookback_scan_determinismE0ELb0ES3_PKlN6hipcub16HIPCUB_304000_NS21ConstantInputIteratorIllEEPllNSB_3SumENSB_8EqualityElEE10hipError_tPvRmT2_T3_T4_T5_mT6_T7_P12ihipStream_tbENKUlT_T0_E_clISt17integral_constantIbLb1EESX_EEDaSS_ST_EUlSS_E_NS1_11comp_targetILNS1_3genE5ELNS1_11target_archE942ELNS1_3gpuE9ELNS1_3repE0EEENS1_30default_config_static_selectorELNS0_4arch9wavefront6targetE1EEEvT1_ ; -- Begin function _ZN7rocprim17ROCPRIM_400000_NS6detail17trampoline_kernelINS0_14default_configENS1_27scan_by_key_config_selectorIllEEZZNS1_16scan_by_key_implILNS1_25lookback_scan_determinismE0ELb0ES3_PKlN6hipcub16HIPCUB_304000_NS21ConstantInputIteratorIllEEPllNSB_3SumENSB_8EqualityElEE10hipError_tPvRmT2_T3_T4_T5_mT6_T7_P12ihipStream_tbENKUlT_T0_E_clISt17integral_constantIbLb1EESX_EEDaSS_ST_EUlSS_E_NS1_11comp_targetILNS1_3genE5ELNS1_11target_archE942ELNS1_3gpuE9ELNS1_3repE0EEENS1_30default_config_static_selectorELNS0_4arch9wavefront6targetE1EEEvT1_
	.globl	_ZN7rocprim17ROCPRIM_400000_NS6detail17trampoline_kernelINS0_14default_configENS1_27scan_by_key_config_selectorIllEEZZNS1_16scan_by_key_implILNS1_25lookback_scan_determinismE0ELb0ES3_PKlN6hipcub16HIPCUB_304000_NS21ConstantInputIteratorIllEEPllNSB_3SumENSB_8EqualityElEE10hipError_tPvRmT2_T3_T4_T5_mT6_T7_P12ihipStream_tbENKUlT_T0_E_clISt17integral_constantIbLb1EESX_EEDaSS_ST_EUlSS_E_NS1_11comp_targetILNS1_3genE5ELNS1_11target_archE942ELNS1_3gpuE9ELNS1_3repE0EEENS1_30default_config_static_selectorELNS0_4arch9wavefront6targetE1EEEvT1_
	.p2align	8
	.type	_ZN7rocprim17ROCPRIM_400000_NS6detail17trampoline_kernelINS0_14default_configENS1_27scan_by_key_config_selectorIllEEZZNS1_16scan_by_key_implILNS1_25lookback_scan_determinismE0ELb0ES3_PKlN6hipcub16HIPCUB_304000_NS21ConstantInputIteratorIllEEPllNSB_3SumENSB_8EqualityElEE10hipError_tPvRmT2_T3_T4_T5_mT6_T7_P12ihipStream_tbENKUlT_T0_E_clISt17integral_constantIbLb1EESX_EEDaSS_ST_EUlSS_E_NS1_11comp_targetILNS1_3genE5ELNS1_11target_archE942ELNS1_3gpuE9ELNS1_3repE0EEENS1_30default_config_static_selectorELNS0_4arch9wavefront6targetE1EEEvT1_,@function
_ZN7rocprim17ROCPRIM_400000_NS6detail17trampoline_kernelINS0_14default_configENS1_27scan_by_key_config_selectorIllEEZZNS1_16scan_by_key_implILNS1_25lookback_scan_determinismE0ELb0ES3_PKlN6hipcub16HIPCUB_304000_NS21ConstantInputIteratorIllEEPllNSB_3SumENSB_8EqualityElEE10hipError_tPvRmT2_T3_T4_T5_mT6_T7_P12ihipStream_tbENKUlT_T0_E_clISt17integral_constantIbLb1EESX_EEDaSS_ST_EUlSS_E_NS1_11comp_targetILNS1_3genE5ELNS1_11target_archE942ELNS1_3gpuE9ELNS1_3repE0EEENS1_30default_config_static_selectorELNS0_4arch9wavefront6targetE1EEEvT1_: ; @_ZN7rocprim17ROCPRIM_400000_NS6detail17trampoline_kernelINS0_14default_configENS1_27scan_by_key_config_selectorIllEEZZNS1_16scan_by_key_implILNS1_25lookback_scan_determinismE0ELb0ES3_PKlN6hipcub16HIPCUB_304000_NS21ConstantInputIteratorIllEEPllNSB_3SumENSB_8EqualityElEE10hipError_tPvRmT2_T3_T4_T5_mT6_T7_P12ihipStream_tbENKUlT_T0_E_clISt17integral_constantIbLb1EESX_EEDaSS_ST_EUlSS_E_NS1_11comp_targetILNS1_3genE5ELNS1_11target_archE942ELNS1_3gpuE9ELNS1_3repE0EEENS1_30default_config_static_selectorELNS0_4arch9wavefront6targetE1EEEvT1_
; %bb.0:
	s_load_dwordx4 s[8:11], s[0:1], 0x0
	s_load_dwordx2 s[6:7], s[0:1], 0x10
	s_load_dwordx2 s[38:39], s[0:1], 0x20
	s_load_dwordx8 s[40:47], s[0:1], 0x38
	s_load_dwordx2 s[58:59], s[0:1], 0x58
	v_cmp_ne_u32_e64 s[4:5], 0, v0
	v_cmp_eq_u32_e64 s[36:37], 0, v0
	s_and_saveexec_b64 s[2:3], s[36:37]
	s_cbranch_execz .LBB107_4
; %bb.1:
	s_mov_b64 s[14:15], exec
	v_mbcnt_lo_u32_b32 v1, s14, 0
	v_mbcnt_hi_u32_b32 v1, s15, v1
	v_cmp_eq_u32_e32 vcc, 0, v1
                                        ; implicit-def: $vgpr2
	s_and_saveexec_b64 s[12:13], vcc
	s_cbranch_execz .LBB107_3
; %bb.2:
	s_load_dwordx2 s[16:17], s[0:1], 0x88
	s_bcnt1_i32_b64 s14, s[14:15]
	v_mov_b32_e32 v2, 0
	v_mov_b32_e32 v3, s14
	s_waitcnt lgkmcnt(0)
	global_atomic_add v2, v2, v3, s[16:17] sc0
.LBB107_3:
	s_or_b64 exec, exec, s[12:13]
	s_waitcnt vmcnt(0)
	v_readfirstlane_b32 s12, v2
	v_mov_b32_e32 v2, 0
	s_nop 0
	v_add_u32_e32 v1, s12, v1
	ds_write_b32 v2, v1
.LBB107_4:
	s_or_b64 exec, exec, s[2:3]
	s_load_dword s2, s[0:1], 0x60
	s_load_dwordx8 s[48:55], s[0:1], 0x68
	v_mov_b32_e32 v1, 0
	s_waitcnt lgkmcnt(0)
	s_barrier
	ds_read_b32 v2, v1
	s_mul_i32 s0, s59, s2
	s_mul_hi_u32 s1, s58, s2
	s_add_i32 s3, s1, s0
	s_lshl_b64 s[56:57], s[10:11], 3
	s_add_u32 s8, s8, s56
	s_addc_u32 s9, s9, s57
	s_waitcnt lgkmcnt(0)
	v_readfirstlane_b32 s47, v2
	s_cmp_lg_u64 s[52:53], 0
	s_mov_b32 s1, 0
	s_mul_i32 s0, s47, 0xe00
	s_cselect_b64 s[10:11], -1, 0
	s_lshl_b64 s[52:53], s[0:1], 3
	s_add_u32 s8, s8, s52
	s_mul_i32 s2, s58, s2
	s_addc_u32 s9, s9, s53
	s_add_u32 s12, s2, s47
	s_addc_u32 s13, s3, 0
	s_add_u32 s0, s48, -1
	s_addc_u32 s1, s49, -1
	v_mov_b64_e32 v[2:3], s[0:1]
	v_cmp_ge_u64_e64 s[2:3], s[12:13], v[2:3]
	s_mov_b64 s[18:19], 0
	s_mov_b64 s[14:15], -1
	s_and_b64 vcc, exec, s[2:3]
	s_mul_i32 s33, s0, 0xfffff200
	s_barrier
	s_barrier
	s_cbranch_vccz .LBB107_66
; %bb.5:
	global_load_dwordx2 v[2:3], v1, s[8:9]
	s_add_i32 s69, s33, s46
	v_cmp_gt_u32_e32 vcc, s69, v0
	s_waitcnt vmcnt(0)
	v_mov_b64_e32 v[4:5], v[2:3]
	s_and_saveexec_b64 s[0:1], vcc
	s_cbranch_execz .LBB107_7
; %bb.6:
	v_lshlrev_b32_e32 v1, 3, v0
	global_load_dwordx2 v[4:5], v1, s[8:9]
.LBB107_7:
	s_or_b64 exec, exec, s[0:1]
	v_or_b32_e32 v1, 0x100, v0
	v_cmp_gt_u32_e32 vcc, s69, v1
	v_mov_b64_e32 v[6:7], v[2:3]
	s_and_saveexec_b64 s[0:1], vcc
	s_cbranch_execz .LBB107_9
; %bb.8:
	v_lshlrev_b32_e32 v1, 3, v0
	global_load_dwordx2 v[6:7], v1, s[8:9] offset:2048
.LBB107_9:
	s_or_b64 exec, exec, s[0:1]
	v_or_b32_e32 v1, 0x200, v0
	v_cmp_gt_u32_e32 vcc, s69, v1
	v_mov_b64_e32 v[8:9], v[2:3]
	s_and_saveexec_b64 s[0:1], vcc
	s_cbranch_execz .LBB107_11
; %bb.10:
	v_lshlrev_b32_e32 v1, 3, v1
	global_load_dwordx2 v[8:9], v1, s[8:9]
.LBB107_11:
	s_or_b64 exec, exec, s[0:1]
	v_or_b32_e32 v1, 0x300, v0
	v_cmp_gt_u32_e32 vcc, s69, v1
	v_mov_b64_e32 v[10:11], v[2:3]
	s_and_saveexec_b64 s[0:1], vcc
	s_cbranch_execz .LBB107_13
; %bb.12:
	v_lshlrev_b32_e32 v1, 3, v1
	global_load_dwordx2 v[10:11], v1, s[8:9]
.LBB107_13:
	;; [unrolled: 10-line block ×11, first 2 shown]
	s_or_b64 exec, exec, s[0:1]
	v_or_b32_e32 v1, 0xd00, v0
	v_cmp_gt_u32_e32 vcc, s69, v1
	s_and_saveexec_b64 s[0:1], vcc
	s_cbranch_execz .LBB107_33
; %bb.32:
	v_lshlrev_b32_e32 v1, 3, v1
	global_load_dwordx2 v[2:3], v1, s[8:9]
.LBB107_33:
	s_or_b64 exec, exec, s[0:1]
	v_lshlrev_b32_e32 v1, 3, v0
	s_movk_i32 s0, 0x68
	s_waitcnt vmcnt(0)
	ds_write2st64_b64 v1, v[4:5], v[6:7] offset1:4
	ds_write2st64_b64 v1, v[8:9], v[10:11] offset0:8 offset1:12
	ds_write2st64_b64 v1, v[12:13], v[14:15] offset0:16 offset1:20
	;; [unrolled: 1-line block ×6, first 2 shown]
	v_mad_u32_u24 v8, v0, s0, v1
	s_waitcnt lgkmcnt(0)
	s_barrier
	ds_read_b128 v[74:77], v8
	ds_read_b128 v[70:73], v8 offset:16
	ds_read_b128 v[66:69], v8 offset:32
	;; [unrolled: 1-line block ×6, first 2 shown]
	s_cmp_eq_u64 s[12:13], 0
	s_mov_b64 s[0:1], s[8:9]
	s_cbranch_scc1 .LBB107_37
; %bb.34:
	s_andn2_b64 vcc, exec, s[10:11]
	s_cbranch_vccnz .LBB107_211
; %bb.35:
	s_lshl_b64 s[0:1], s[12:13], 3
	s_add_u32 s0, s54, s0
	s_addc_u32 s1, s55, s1
	s_add_u32 s0, s0, -8
	s_addc_u32 s1, s1, -1
	s_cbranch_execnz .LBB107_37
.LBB107_36:
	s_add_u32 s0, s8, -8
	s_addc_u32 s1, s9, -1
.LBB107_37:
	v_mov_b32_e32 v80, 0
	global_load_dwordx2 v[4:5], v80, s[0:1]
	s_movk_i32 s0, 0xff98
	v_mad_i32_i24 v2, v0, s0, v8
	s_waitcnt lgkmcnt(0)
	ds_write_b64 v2, v[60:61] offset:28672
	s_waitcnt lgkmcnt(0)
	s_barrier
	s_and_saveexec_b64 s[0:1], s[4:5]
	s_cbranch_execz .LBB107_39
; %bb.38:
	v_mul_i32_i24_e32 v2, 0xffffff98, v0
	v_add_u32_e32 v2, v8, v2
	s_waitcnt vmcnt(0)
	ds_read_b64 v[4:5], v2 offset:28664
.LBB107_39:
	s_or_b64 exec, exec, s[0:1]
	v_mul_u32_u24_e32 v9, 14, v0
	v_mov_b64_e32 v[2:3], s[6:7]
	v_mov_b64_e32 v[78:79], 0
	s_waitcnt lgkmcnt(0)
	s_barrier
	ds_write2st64_b64 v1, v[2:3], v[2:3] offset1:4
	ds_write2st64_b64 v1, v[2:3], v[2:3] offset0:8 offset1:12
	ds_write2st64_b64 v1, v[2:3], v[2:3] offset0:16 offset1:20
	;; [unrolled: 1-line block ×6, first 2 shown]
	v_cmp_gt_u32_e32 vcc, s69, v9
	s_mov_b64 s[14:15], 0
	s_mov_b32 s68, 0
	v_mov_b32_e32 v91, 0
	v_mov_b64_e32 v[46:47], v[78:79]
	v_mov_b32_e32 v90, 0
	v_mov_b64_e32 v[34:35], v[78:79]
	;; [unrolled: 2-line block ×12, first 2 shown]
	s_waitcnt lgkmcnt(0)
	s_barrier
	s_waitcnt lgkmcnt(0)
                                        ; implicit-def: $sgpr0_sgpr1
                                        ; implicit-def: $vgpr52_vgpr53
	s_and_saveexec_b64 s[16:17], vcc
	s_cbranch_execz .LBB107_65
; %bb.40:
	ds_read_b64 v[2:3], v8
	v_or_b32_e32 v6, 1, v9
	s_waitcnt vmcnt(0)
	v_cmp_ne_u64_e32 vcc, v[4:5], v[74:75]
	v_mov_b64_e32 v[78:79], 0
	s_mov_b64 s[20:21], 0
	v_cndmask_b32_e64 v1, 0, 1, vcc
	v_cmp_gt_u32_e32 vcc, s69, v6
	s_mov_b64 s[0:1], 0
	v_mov_b32_e32 v80, 0
	v_mov_b32_e32 v91, 0
	v_mov_b64_e32 v[46:47], v[78:79]
	v_mov_b32_e32 v90, 0
	v_mov_b64_e32 v[34:35], v[78:79]
	;; [unrolled: 2-line block ×11, first 2 shown]
                                        ; implicit-def: $sgpr22_sgpr23
                                        ; implicit-def: $vgpr52_vgpr53
	s_and_saveexec_b64 s[18:19], vcc
	s_cbranch_execz .LBB107_64
; %bb.41:
	ds_read2_b64 v[14:17], v8 offset0:1 offset1:2
	v_cmp_ne_u64_e32 vcc, v[74:75], v[76:77]
	v_add_u32_e32 v4, 2, v9
	v_mov_b64_e32 v[78:79], 0
	v_cndmask_b32_e64 v82, 0, 1, vcc
	v_cmp_gt_u32_e32 vcc, s69, v4
	s_mov_b64 s[24:25], 0
	v_mov_b32_e32 v80, 0
	v_mov_b32_e32 v91, 0
	v_mov_b64_e32 v[46:47], v[78:79]
	v_mov_b32_e32 v90, 0
	v_mov_b64_e32 v[34:35], v[78:79]
	;; [unrolled: 2-line block ×10, first 2 shown]
                                        ; implicit-def: $sgpr22_sgpr23
                                        ; implicit-def: $vgpr52_vgpr53
	s_and_saveexec_b64 s[20:21], vcc
	s_cbranch_execz .LBB107_63
; %bb.42:
	v_cmp_ne_u64_e32 vcc, v[76:77], v[70:71]
	v_add_u32_e32 v4, 3, v9
	v_mov_b64_e32 v[78:79], 0
	s_waitcnt lgkmcnt(0)
	v_mov_b32_e32 v6, v16
	v_mov_b32_e32 v7, v17
	v_cndmask_b32_e64 v81, 0, 1, vcc
	v_cmp_gt_u32_e32 vcc, s69, v4
	v_mov_b32_e32 v80, 0
	v_mov_b32_e32 v91, 0
	v_mov_b64_e32 v[46:47], v[78:79]
	v_mov_b32_e32 v90, 0
	v_mov_b64_e32 v[34:35], v[78:79]
	;; [unrolled: 2-line block ×9, first 2 shown]
                                        ; implicit-def: $sgpr26_sgpr27
                                        ; implicit-def: $vgpr52_vgpr53
	s_and_saveexec_b64 s[22:23], vcc
	s_cbranch_execz .LBB107_62
; %bb.43:
	ds_read2_b64 v[22:25], v8 offset0:3 offset1:4
	v_cmp_ne_u64_e32 vcc, v[70:71], v[72:73]
	v_add_u32_e32 v4, 4, v9
	v_mov_b64_e32 v[78:79], 0
	v_cndmask_b32_e64 v83, 0, 1, vcc
	v_cmp_gt_u32_e32 vcc, s69, v4
	s_mov_b64 s[28:29], 0
	v_mov_b32_e32 v80, 0
	v_mov_b32_e32 v91, 0
	v_mov_b64_e32 v[46:47], v[78:79]
	v_mov_b32_e32 v90, 0
	v_mov_b64_e32 v[34:35], v[78:79]
	;; [unrolled: 2-line block ×8, first 2 shown]
                                        ; implicit-def: $sgpr26_sgpr27
                                        ; implicit-def: $vgpr52_vgpr53
	s_and_saveexec_b64 s[24:25], vcc
	s_cbranch_execz .LBB107_61
; %bb.44:
	v_cmp_ne_u64_e32 vcc, v[72:73], v[66:67]
	v_add_u32_e32 v4, 5, v9
	v_mov_b64_e32 v[78:79], 0
	s_waitcnt lgkmcnt(0)
	v_mov_b32_e32 v10, v24
	v_mov_b32_e32 v11, v25
	v_cndmask_b32_e64 v84, 0, 1, vcc
	v_cmp_gt_u32_e32 vcc, s69, v4
	v_mov_b32_e32 v80, 0
	v_mov_b32_e32 v91, 0
	v_mov_b64_e32 v[46:47], v[78:79]
	v_mov_b32_e32 v90, 0
	v_mov_b64_e32 v[34:35], v[78:79]
	;; [unrolled: 2-line block ×7, first 2 shown]
                                        ; implicit-def: $sgpr30_sgpr31
                                        ; implicit-def: $vgpr52_vgpr53
	s_and_saveexec_b64 s[26:27], vcc
	s_cbranch_execz .LBB107_60
; %bb.45:
	ds_read2_b64 v[30:33], v8 offset0:5 offset1:6
	v_cmp_ne_u64_e32 vcc, v[66:67], v[68:69]
	v_add_u32_e32 v4, 6, v9
	v_mov_b64_e32 v[78:79], 0
	v_cndmask_b32_e64 v85, 0, 1, vcc
	v_cmp_gt_u32_e32 vcc, s69, v4
	s_mov_b64 s[34:35], 0
	v_mov_b32_e32 v80, 0
	v_mov_b32_e32 v91, 0
	v_mov_b64_e32 v[46:47], v[78:79]
	v_mov_b32_e32 v90, 0
	v_mov_b64_e32 v[34:35], v[78:79]
	;; [unrolled: 2-line block ×6, first 2 shown]
                                        ; implicit-def: $sgpr30_sgpr31
                                        ; implicit-def: $vgpr52_vgpr53
	s_and_saveexec_b64 s[28:29], vcc
	s_cbranch_execz .LBB107_59
; %bb.46:
	v_cmp_ne_u64_e32 vcc, v[68:69], v[62:63]
	v_add_u32_e32 v4, 7, v9
	v_mov_b64_e32 v[78:79], 0
	s_waitcnt lgkmcnt(0)
	v_mov_b32_e32 v18, v32
	v_mov_b32_e32 v19, v33
	v_cndmask_b32_e64 v86, 0, 1, vcc
	v_cmp_gt_u32_e32 vcc, s69, v4
	v_mov_b32_e32 v80, 0
	v_mov_b32_e32 v91, 0
	v_mov_b64_e32 v[46:47], v[78:79]
	v_mov_b32_e32 v90, 0
	v_mov_b64_e32 v[34:35], v[78:79]
	;; [unrolled: 2-line block ×5, first 2 shown]
                                        ; implicit-def: $sgpr48_sgpr49
                                        ; implicit-def: $vgpr52_vgpr53
	s_and_saveexec_b64 s[30:31], vcc
	s_cbranch_execz .LBB107_58
; %bb.47:
	ds_read2_b64 v[38:41], v8 offset0:7 offset1:8
	v_cmp_ne_u64_e32 vcc, v[62:63], v[64:65]
	v_add_u32_e32 v4, 8, v9
	v_mov_b64_e32 v[78:79], 0
	v_cndmask_b32_e64 v87, 0, 1, vcc
	v_cmp_gt_u32_e32 vcc, s69, v4
	s_mov_b64 s[60:61], 0
	v_mov_b32_e32 v80, 0
	v_mov_b32_e32 v91, 0
	v_mov_b64_e32 v[46:47], v[78:79]
	v_mov_b32_e32 v90, 0
	v_mov_b64_e32 v[34:35], v[78:79]
	;; [unrolled: 2-line block ×4, first 2 shown]
                                        ; implicit-def: $sgpr48_sgpr49
                                        ; implicit-def: $vgpr52_vgpr53
	s_and_saveexec_b64 s[34:35], vcc
	s_cbranch_execz .LBB107_57
; %bb.48:
	v_cmp_ne_u64_e32 vcc, v[64:65], v[48:49]
	v_add_u32_e32 v4, 9, v9
	v_mov_b64_e32 v[78:79], 0
	s_waitcnt lgkmcnt(0)
	v_mov_b32_e32 v26, v40
	v_mov_b32_e32 v27, v41
	v_cndmask_b32_e64 v88, 0, 1, vcc
	v_cmp_gt_u32_e32 vcc, s69, v4
	v_mov_b32_e32 v80, 0
	v_mov_b32_e32 v91, 0
	v_mov_b64_e32 v[46:47], v[78:79]
	v_mov_b32_e32 v90, 0
	v_mov_b64_e32 v[34:35], v[78:79]
	;; [unrolled: 2-line block ×3, first 2 shown]
                                        ; implicit-def: $sgpr62_sgpr63
                                        ; implicit-def: $vgpr52_vgpr53
	s_and_saveexec_b64 s[48:49], vcc
	s_cbranch_execz .LBB107_56
; %bb.49:
	ds_read2_b64 v[42:45], v8 offset0:9 offset1:10
	v_cmp_ne_u64_e32 vcc, v[48:49], v[50:51]
	v_add_u32_e32 v4, 10, v9
	v_mov_b64_e32 v[78:79], 0
	v_cndmask_b32_e64 v89, 0, 1, vcc
	v_cmp_gt_u32_e32 vcc, s69, v4
	s_mov_b64 s[64:65], 0
	v_mov_b32_e32 v80, 0
	v_mov_b32_e32 v91, 0
	v_mov_b64_e32 v[46:47], v[78:79]
	v_mov_b32_e32 v90, 0
	v_mov_b64_e32 v[34:35], v[78:79]
                                        ; implicit-def: $sgpr62_sgpr63
                                        ; implicit-def: $vgpr52_vgpr53
	s_and_saveexec_b64 s[60:61], vcc
	s_cbranch_execz .LBB107_55
; %bb.50:
	v_cmp_ne_u64_e32 vcc, v[50:51], v[54:55]
	v_add_u32_e32 v4, 11, v9
	v_mov_b64_e32 v[78:79], 0
	s_waitcnt lgkmcnt(0)
	v_mov_b32_e32 v34, v44
	v_mov_b32_e32 v35, v45
	v_cndmask_b32_e64 v90, 0, 1, vcc
	v_cmp_gt_u32_e32 vcc, s69, v4
	v_mov_b32_e32 v80, 0
	v_mov_b32_e32 v91, 0
	v_mov_b64_e32 v[46:47], v[78:79]
                                        ; implicit-def: $sgpr66_sgpr67
                                        ; implicit-def: $vgpr52_vgpr53
	s_and_saveexec_b64 s[62:63], vcc
	s_cbranch_execz .LBB107_54
; %bb.51:
	ds_read2_b64 v[46:49], v8 offset0:11 offset1:12
	v_cmp_ne_u64_e32 vcc, v[54:55], v[56:57]
	v_add_u32_e32 v4, 12, v9
	v_mov_b32_e32 v80, 0
	v_cndmask_b32_e64 v91, 0, 1, vcc
	v_cmp_gt_u32_e32 vcc, s69, v4
	v_mov_b64_e32 v[78:79], 0
                                        ; implicit-def: $sgpr64_sgpr65
                                        ; implicit-def: $vgpr52_vgpr53
	s_and_saveexec_b64 s[66:67], vcc
	s_xor_b64 s[66:67], exec, s[66:67]
	s_cbranch_execz .LBB107_53
; %bb.52:
	ds_read_b64 v[52:53], v8 offset:104
	v_cmp_ne_u64_e64 s[0:1], v[56:57], v[58:59]
	v_add_u32_e32 v4, 13, v9
	v_cmp_ne_u64_e32 vcc, v[58:59], v[60:61]
	v_cndmask_b32_e64 v80, 0, 1, s[0:1]
	v_cmp_gt_u32_e64 s[0:1], s69, v4
	s_and_b64 s[64:65], vcc, exec
	s_and_b64 s[0:1], s[0:1], exec
	s_waitcnt lgkmcnt(1)
	v_mov_b64_e32 v[50:51], v[48:49]
	v_mov_b64_e32 v[78:79], v[48:49]
.LBB107_53:
	s_or_b64 exec, exec, s[66:67]
	s_and_b64 s[66:67], s[64:65], exec
	s_and_b64 s[64:65], s[0:1], exec
.LBB107_54:
	s_or_b64 exec, exec, s[62:63]
	s_and_b64 s[62:63], s[66:67], exec
	s_and_b64 s[0:1], s[64:65], exec
	s_waitcnt lgkmcnt(0)
	v_mov_b64_e32 v[36:37], v[46:47]
	v_mov_b64_e32 v[28:29], v[42:43]
	;; [unrolled: 1-line block ×6, first 2 shown]
.LBB107_55:
	s_or_b64 exec, exec, s[60:61]
	s_and_b64 s[62:63], s[62:63], exec
	s_and_b64 s[60:61], s[0:1], exec
.LBB107_56:
	s_or_b64 exec, exec, s[48:49]
	s_and_b64 s[48:49], s[62:63], exec
	s_and_b64 s[0:1], s[60:61], exec
.LBB107_57:
	s_or_b64 exec, exec, s[34:35]
	s_and_b64 s[48:49], s[48:49], exec
	s_and_b64 s[34:35], s[0:1], exec
.LBB107_58:
	s_or_b64 exec, exec, s[30:31]
	s_and_b64 s[30:31], s[48:49], exec
	s_and_b64 s[0:1], s[34:35], exec
.LBB107_59:
	s_or_b64 exec, exec, s[28:29]
	s_and_b64 s[30:31], s[30:31], exec
	s_and_b64 s[28:29], s[0:1], exec
.LBB107_60:
	s_or_b64 exec, exec, s[26:27]
	s_and_b64 s[26:27], s[30:31], exec
	s_and_b64 s[0:1], s[28:29], exec
.LBB107_61:
	s_or_b64 exec, exec, s[24:25]
	s_and_b64 s[26:27], s[26:27], exec
	s_and_b64 s[24:25], s[0:1], exec
.LBB107_62:
	s_or_b64 exec, exec, s[22:23]
	s_and_b64 s[22:23], s[26:27], exec
	s_and_b64 s[0:1], s[24:25], exec
.LBB107_63:
	s_or_b64 exec, exec, s[20:21]
	s_and_b64 s[22:23], s[22:23], exec
	s_and_b64 s[20:21], s[0:1], exec
.LBB107_64:
	s_or_b64 exec, exec, s[18:19]
	s_and_b64 s[0:1], s[22:23], exec
	s_and_b64 s[18:19], s[20:21], exec
.LBB107_65:
	s_or_b64 exec, exec, s[16:17]
	s_mov_b64 s[16:17], 0
	s_and_b64 vcc, exec, s[14:15]
	s_waitcnt lgkmcnt(0)
	v_lshlrev_b32_e32 v32, 3, v0
	s_cbranch_vccnz .LBB107_67
	s_branch .LBB107_75
.LBB107_66:
                                        ; implicit-def: $sgpr0_sgpr1
                                        ; implicit-def: $vgpr52_vgpr53
                                        ; implicit-def: $vgpr80
                                        ; implicit-def: $vgpr91
                                        ; implicit-def: $vgpr36_vgpr37
                                        ; implicit-def: $vgpr90
                                        ; implicit-def: $vgpr89
                                        ; implicit-def: $vgpr28_vgpr29
                                        ; implicit-def: $vgpr88
                                        ; implicit-def: $vgpr87
                                        ; implicit-def: $vgpr20_vgpr21
                                        ; implicit-def: $vgpr86
                                        ; implicit-def: $vgpr85
                                        ; implicit-def: $vgpr12_vgpr13
                                        ; implicit-def: $vgpr84
                                        ; implicit-def: $vgpr83
                                        ; implicit-def: $vgpr8_vgpr9
                                        ; implicit-def: $vgpr81
                                        ; implicit-def: $vgpr82
                                        ; implicit-def: $vgpr4_vgpr5
                                        ; implicit-def: $vgpr1
                                        ; implicit-def: $sgpr68
                                        ; implicit-def: $sgpr16_sgpr17
                                        ; implicit-def: $vgpr78_vgpr79
                                        ; implicit-def: $vgpr46_vgpr47
                                        ; implicit-def: $vgpr42_vgpr43
                                        ; implicit-def: $vgpr38_vgpr39
                                        ; implicit-def: $vgpr30_vgpr31
                                        ; implicit-def: $vgpr22_vgpr23
                                        ; implicit-def: $vgpr14_vgpr15
	s_and_b64 vcc, exec, s[14:15]
	v_lshlrev_b32_e32 v32, 3, v0
	s_cbranch_vccz .LBB107_75
.LBB107_67:
	v_mov_b32_e32 v33, 0
	v_lshl_add_u64 v[2:3], s[8:9], 0, v[32:33]
	v_add_co_u32_e32 v8, vcc, 0x1000, v2
	global_load_dwordx2 v[4:5], v32, s[8:9]
	global_load_dwordx2 v[6:7], v32, s[8:9] offset:2048
	v_addc_co_u32_e32 v9, vcc, 0, v3, vcc
	v_add_co_u32_e32 v10, vcc, 0x2000, v2
	s_movk_i32 s0, 0x68
	s_nop 0
	v_addc_co_u32_e32 v11, vcc, 0, v3, vcc
	global_load_dwordx2 v[12:13], v[8:9], off
	global_load_dwordx2 v[14:15], v[8:9], off offset:2048
	global_load_dwordx2 v[16:17], v[10:11], off
	global_load_dwordx2 v[18:19], v[10:11], off offset:2048
	v_add_co_u32_e32 v8, vcc, 0x3000, v2
	v_mad_u32_u24 v1, v0, s0, v32
	s_nop 0
	v_addc_co_u32_e32 v9, vcc, 0, v3, vcc
	v_add_co_u32_e32 v10, vcc, 0x4000, v2
	s_cmp_eq_u64 s[12:13], 0
	s_nop 0
	v_addc_co_u32_e32 v11, vcc, 0, v3, vcc
	global_load_dwordx2 v[20:21], v[8:9], off
	global_load_dwordx2 v[22:23], v[8:9], off offset:2048
	global_load_dwordx2 v[24:25], v[10:11], off
	global_load_dwordx2 v[26:27], v[10:11], off offset:2048
	v_add_co_u32_e32 v8, vcc, 0x5000, v2
	s_nop 1
	v_addc_co_u32_e32 v9, vcc, 0, v3, vcc
	v_add_co_u32_e32 v2, vcc, 0x6000, v2
	s_nop 1
	v_addc_co_u32_e32 v3, vcc, 0, v3, vcc
	global_load_dwordx2 v[10:11], v[8:9], off
	global_load_dwordx2 v[28:29], v[8:9], off offset:2048
	global_load_dwordx2 v[30:31], v[2:3], off
	global_load_dwordx2 v[34:35], v[2:3], off offset:2048
	s_waitcnt vmcnt(12)
	ds_write2st64_b64 v32, v[4:5], v[6:7] offset1:4
	s_waitcnt vmcnt(10)
	ds_write2st64_b64 v32, v[12:13], v[14:15] offset0:8 offset1:12
	s_waitcnt vmcnt(8)
	ds_write2st64_b64 v32, v[16:17], v[18:19] offset0:16 offset1:20
	;; [unrolled: 2-line block ×6, first 2 shown]
	s_waitcnt lgkmcnt(0)
	s_barrier
	ds_read_b128 v[14:17], v1
	ds_read_b128 v[2:5], v1 offset:16
	ds_read_b128 v[6:9], v1 offset:32
	;; [unrolled: 1-line block ×6, first 2 shown]
	s_cbranch_scc1 .LBB107_72
; %bb.68:
	s_andn2_b64 vcc, exec, s[10:11]
	s_cbranch_vccnz .LBB107_212
; %bb.69:
	s_lshl_b64 s[0:1], s[12:13], 3
	s_add_u32 s0, s54, s0
	s_addc_u32 s1, s55, s1
	s_add_u32 s0, s0, -8
	s_addc_u32 s1, s1, -1
	s_cbranch_execnz .LBB107_71
.LBB107_70:
	s_add_u32 s0, s8, -8
	s_addc_u32 s1, s9, -1
.LBB107_71:
	s_mov_b64 s[8:9], s[0:1]
.LBB107_72:
	global_load_dwordx2 v[30:31], v33, s[8:9]
	s_movk_i32 s0, 0xff98
	v_mad_i32_i24 v33, v0, s0, v1
	s_waitcnt lgkmcnt(0)
	ds_write_b64 v33, v[28:29] offset:28672
	s_waitcnt lgkmcnt(0)
	s_barrier
	s_and_saveexec_b64 s[0:1], s[4:5]
	s_cbranch_execz .LBB107_74
; %bb.73:
	s_waitcnt vmcnt(0)
	v_mul_i32_i24_e32 v30, 0xffffff98, v0
	v_add_u32_e32 v30, v1, v30
	ds_read_b64 v[30:31], v30 offset:28664
.LBB107_74:
	s_or_b64 exec, exec, s[0:1]
	v_cmp_ne_u64_e32 vcc, v[24:25], v[26:27]
	v_cmp_ne_u64_e64 s[0:1], v[26:27], v[28:29]
	s_waitcnt lgkmcnt(0)
	v_cndmask_b32_e64 v80, 0, 1, vcc
	v_cmp_ne_u64_e32 vcc, v[22:23], v[24:25]
	s_barrier
	s_nop 0
	v_cndmask_b32_e64 v91, 0, 1, vcc
	v_cmp_ne_u64_e32 vcc, v[20:21], v[22:23]
	s_mov_b64 s[18:19], -1
                                        ; implicit-def: $sgpr68
                                        ; implicit-def: $sgpr16_sgpr17
                                        ; implicit-def: $vgpr78_vgpr79
                                        ; implicit-def: $vgpr46_vgpr47
                                        ; implicit-def: $vgpr42_vgpr43
                                        ; implicit-def: $vgpr38_vgpr39
                                        ; implicit-def: $vgpr22_vgpr23
	s_nop 0
	v_cndmask_b32_e64 v90, 0, 1, vcc
	v_cmp_ne_u64_e32 vcc, v[18:19], v[20:21]
	s_nop 1
	v_cndmask_b32_e64 v89, 0, 1, vcc
	v_cmp_ne_u64_e32 vcc, v[12:13], v[18:19]
	;; [unrolled: 3-line block ×8, first 2 shown]
	v_mov_b64_e32 v[2:3], s[6:7]
	ds_write2st64_b64 v32, v[2:3], v[2:3] offset1:4
	ds_write2st64_b64 v32, v[2:3], v[2:3] offset0:8 offset1:12
	ds_write2st64_b64 v32, v[2:3], v[2:3] offset0:16 offset1:20
	;; [unrolled: 1-line block ×6, first 2 shown]
	s_waitcnt lgkmcnt(0)
	s_barrier
	ds_read_b128 v[2:5], v1
	ds_read_b128 v[6:9], v1 offset:16
	ds_read_b128 v[10:13], v1 offset:32
	;; [unrolled: 1-line block ×6, first 2 shown]
	v_cndmask_b32_e64 v81, 0, 1, vcc
	v_cmp_ne_u64_e32 vcc, v[14:15], v[16:17]
	s_nop 1
	v_cndmask_b32_e64 v82, 0, 1, vcc
	s_waitcnt vmcnt(0)
	v_cmp_ne_u64_e32 vcc, v[30:31], v[14:15]
                                        ; implicit-def: $vgpr30_vgpr31
                                        ; implicit-def: $vgpr14_vgpr15
	s_nop 1
	v_cndmask_b32_e64 v1, 0, 1, vcc
.LBB107_75:
	v_mov_b64_e32 v[16:17], s[16:17]
	v_mov_b32_e32 v33, s68
	s_and_saveexec_b64 s[6:7], s[18:19]
	s_cbranch_execz .LBB107_77
; %bb.76:
	v_cndmask_b32_e64 v33, 0, 1, s[0:1]
	s_waitcnt vmcnt(0) lgkmcnt(6)
	v_mov_b64_e32 v[14:15], v[4:5]
	s_waitcnt lgkmcnt(5)
	v_mov_b64_e32 v[22:23], v[8:9]
	s_waitcnt lgkmcnt(4)
	;; [unrolled: 2-line block ×6, first 2 shown]
	v_mov_b64_e32 v[78:79], v[50:51]
	v_mov_b64_e32 v[16:17], v[52:53]
.LBB107_77:
	s_or_b64 exec, exec, s[6:7]
	s_waitcnt vmcnt(0) lgkmcnt(6)
	v_or_b32_e32 v4, v33, v80
	s_cmp_lg_u32 s47, 0
	s_waitcnt lgkmcnt(2)
	v_or_b32_e32 v29, v4, v91
	v_mbcnt_lo_u32_b32 v28, -1, 0
	s_waitcnt lgkmcnt(0)
	s_barrier
	s_cbranch_scc0 .LBB107_148
; %bb.78:
	v_mov_b32_e32 v8, 0
	v_cmp_eq_u16_sdwa s[6:7], v82, v8 src0_sel:BYTE_0 src1_sel:DWORD
	v_cmp_eq_u16_sdwa s[8:9], v81, v8 src0_sel:BYTE_0 src1_sel:DWORD
	v_cmp_eq_u16_sdwa s[10:11], v83, v8 src0_sel:BYTE_0 src1_sel:DWORD
	v_cndmask_b32_e64 v5, 0, v3, s[6:7]
	v_cndmask_b32_e64 v4, 0, v2, s[6:7]
	v_lshl_add_u64 v[4:5], v[4:5], 0, v[14:15]
	v_cndmask_b32_e64 v5, 0, v5, s[8:9]
	v_cndmask_b32_e64 v4, 0, v4, s[8:9]
	v_lshl_add_u64 v[4:5], v[4:5], 0, v[6:7]
	v_cndmask_b32_e64 v5, 0, v5, s[10:11]
	v_cndmask_b32_e64 v4, 0, v4, s[10:11]
	v_lshl_add_u64 v[4:5], v[4:5], 0, v[22:23]
	v_cmp_eq_u16_sdwa s[12:13], v84, v8 src0_sel:BYTE_0 src1_sel:DWORD
	v_cmp_eq_u16_sdwa s[14:15], v85, v8 src0_sel:BYTE_0 src1_sel:DWORD
	v_cmp_eq_u16_sdwa s[16:17], v86, v8 src0_sel:BYTE_0 src1_sel:DWORD
	v_cndmask_b32_e64 v5, 0, v5, s[12:13]
	v_cndmask_b32_e64 v4, 0, v4, s[12:13]
	v_lshl_add_u64 v[4:5], v[4:5], 0, v[10:11]
	v_cndmask_b32_e64 v5, 0, v5, s[14:15]
	v_cndmask_b32_e64 v4, 0, v4, s[14:15]
	v_lshl_add_u64 v[4:5], v[4:5], 0, v[30:31]
	v_cndmask_b32_e64 v5, 0, v5, s[16:17]
	v_cndmask_b32_e64 v4, 0, v4, s[16:17]
	v_lshl_add_u64 v[4:5], v[4:5], 0, v[18:19]
	;; [unrolled: 12-line block ×4, first 2 shown]
	v_cmp_eq_u16_sdwa s[30:31], v33, v8 src0_sel:BYTE_0 src1_sel:DWORD
	v_and_b32_e32 v12, 0xff, v1
	v_mbcnt_hi_u32_b32 v44, -1, v28
	v_cndmask_b32_e64 v5, 0, v5, s[30:31]
	v_cndmask_b32_e64 v4, 0, v4, s[30:31]
	v_lshl_add_u64 v[8:9], v[4:5], 0, v[16:17]
	v_or_b32_e32 v4, v29, v90
	v_or_b32_e32 v4, v4, v89
	;; [unrolled: 1-line block ×10, first 2 shown]
	v_and_b32_e32 v4, 1, v4
	v_cmp_eq_u32_e32 vcc, 1, v4
	v_and_b32_e32 v4, 15, v44
	v_mov_b32_dpp v13, v8 row_shr:1 row_mask:0xf bank_mask:0xf
	v_cndmask_b32_e64 v12, v12, 1, vcc
	v_mov_b32_dpp v20, v9 row_shr:1 row_mask:0xf bank_mask:0xf
	v_cmp_ne_u32_e32 vcc, 0, v4
	v_mov_b32_dpp v5, v12 row_shr:1 row_mask:0xf bank_mask:0xf
	s_and_saveexec_b64 s[0:1], vcc
; %bb.79:
	v_cmp_eq_u32_e32 vcc, 0, v12
	v_and_or_b32 v12, v5, 1, v12
	s_nop 0
	v_cndmask_b32_e32 v21, 0, v20, vcc
	v_cndmask_b32_e32 v20, 0, v13, vcc
	v_lshl_add_u64 v[8:9], v[20:21], 0, v[8:9]
; %bb.80:
	s_or_b64 exec, exec, s[0:1]
	s_nop 0
	v_mov_b32_dpp v13, v8 row_shr:2 row_mask:0xf bank_mask:0xf
	v_mov_b32_dpp v20, v9 row_shr:2 row_mask:0xf bank_mask:0xf
	v_mov_b32_dpp v5, v12 row_shr:2 row_mask:0xf bank_mask:0xf
	v_cmp_lt_u32_e32 vcc, 1, v4
	s_and_saveexec_b64 s[0:1], vcc
; %bb.81:
	v_cmp_eq_u32_e32 vcc, 0, v12
	v_or_b32_e32 v5, v5, v12
	v_and_b32_e32 v12, 1, v5
	v_cndmask_b32_e32 v21, 0, v20, vcc
	v_cndmask_b32_e32 v20, 0, v13, vcc
	v_lshl_add_u64 v[8:9], v[20:21], 0, v[8:9]
; %bb.82:
	s_or_b64 exec, exec, s[0:1]
	s_nop 0
	v_mov_b32_dpp v13, v8 row_shr:4 row_mask:0xf bank_mask:0xf
	v_mov_b32_dpp v20, v9 row_shr:4 row_mask:0xf bank_mask:0xf
	v_mov_b32_dpp v5, v12 row_shr:4 row_mask:0xf bank_mask:0xf
	v_cmp_lt_u32_e32 vcc, 3, v4
	s_and_saveexec_b64 s[0:1], vcc
; %bb.83:
	v_cmp_eq_u32_e32 vcc, 0, v12
	v_or_b32_e32 v5, v5, v12
	v_and_b32_e32 v12, 1, v5
	v_cndmask_b32_e32 v21, 0, v20, vcc
	v_cndmask_b32_e32 v20, 0, v13, vcc
	v_lshl_add_u64 v[8:9], v[20:21], 0, v[8:9]
; %bb.84:
	s_or_b64 exec, exec, s[0:1]
	s_nop 0
	v_mov_b32_dpp v13, v8 row_shr:8 row_mask:0xf bank_mask:0xf
	v_mov_b32_dpp v20, v9 row_shr:8 row_mask:0xf bank_mask:0xf
	v_mov_b32_dpp v5, v12 row_shr:8 row_mask:0xf bank_mask:0xf
	v_cmp_lt_u32_e32 vcc, 7, v4
	s_and_saveexec_b64 s[0:1], vcc
; %bb.85:
	v_cmp_eq_u32_e32 vcc, 0, v12
	v_or_b32_e32 v4, v5, v12
	v_and_b32_e32 v12, 1, v4
	v_cndmask_b32_e32 v21, 0, v20, vcc
	v_cndmask_b32_e32 v20, 0, v13, vcc
	v_lshl_add_u64 v[8:9], v[20:21], 0, v[8:9]
; %bb.86:
	s_or_b64 exec, exec, s[0:1]
	v_and_b32_e32 v20, 16, v44
	v_mov_b32_dpp v5, v8 row_bcast:15 row_mask:0xf bank_mask:0xf
	v_mov_b32_dpp v13, v9 row_bcast:15 row_mask:0xf bank_mask:0xf
	;; [unrolled: 1-line block ×3, first 2 shown]
	v_cmp_ne_u32_e32 vcc, 0, v20
	s_and_saveexec_b64 s[0:1], vcc
; %bb.87:
	v_cmp_eq_u32_e32 vcc, 0, v12
	v_or_b32_e32 v4, v4, v12
	v_and_b32_e32 v12, 1, v4
	v_cndmask_b32_e32 v21, 0, v13, vcc
	v_cndmask_b32_e32 v20, 0, v5, vcc
	v_lshl_add_u64 v[8:9], v[20:21], 0, v[8:9]
; %bb.88:
	s_or_b64 exec, exec, s[0:1]
	s_nop 0
	v_mov_b32_dpp v13, v8 row_bcast:31 row_mask:0xf bank_mask:0xf
	v_mov_b32_dpp v20, v9 row_bcast:31 row_mask:0xf bank_mask:0xf
	;; [unrolled: 1-line block ×3, first 2 shown]
	v_cmp_lt_u32_e32 vcc, 31, v44
	v_mov_b32_e32 v4, v12
	s_and_saveexec_b64 s[0:1], vcc
; %bb.89:
	v_cmp_eq_u32_e32 vcc, 0, v12
	v_or_b32_e32 v5, v5, v12
	v_and_b32_e32 v4, 1, v5
	v_cndmask_b32_e32 v21, 0, v20, vcc
	v_cndmask_b32_e32 v20, 0, v13, vcc
	v_lshl_add_u64 v[8:9], v[20:21], 0, v[8:9]
	v_and_b32_e32 v12, 1, v5
; %bb.90:
	s_or_b64 exec, exec, s[0:1]
	v_or_b32_e32 v5, 63, v0
	v_lshrrev_b32_e32 v13, 6, v0
	v_cmp_eq_u32_e32 vcc, v5, v0
	s_and_saveexec_b64 s[0:1], vcc
	s_cbranch_execz .LBB107_92
; %bb.91:
	v_lshlrev_b32_e32 v5, 4, v13
	ds_write_b64 v5, v[8:9]
	ds_write_b8 v5, v4 offset:8
.LBB107_92:
	s_or_b64 exec, exec, s[0:1]
	v_cmp_gt_u32_e32 vcc, 4, v0
	s_waitcnt lgkmcnt(0)
	s_barrier
	s_and_saveexec_b64 s[34:35], vcc
	s_cbranch_execz .LBB107_98
; %bb.93:
	v_lshlrev_b32_e32 v20, 4, v0
	ds_read_b64 v[4:5], v20
	ds_read_b32 v21, v20 offset:8
	v_and_b32_e32 v24, 3, v44
	v_cmp_ne_u32_e32 vcc, 0, v24
	s_waitcnt lgkmcnt(1)
	v_mov_b32_dpp v40, v4 row_shr:1 row_mask:0xf bank_mask:0xf
	v_mov_b32_dpp v41, v5 row_shr:1 row_mask:0xf bank_mask:0xf
	s_waitcnt lgkmcnt(0)
	v_mov_b32_dpp v37, v21 row_shr:1 row_mask:0xf bank_mask:0xf
	v_mov_b32_e32 v25, v21
	v_mov_b32_e32 v36, v21
	s_and_saveexec_b64 s[0:1], vcc
; %bb.94:
	v_mov_b32_e32 v25, 0
	v_cmp_eq_u16_sdwa vcc, v21, v25 src0_sel:BYTE_0 src1_sel:DWORD
	v_or_b32_e32 v36, v37, v21
	v_and_b32_e32 v25, 1, v36
	v_cndmask_b32_e32 v41, 0, v41, vcc
	v_cndmask_b32_e32 v40, 0, v40, vcc
	v_and_b32_e32 v36, 1, v36
	s_movk_i32 s48, 0xff00
	v_lshl_add_u64 v[4:5], v[40:41], 0, v[4:5]
	v_and_or_b32 v21, v21, s48, v36
; %bb.95:
	s_or_b64 exec, exec, s[0:1]
	v_mov_b32_dpp v37, v4 row_shr:2 row_mask:0xf bank_mask:0xf
	v_mov_b32_dpp v40, v5 row_shr:2 row_mask:0xf bank_mask:0xf
	;; [unrolled: 1-line block ×3, first 2 shown]
	v_cmp_lt_u32_e32 vcc, 1, v24
	s_and_saveexec_b64 s[48:49], vcc
; %bb.96:
	v_mov_b32_e32 v24, 0
	v_cmp_eq_u16_sdwa vcc, v36, v24 src0_sel:BYTE_0 src1_sel:DWORD
	v_and_b32_e32 v21, 1, v21
	v_cmp_eq_u32_e64 s[0:1], 1, v21
	v_cndmask_b32_e32 v25, 0, v40, vcc
	v_cndmask_b32_e32 v24, 0, v37, vcc
	v_lshl_add_u64 v[4:5], v[24:25], 0, v[4:5]
	v_and_b32_e32 v24, 1, v36
	v_cmp_eq_u32_e32 vcc, 1, v24
	s_or_b64 s[0:1], vcc, s[0:1]
	v_cndmask_b32_e64 v25, 0, 1, s[0:1]
; %bb.97:
	s_or_b64 exec, exec, s[48:49]
	ds_write_b64 v20, v[4:5]
	ds_write_b8 v20, v25 offset:8
.LBB107_98:
	s_or_b64 exec, exec, s[34:35]
	v_cmp_gt_u32_e32 vcc, 64, v0
	v_cmp_lt_u32_e64 s[0:1], 63, v0
	v_mov_b32_e32 v36, 0
	v_mov_b64_e32 v[4:5], 0
	s_waitcnt lgkmcnt(0)
	s_barrier
	s_and_saveexec_b64 s[34:35], s[0:1]
	s_cbranch_execz .LBB107_100
; %bb.99:
	v_lshl_add_u32 v13, v13, 4, -16
	ds_read_b64 v[4:5], v13
	ds_read_u8 v36, v13 offset:8
	v_and_b32_e32 v20, 1, v12
	v_cmp_eq_u32_e64 s[0:1], 0, v12
	s_waitcnt lgkmcnt(1)
	s_nop 0
	v_cndmask_b32_e64 v13, 0, v5, s[0:1]
	v_cndmask_b32_e64 v12, 0, v4, s[0:1]
	v_cmp_eq_u32_e64 s[0:1], 1, v20
	v_lshl_add_u64 v[8:9], v[12:13], 0, v[8:9]
	s_waitcnt lgkmcnt(0)
	v_cndmask_b32_e64 v12, v36, 1, s[0:1]
.LBB107_100:
	s_or_b64 exec, exec, s[34:35]
	v_add_u32_e32 v13, -1, v44
	v_and_b32_e32 v20, 64, v44
	v_cmp_lt_i32_e64 s[0:1], v13, v20
	v_cmp_eq_u32_e64 s[34:35], 0, v44
	s_nop 0
	v_cndmask_b32_e64 v13, v13, v44, s[0:1]
	v_lshlrev_b32_e32 v13, 2, v13
	ds_bpermute_b32 v37, v13, v8
	ds_bpermute_b32 v40, v13, v9
	;; [unrolled: 1-line block ×3, first 2 shown]
	s_and_saveexec_b64 s[48:49], vcc
	s_cbranch_execz .LBB107_147
; %bb.101:
	v_mov_b32_e32 v13, 0
	ds_read2_b64 v[48:51], v13 offset0:6 offset1:7
	s_and_saveexec_b64 s[0:1], s[34:35]
	s_cbranch_execz .LBB107_103
; %bb.102:
	s_add_i32 s54, s47, 64
	s_mov_b32 s55, 0
	s_lshl_b64 s[60:61], s[54:55], 4
	s_add_u32 s60, s40, s60
	s_addc_u32 s61, s41, s61
	v_mov_b32_e32 v8, s54
	v_mov_b32_e32 v9, 1
	s_waitcnt lgkmcnt(0)
	global_store_dword v13, v48, s[60:61] sc1
	global_store_dword v13, v49, s[60:61] offset:4 sc1
	global_store_dword v13, v50, s[60:61] offset:8 sc1
	;; [unrolled: 1-line block ×3, first 2 shown]
	s_waitcnt vmcnt(0)
	global_store_byte v8, v9, s[44:45] sc1
.LBB107_103:
	s_or_b64 exec, exec, s[0:1]
	v_xad_u32 v8, v44, -1, s47
	v_add_u32_e32 v12, 64, v8
	global_load_ubyte v45, v12, s[44:45] sc1
	s_waitcnt vmcnt(0)
	v_cmp_eq_u16_e32 vcc, 0, v45
	s_and_saveexec_b64 s[0:1], vcc
	s_cbranch_execz .LBB107_109
; %bb.104:
	v_lshl_add_u64 v[20:21], s[44:45], 0, v[12:13]
	s_mov_b32 s60, 1
	s_mov_b64 s[54:55], 0
.LBB107_105:                            ; =>This Loop Header: Depth=1
                                        ;     Child Loop BB107_106 Depth 2
	s_max_u32 s61, s60, 1
.LBB107_106:                            ;   Parent Loop BB107_105 Depth=1
                                        ; =>  This Inner Loop Header: Depth=2
	s_add_i32 s61, s61, -1
	s_cmp_eq_u32 s61, 0
	s_sleep 1
	s_cbranch_scc0 .LBB107_106
; %bb.107:                              ;   in Loop: Header=BB107_105 Depth=1
	global_load_ubyte v45, v[20:21], off sc1
	s_cmp_lt_u32 s60, 32
	s_cselect_b64 s[62:63], -1, 0
	s_cmp_lg_u64 s[62:63], 0
	s_addc_u32 s60, s60, 0
	s_waitcnt vmcnt(0)
	v_cmp_ne_u16_e32 vcc, 0, v45
	s_or_b64 s[54:55], vcc, s[54:55]
	s_andn2_b64 exec, exec, s[54:55]
	s_cbranch_execnz .LBB107_105
; %bb.108:
	s_or_b64 exec, exec, s[54:55]
.LBB107_109:
	s_or_b64 exec, exec, s[0:1]
	v_mov_b32_e32 v9, s43
	v_mov_b32_e32 v20, s41
	v_cmp_eq_u16_e32 vcc, 1, v45
	s_waitcnt vmcnt(0) lgkmcnt(0)
	s_nop 0
	v_cndmask_b32_e32 v21, v9, v20, vcc
	v_mov_b32_e32 v9, s42
	v_mov_b32_e32 v20, s40
	v_cndmask_b32_e32 v20, v9, v20, vcc
	v_lshl_add_u64 v[12:13], v[12:13], 4, v[20:21]
	global_load_dword v24, v[12:13], off sc1
	global_load_dword v25, v[12:13], off offset:4 sc1
	global_load_dword v64, v[12:13], off offset:8 sc1
	;; [unrolled: 1-line block ×3, first 2 shown]
	v_cmp_eq_u16_e32 vcc, 2, v45
	v_lshlrev_b64 v[12:13], v44, -1
	v_and_b32_e32 v51, 63, v44
	s_waitcnt vmcnt(0)
	v_and_b32_e32 v9, vcc_hi, v13
	v_and_b32_e32 v55, vcc_lo, v12
	v_cmp_ne_u32_e32 vcc, 63, v51
	v_or_b32_e32 v9, 0x80000000, v9
	v_ffbl_b32_e32 v9, v9
	v_addc_co_u32_e32 v20, vcc, 0, v44, vcc
	v_lshlrev_b32_e32 v52, 2, v20
	v_add_u32_e32 v9, 32, v9
	v_ffbl_b32_e32 v55, v55
	v_min_u32_e32 v9, v55, v9
	v_cmp_lt_u32_e32 vcc, v51, v9
	ds_bpermute_b32 v53, v52, v24
	ds_bpermute_b32 v54, v52, v25
	v_and_b32_e32 v20, 0xff, v64
	ds_bpermute_b32 v21, v52, v20
	s_and_saveexec_b64 s[0:1], vcc
	s_cbranch_execz .LBB107_111
; %bb.110:
	v_mov_b32_e32 v20, 0
	v_cmp_eq_u16_sdwa vcc, v64, v20 src0_sel:BYTE_0 src1_sel:DWORD
	s_waitcnt lgkmcnt(0)
	v_or_b32_e32 v20, v21, v64
	v_and_b32_e32 v64, 1, v20
	v_cndmask_b32_e32 v55, 0, v54, vcc
	v_cndmask_b32_e32 v54, 0, v53, vcc
	v_lshl_add_u64 v[24:25], v[54:55], 0, v[24:25]
	v_and_b32_e32 v20, 1, v20
.LBB107_111:
	s_or_b64 exec, exec, s[0:1]
	v_cmp_gt_u32_e32 vcc, 62, v51
	s_waitcnt lgkmcnt(1)
	v_add_u32_e32 v54, 2, v51
	s_waitcnt lgkmcnt(0)
	v_cndmask_b32_e64 v21, 0, 1, vcc
	v_lshlrev_b32_e32 v21, 1, v21
	v_add_lshl_u32 v53, v21, v44, 2
	ds_bpermute_b32 v55, v53, v24
	ds_bpermute_b32 v56, v53, v25
	ds_bpermute_b32 v21, v53, v20
	v_cmp_le_u32_e32 vcc, v54, v9
	s_and_saveexec_b64 s[54:55], vcc
	s_cbranch_execz .LBB107_113
; %bb.112:
	v_mov_b32_e32 v20, 0
	v_cmp_eq_u16_sdwa vcc, v64, v20 src0_sel:BYTE_0 src1_sel:DWORD
	v_and_b32_e32 v20, 1, v64
	s_waitcnt lgkmcnt(1)
	v_cndmask_b32_e32 v57, 0, v56, vcc
	v_cndmask_b32_e32 v56, 0, v55, vcc
	v_cmp_eq_u32_e32 vcc, 1, v20
	s_waitcnt lgkmcnt(0)
	v_and_b32_e32 v20, 1, v21
	v_cmp_eq_u32_e64 s[0:1], 1, v20
	s_or_b64 s[0:1], vcc, s[0:1]
	v_lshl_add_u64 v[24:25], v[56:57], 0, v[24:25]
	v_cndmask_b32_e64 v64, 0, 1, s[0:1]
	v_cndmask_b32_e64 v20, 0, 1, s[0:1]
.LBB107_113:
	s_or_b64 exec, exec, s[54:55]
	v_cmp_gt_u32_e32 vcc, 60, v51
	s_waitcnt lgkmcnt(1)
	v_add_u32_e32 v56, 4, v51
	s_waitcnt lgkmcnt(0)
	v_cndmask_b32_e64 v21, 0, 1, vcc
	v_lshlrev_b32_e32 v21, 2, v21
	v_add_lshl_u32 v55, v21, v44, 2
	ds_bpermute_b32 v57, v55, v24
	ds_bpermute_b32 v58, v55, v25
	ds_bpermute_b32 v21, v55, v20
	v_cmp_le_u32_e32 vcc, v56, v9
	s_and_saveexec_b64 s[54:55], vcc
	s_cbranch_execz .LBB107_115
; %bb.114:
	v_mov_b32_e32 v20, 0
	v_cmp_eq_u16_sdwa vcc, v64, v20 src0_sel:BYTE_0 src1_sel:DWORD
	v_and_b32_e32 v20, 1, v64
	s_waitcnt lgkmcnt(1)
	v_cndmask_b32_e32 v59, 0, v58, vcc
	v_cndmask_b32_e32 v58, 0, v57, vcc
	v_cmp_eq_u32_e32 vcc, 1, v20
	s_waitcnt lgkmcnt(0)
	v_and_b32_e32 v20, 1, v21
	v_cmp_eq_u32_e64 s[0:1], 1, v20
	s_or_b64 s[0:1], vcc, s[0:1]
	v_lshl_add_u64 v[24:25], v[58:59], 0, v[24:25]
	v_cndmask_b32_e64 v64, 0, 1, s[0:1]
	v_cndmask_b32_e64 v20, 0, 1, s[0:1]
.LBB107_115:
	;; [unrolled: 30-line block ×4, first 2 shown]
	s_or_b64 exec, exec, s[54:55]
	v_cmp_gt_u32_e32 vcc, 32, v51
	s_waitcnt lgkmcnt(1)
	v_add_u32_e32 v62, 32, v51
	s_waitcnt lgkmcnt(0)
	v_cndmask_b32_e64 v21, 0, 1, vcc
	v_lshlrev_b32_e32 v21, 5, v21
	v_add_lshl_u32 v61, v21, v44, 2
	ds_bpermute_b32 v21, v61, v24
	ds_bpermute_b32 v44, v61, v25
	;; [unrolled: 1-line block ×3, first 2 shown]
	v_cmp_le_u32_e32 vcc, v62, v9
	s_and_saveexec_b64 s[54:55], vcc
	s_cbranch_execz .LBB107_121
; %bb.120:
	v_mov_b32_e32 v9, 0
	v_cmp_eq_u16_sdwa vcc, v64, v9 src0_sel:BYTE_0 src1_sel:DWORD
	v_and_b32_e32 v9, 1, v64
	s_waitcnt lgkmcnt(1)
	v_cndmask_b32_e32 v67, 0, v44, vcc
	v_cndmask_b32_e32 v66, 0, v21, vcc
	v_cmp_eq_u32_e32 vcc, 1, v9
	s_waitcnt lgkmcnt(0)
	v_and_b32_e32 v9, 1, v20
	v_cmp_eq_u32_e64 s[0:1], 1, v9
	s_or_b64 s[0:1], vcc, s[0:1]
	v_lshl_add_u64 v[24:25], v[66:67], 0, v[24:25]
	v_cndmask_b32_e64 v64, 0, 1, s[0:1]
.LBB107_121:
	s_or_b64 exec, exec, s[54:55]
	v_mov_b32_e32 v9, 0
	v_mov_b32_e32 v63, 2
	s_branch .LBB107_123
.LBB107_122:                            ;   in Loop: Header=BB107_123 Depth=1
	s_or_b64 exec, exec, s[60:61]
	v_cmp_eq_u16_sdwa vcc, v44, v9 src0_sel:BYTE_0 src1_sel:DWORD
	v_and_b32_e32 v64, 1, v44
	v_subrev_u32_e32 v8, 64, v8
	v_cndmask_b32_e32 v25, 0, v25, vcc
	v_cndmask_b32_e32 v24, 0, v24, vcc
	v_cmp_eq_u32_e32 vcc, 1, v64
	s_or_b64 s[0:1], vcc, s[54:55]
	v_lshl_add_u64 v[24:25], v[24:25], 0, v[20:21]
	v_cndmask_b32_e64 v64, 0, 1, s[0:1]
.LBB107_123:                            ; =>This Loop Header: Depth=1
                                        ;     Child Loop BB107_126 Depth 2
                                        ;       Child Loop BB107_127 Depth 3
	v_cmp_ne_u16_sdwa s[0:1], v45, v63 src0_sel:BYTE_0 src1_sel:DWORD
	s_waitcnt lgkmcnt(1)
	v_mov_b32_e32 v44, v64
	s_waitcnt lgkmcnt(0)
	v_cndmask_b32_e64 v20, 0, 1, s[0:1]
	;;#ASMSTART
	;;#ASMEND
	s_nop 0
	v_cmp_ne_u32_e32 vcc, 0, v20
	s_cmp_lg_u64 vcc, exec
	v_mov_b64_e32 v[20:21], v[24:25]
	s_cbranch_scc1 .LBB107_142
; %bb.124:                              ;   in Loop: Header=BB107_123 Depth=1
	global_load_ubyte v45, v8, s[44:45] sc1
	s_waitcnt vmcnt(0)
	v_cmp_eq_u16_e32 vcc, 0, v45
	s_and_saveexec_b64 s[0:1], vcc
	s_cbranch_execz .LBB107_130
; %bb.125:                              ;   in Loop: Header=BB107_123 Depth=1
	v_lshl_add_u64 v[24:25], s[44:45], 0, v[8:9]
	s_mov_b32 s60, 1
	s_mov_b64 s[54:55], 0
.LBB107_126:                            ;   Parent Loop BB107_123 Depth=1
                                        ; =>  This Loop Header: Depth=2
                                        ;       Child Loop BB107_127 Depth 3
	s_max_u32 s61, s60, 1
.LBB107_127:                            ;   Parent Loop BB107_123 Depth=1
                                        ;     Parent Loop BB107_126 Depth=2
                                        ; =>    This Inner Loop Header: Depth=3
	s_add_i32 s61, s61, -1
	s_cmp_eq_u32 s61, 0
	s_sleep 1
	s_cbranch_scc0 .LBB107_127
; %bb.128:                              ;   in Loop: Header=BB107_126 Depth=2
	global_load_ubyte v45, v[24:25], off sc1
	s_cmp_lt_u32 s60, 32
	s_cselect_b64 s[62:63], -1, 0
	s_cmp_lg_u64 s[62:63], 0
	s_addc_u32 s60, s60, 0
	s_waitcnt vmcnt(0)
	v_cmp_ne_u16_e32 vcc, 0, v45
	s_or_b64 s[54:55], vcc, s[54:55]
	s_andn2_b64 exec, exec, s[54:55]
	s_cbranch_execnz .LBB107_126
; %bb.129:                              ;   in Loop: Header=BB107_123 Depth=1
	s_or_b64 exec, exec, s[54:55]
.LBB107_130:                            ;   in Loop: Header=BB107_123 Depth=1
	s_or_b64 exec, exec, s[0:1]
	v_mov_b32_e32 v24, s43
	v_mov_b32_e32 v25, s41
	v_cmp_eq_u16_e32 vcc, 1, v45
	v_mov_b32_e32 v64, s40
	s_waitcnt vmcnt(0)
	v_cndmask_b32_e32 v25, v24, v25, vcc
	v_mov_b32_e32 v24, s42
	v_cndmask_b32_e32 v24, v24, v64, vcc
	v_lshl_add_u64 v[66:67], v[8:9], 4, v[24:25]
	global_load_dword v24, v[66:67], off sc1
	global_load_dword v25, v[66:67], off offset:4 sc1
	global_load_dword v64, v[66:67], off offset:8 sc1
	;; [unrolled: 1-line block ×3, first 2 shown]
	v_cmp_eq_u16_e32 vcc, 2, v45
	s_waitcnt vmcnt(3)
	ds_bpermute_b32 v68, v52, v24
	s_waitcnt vmcnt(0)
	v_and_b32_e32 v65, vcc_hi, v13
	v_and_b32_e32 v66, 0xff, v64
	v_or_b32_e32 v65, 0x80000000, v65
	ds_bpermute_b32 v69, v52, v25
	ds_bpermute_b32 v67, v52, v66
	v_and_b32_e32 v70, vcc_lo, v12
	v_ffbl_b32_e32 v65, v65
	v_add_u32_e32 v65, 32, v65
	v_ffbl_b32_e32 v70, v70
	v_min_u32_e32 v65, v70, v65
	v_cmp_lt_u32_e32 vcc, v51, v65
	s_and_saveexec_b64 s[0:1], vcc
	s_cbranch_execz .LBB107_132
; %bb.131:                              ;   in Loop: Header=BB107_123 Depth=1
	v_cmp_eq_u16_sdwa vcc, v64, v9 src0_sel:BYTE_0 src1_sel:DWORD
	s_waitcnt lgkmcnt(0)
	v_or_b32_e32 v66, v67, v64
	v_and_b32_e32 v64, 1, v66
	v_cndmask_b32_e32 v69, 0, v69, vcc
	v_cndmask_b32_e32 v68, 0, v68, vcc
	v_lshl_add_u64 v[24:25], v[68:69], 0, v[24:25]
	v_and_b32_e32 v66, 1, v66
.LBB107_132:                            ;   in Loop: Header=BB107_123 Depth=1
	s_or_b64 exec, exec, s[0:1]
	s_waitcnt lgkmcnt(2)
	ds_bpermute_b32 v68, v53, v24
	s_waitcnt lgkmcnt(2)
	ds_bpermute_b32 v69, v53, v25
	;; [unrolled: 2-line block ×3, first 2 shown]
	v_and_b32_e32 v70, 1, v64
	v_cmp_le_u32_e32 vcc, v54, v65
	v_cmp_eq_u32_e64 s[54:55], 1, v70
	s_and_saveexec_b64 s[0:1], vcc
	s_cbranch_execz .LBB107_134
; %bb.133:                              ;   in Loop: Header=BB107_123 Depth=1
	v_cmp_eq_u16_sdwa vcc, v64, v9 src0_sel:BYTE_0 src1_sel:DWORD
	s_waitcnt lgkmcnt(0)
	v_and_b32_e32 v64, 1, v67
	v_cndmask_b32_e32 v69, 0, v69, vcc
	v_cndmask_b32_e32 v68, 0, v68, vcc
	v_cmp_eq_u32_e32 vcc, 1, v64
	s_or_b64 s[60:61], s[54:55], vcc
	v_cndmask_b32_e64 v64, 0, 1, s[60:61]
	v_cndmask_b32_e64 v66, 0, 1, s[60:61]
	s_andn2_b64 s[54:55], s[54:55], exec
	s_and_b64 s[60:61], s[60:61], exec
	v_lshl_add_u64 v[24:25], v[68:69], 0, v[24:25]
	s_or_b64 s[54:55], s[54:55], s[60:61]
.LBB107_134:                            ;   in Loop: Header=BB107_123 Depth=1
	s_or_b64 exec, exec, s[0:1]
	s_waitcnt lgkmcnt(2)
	ds_bpermute_b32 v68, v55, v24
	s_waitcnt lgkmcnt(2)
	ds_bpermute_b32 v69, v55, v25
	s_waitcnt lgkmcnt(2)
	ds_bpermute_b32 v67, v55, v66
	v_cmp_le_u32_e32 vcc, v56, v65
	s_and_saveexec_b64 s[60:61], vcc
	s_cbranch_execz .LBB107_136
; %bb.135:                              ;   in Loop: Header=BB107_123 Depth=1
	v_cmp_eq_u16_sdwa vcc, v64, v9 src0_sel:BYTE_0 src1_sel:DWORD
	v_and_b32_e32 v64, 1, v64
	s_andn2_b64 s[54:55], s[54:55], exec
	s_waitcnt lgkmcnt(1)
	v_cndmask_b32_e32 v69, 0, v69, vcc
	v_cndmask_b32_e32 v68, 0, v68, vcc
	v_cmp_eq_u32_e32 vcc, 1, v64
	s_waitcnt lgkmcnt(0)
	v_and_b32_e32 v64, 1, v67
	v_cmp_eq_u32_e64 s[0:1], 1, v64
	s_or_b64 s[0:1], vcc, s[0:1]
	v_lshl_add_u64 v[24:25], v[68:69], 0, v[24:25]
	v_cndmask_b32_e64 v64, 0, 1, s[0:1]
	v_cndmask_b32_e64 v66, 0, 1, s[0:1]
	s_and_b64 s[0:1], s[0:1], exec
	s_or_b64 s[54:55], s[54:55], s[0:1]
.LBB107_136:                            ;   in Loop: Header=BB107_123 Depth=1
	s_or_b64 exec, exec, s[60:61]
	s_waitcnt lgkmcnt(2)
	ds_bpermute_b32 v68, v57, v24
	s_waitcnt lgkmcnt(2)
	ds_bpermute_b32 v69, v57, v25
	s_waitcnt lgkmcnt(2)
	ds_bpermute_b32 v67, v57, v66
	v_cmp_le_u32_e32 vcc, v58, v65
	s_and_saveexec_b64 s[60:61], vcc
	s_cbranch_execz .LBB107_138
; %bb.137:                              ;   in Loop: Header=BB107_123 Depth=1
	v_cmp_eq_u16_sdwa vcc, v64, v9 src0_sel:BYTE_0 src1_sel:DWORD
	v_and_b32_e32 v64, 1, v64
	s_andn2_b64 s[54:55], s[54:55], exec
	s_waitcnt lgkmcnt(1)
	v_cndmask_b32_e32 v69, 0, v69, vcc
	v_cndmask_b32_e32 v68, 0, v68, vcc
	v_cmp_eq_u32_e32 vcc, 1, v64
	s_waitcnt lgkmcnt(0)
	v_and_b32_e32 v64, 1, v67
	v_cmp_eq_u32_e64 s[0:1], 1, v64
	s_or_b64 s[0:1], vcc, s[0:1]
	v_lshl_add_u64 v[24:25], v[68:69], 0, v[24:25]
	v_cndmask_b32_e64 v64, 0, 1, s[0:1]
	v_cndmask_b32_e64 v66, 0, 1, s[0:1]
	s_and_b64 s[0:1], s[0:1], exec
	s_or_b64 s[54:55], s[54:55], s[0:1]
.LBB107_138:                            ;   in Loop: Header=BB107_123 Depth=1
	;; [unrolled: 28-line block ×3, first 2 shown]
	s_or_b64 exec, exec, s[60:61]
	s_waitcnt lgkmcnt(0)
	ds_bpermute_b32 v67, v61, v24
	ds_bpermute_b32 v68, v61, v25
	;; [unrolled: 1-line block ×3, first 2 shown]
	v_cmp_le_u32_e32 vcc, v62, v65
	s_and_saveexec_b64 s[60:61], vcc
	s_cbranch_execz .LBB107_122
; %bb.141:                              ;   in Loop: Header=BB107_123 Depth=1
	v_cmp_eq_u16_sdwa vcc, v64, v9 src0_sel:BYTE_0 src1_sel:DWORD
	v_and_b32_e32 v64, 1, v64
	s_andn2_b64 s[54:55], s[54:55], exec
	s_waitcnt lgkmcnt(1)
	v_cndmask_b32_e32 v69, 0, v68, vcc
	v_cndmask_b32_e32 v68, 0, v67, vcc
	v_cmp_eq_u32_e32 vcc, 1, v64
	s_waitcnt lgkmcnt(0)
	v_and_b32_e32 v64, 1, v66
	v_cmp_eq_u32_e64 s[0:1], 1, v64
	s_or_b64 s[0:1], vcc, s[0:1]
	s_and_b64 s[0:1], s[0:1], exec
	v_lshl_add_u64 v[24:25], v[68:69], 0, v[24:25]
	s_or_b64 s[54:55], s[54:55], s[0:1]
	s_branch .LBB107_122
.LBB107_142:                            ;   in Loop: Header=BB107_123 Depth=1
                                        ; implicit-def: $vgpr64
                                        ; implicit-def: $vgpr24_vgpr25
                                        ; implicit-def: $vgpr45
	s_cbranch_execz .LBB107_123
; %bb.143:
	s_and_saveexec_b64 s[0:1], s[34:35]
	s_cbranch_execz .LBB107_145
; %bb.144:
	s_mov_b32 s41, 0
	v_mov_b32_e32 v12, 0
	s_add_i32 s40, s47, 64
	v_cmp_eq_u32_sdwa vcc, v50, v12 src0_sel:BYTE_0 src1_sel:DWORD
	s_lshl_b64 s[54:55], s[40:41], 4
	v_and_b32_e32 v13, 1, v50
	v_cndmask_b32_e32 v9, 0, v21, vcc
	v_cndmask_b32_e32 v8, 0, v20, vcc
	s_add_u32 s54, s42, s54
	v_lshl_add_u64 v[8:9], v[8:9], 0, v[48:49]
	v_and_b32_e32 v24, 1, v44
	v_cmp_eq_u32_e32 vcc, 1, v13
	s_addc_u32 s55, s43, s55
	s_nop 0
	v_cndmask_b32_e64 v13, v24, 1, vcc
	global_store_dword v12, v8, s[54:55] sc1
	global_store_dword v12, v9, s[54:55] offset:4 sc1
	global_store_dword v12, v13, s[54:55] offset:8 sc1
	;; [unrolled: 1-line block ×3, first 2 shown]
	v_mov_b32_e32 v8, s40
	v_mov_b32_e32 v9, 2
	s_waitcnt vmcnt(0) lgkmcnt(0)
	global_store_byte v8, v9, s[44:45] sc1
.LBB107_145:
	s_or_b64 exec, exec, s[0:1]
	s_and_b64 exec, exec, s[36:37]
	s_cbranch_execz .LBB107_147
; %bb.146:
	v_mov_b32_e32 v8, 0
	ds_write_b64 v8, v[20:21] offset:48
	ds_write_b8 v8, v44 offset:56
.LBB107_147:
	s_or_b64 exec, exec, s[48:49]
	s_waitcnt lgkmcnt(0)
	v_cndmask_b32_e64 v8, v41, v36, s[34:35]
	v_mov_b32_e32 v13, 0
	v_cndmask_b32_e64 v9, v40, v5, s[34:35]
	v_cndmask_b32_e64 v12, v37, v4, s[34:35]
	v_cmp_eq_u16_sdwa vcc, v1, v13 src0_sel:BYTE_0 src1_sel:DWORD
	v_and_b32_e32 v20, 1, v1
	v_and_b32_e32 v8, 1, v8
	s_barrier
	ds_read_b64 v[4:5], v13 offset:48
	v_cndmask_b32_e32 v12, 0, v12, vcc
	v_cndmask_b32_e32 v9, 0, v9, vcc
	v_cmp_eq_u32_e32 vcc, 1, v20
	v_cmp_eq_u32_e64 s[0:1], 1, v8
	s_or_b64 s[0:1], vcc, s[0:1]
	v_cndmask_b32_e64 v9, v9, 0, s[36:37]
	v_cndmask_b32_e64 v8, 0, 1, s[0:1]
	;; [unrolled: 1-line block ×4, first 2 shown]
	v_cmp_eq_u16_sdwa vcc, v20, v13 src0_sel:BYTE_0 src1_sel:DWORD
	v_lshl_add_u64 v[8:9], v[8:9], 0, v[2:3]
	s_waitcnt lgkmcnt(0)
	v_cndmask_b32_e32 v5, 0, v5, vcc
	v_cndmask_b32_e32 v4, 0, v4, vcc
	v_lshl_add_u64 v[48:49], v[8:9], 0, v[4:5]
	v_cndmask_b32_e64 v5, 0, v49, s[6:7]
	v_cndmask_b32_e64 v4, 0, v48, s[6:7]
	v_lshl_add_u64 v[50:51], v[4:5], 0, v[14:15]
	v_cndmask_b32_e64 v5, 0, v51, s[8:9]
	v_cndmask_b32_e64 v4, 0, v50, s[8:9]
	v_lshl_add_u64 v[52:53], v[4:5], 0, v[6:7]
	v_cndmask_b32_e64 v5, 0, v53, s[10:11]
	v_cndmask_b32_e64 v4, 0, v52, s[10:11]
	v_lshl_add_u64 v[54:55], v[4:5], 0, v[22:23]
	v_cndmask_b32_e64 v5, 0, v55, s[12:13]
	v_cndmask_b32_e64 v4, 0, v54, s[12:13]
	v_lshl_add_u64 v[56:57], v[4:5], 0, v[10:11]
	v_cndmask_b32_e64 v5, 0, v57, s[14:15]
	v_cndmask_b32_e64 v4, 0, v56, s[14:15]
	v_lshl_add_u64 v[58:59], v[4:5], 0, v[30:31]
	v_cndmask_b32_e64 v5, 0, v59, s[16:17]
	v_cndmask_b32_e64 v4, 0, v58, s[16:17]
	v_lshl_add_u64 v[60:61], v[4:5], 0, v[18:19]
	v_cndmask_b32_e64 v5, 0, v61, s[18:19]
	v_cndmask_b32_e64 v4, 0, v60, s[18:19]
	v_lshl_add_u64 v[62:63], v[4:5], 0, v[38:39]
	v_cndmask_b32_e64 v5, 0, v63, s[20:21]
	v_cndmask_b32_e64 v4, 0, v62, s[20:21]
	v_lshl_add_u64 v[64:65], v[4:5], 0, v[26:27]
	v_cndmask_b32_e64 v5, 0, v65, s[22:23]
	v_cndmask_b32_e64 v4, 0, v64, s[22:23]
	v_lshl_add_u64 v[66:67], v[4:5], 0, v[42:43]
	v_cndmask_b32_e64 v5, 0, v67, s[24:25]
	v_cndmask_b32_e64 v4, 0, v66, s[24:25]
	v_lshl_add_u64 v[68:69], v[4:5], 0, v[34:35]
	v_cndmask_b32_e64 v5, 0, v69, s[26:27]
	v_cndmask_b32_e64 v4, 0, v68, s[26:27]
	v_lshl_add_u64 v[70:71], v[4:5], 0, v[46:47]
	v_cndmask_b32_e64 v5, 0, v71, s[28:29]
	v_cndmask_b32_e64 v4, 0, v70, s[28:29]
	v_lshl_add_u64 v[72:73], v[4:5], 0, v[78:79]
	v_cndmask_b32_e64 v5, 0, v73, s[30:31]
	v_cndmask_b32_e64 v4, 0, v72, s[30:31]
	v_lshl_add_u64 v[74:75], v[4:5], 0, v[16:17]
	s_branch .LBB107_178
.LBB107_148:
                                        ; implicit-def: $vgpr74_vgpr75
                                        ; implicit-def: $vgpr70_vgpr71
                                        ; implicit-def: $vgpr66_vgpr67
                                        ; implicit-def: $vgpr62_vgpr63
                                        ; implicit-def: $vgpr58_vgpr59
                                        ; implicit-def: $vgpr54_vgpr55
                                        ; implicit-def: $vgpr50_vgpr51
	s_cbranch_execz .LBB107_178
; %bb.149:
	s_cmp_lg_u64 s[58:59], 0
	s_cselect_b32 s7, s51, 0
	s_cselect_b32 s6, s50, 0
	s_cmp_lg_u64 s[6:7], 0
	s_cselect_b64 s[0:1], -1, 0
	s_and_b64 s[8:9], s[36:37], s[0:1]
	s_and_saveexec_b64 s[0:1], s[8:9]
	s_cbranch_execz .LBB107_151
; %bb.150:
	v_mov_b32_e32 v8, 0
	global_load_dwordx2 v[4:5], v8, s[6:7]
	global_load_ubyte v9, v8, s[6:7] offset:8
	v_cmp_eq_u16_sdwa vcc, v1, v8 src0_sel:BYTE_0 src1_sel:DWORD
	s_waitcnt vmcnt(0)
	v_or_b32_e32 v1, v1, v9
	v_cndmask_b32_e32 v5, 0, v5, vcc
	v_cndmask_b32_e32 v4, 0, v4, vcc
	v_lshl_add_u64 v[2:3], v[4:5], 0, v[2:3]
	v_and_b32_e32 v1, 1, v1
.LBB107_151:
	s_or_b64 exec, exec, s[0:1]
	v_mov_b32_e32 v9, 0
	v_cmp_eq_u16_sdwa vcc, v82, v9 src0_sel:BYTE_0 src1_sel:DWORD
	v_cmp_eq_u16_sdwa s[6:7], v81, v9 src0_sel:BYTE_0 src1_sel:DWORD
	v_cmp_eq_u16_sdwa s[8:9], v83, v9 src0_sel:BYTE_0 src1_sel:DWORD
	v_cndmask_b32_e32 v5, 0, v3, vcc
	v_cndmask_b32_e32 v4, 0, v2, vcc
	v_lshl_add_u64 v[50:51], v[4:5], 0, v[14:15]
	v_cndmask_b32_e64 v5, 0, v51, s[6:7]
	v_cndmask_b32_e64 v4, 0, v50, s[6:7]
	v_lshl_add_u64 v[52:53], v[4:5], 0, v[6:7]
	v_cndmask_b32_e64 v5, 0, v53, s[8:9]
	v_cndmask_b32_e64 v4, 0, v52, s[8:9]
	v_lshl_add_u64 v[54:55], v[4:5], 0, v[22:23]
	v_cmp_eq_u16_sdwa s[10:11], v84, v9 src0_sel:BYTE_0 src1_sel:DWORD
	v_cmp_eq_u16_sdwa s[12:13], v85, v9 src0_sel:BYTE_0 src1_sel:DWORD
	v_cmp_eq_u16_sdwa s[14:15], v86, v9 src0_sel:BYTE_0 src1_sel:DWORD
	v_cndmask_b32_e64 v5, 0, v55, s[10:11]
	v_cndmask_b32_e64 v4, 0, v54, s[10:11]
	v_lshl_add_u64 v[56:57], v[4:5], 0, v[10:11]
	v_cndmask_b32_e64 v5, 0, v57, s[12:13]
	v_cndmask_b32_e64 v4, 0, v56, s[12:13]
	v_lshl_add_u64 v[58:59], v[4:5], 0, v[30:31]
	v_cndmask_b32_e64 v5, 0, v59, s[14:15]
	v_cndmask_b32_e64 v4, 0, v58, s[14:15]
	v_lshl_add_u64 v[60:61], v[4:5], 0, v[18:19]
	v_cmp_eq_u16_sdwa s[16:17], v87, v9 src0_sel:BYTE_0 src1_sel:DWORD
	v_cmp_eq_u16_sdwa s[18:19], v88, v9 src0_sel:BYTE_0 src1_sel:DWORD
	v_cmp_eq_u16_sdwa s[20:21], v89, v9 src0_sel:BYTE_0 src1_sel:DWORD
	v_cndmask_b32_e64 v5, 0, v61, s[16:17]
	v_cndmask_b32_e64 v4, 0, v60, s[16:17]
	;; [unrolled: 12-line block ×3, first 2 shown]
	v_lshl_add_u64 v[68:69], v[4:5], 0, v[34:35]
	v_cndmask_b32_e64 v5, 0, v69, s[24:25]
	v_cndmask_b32_e64 v4, 0, v68, s[24:25]
	v_lshl_add_u64 v[70:71], v[4:5], 0, v[46:47]
	v_cndmask_b32_e64 v5, 0, v71, s[26:27]
	v_cndmask_b32_e64 v4, 0, v70, s[26:27]
	v_lshl_add_u64 v[72:73], v[4:5], 0, v[78:79]
	v_cmp_eq_u16_sdwa s[28:29], v33, v9 src0_sel:BYTE_0 src1_sel:DWORD
	v_and_b32_e32 v8, 0xff, v1
	v_mbcnt_hi_u32_b32 v12, -1, v28
	v_cndmask_b32_e64 v5, 0, v73, s[28:29]
	v_cndmask_b32_e64 v4, 0, v72, s[28:29]
	v_lshl_add_u64 v[74:75], v[4:5], 0, v[16:17]
	v_or_b32_e32 v4, v29, v90
	v_or_b32_e32 v4, v4, v89
	v_or_b32_e32 v4, v4, v88
	v_or_b32_e32 v4, v4, v87
	v_or_b32_e32 v4, v4, v86
	v_or_b32_e32 v4, v4, v85
	v_or_b32_e32 v4, v4, v84
	v_or_b32_e32 v4, v4, v83
	v_or_b32_e32 v4, v4, v81
	v_or_b32_e32 v4, v4, v82
	v_and_b32_e32 v4, 1, v4
	v_cmp_eq_u32_e64 s[0:1], 1, v4
	v_and_b32_e32 v20, 15, v12
	v_mov_b32_dpp v24, v74 row_shr:1 row_mask:0xf bank_mask:0xf
	v_cndmask_b32_e64 v13, v8, 1, s[0:1]
	v_mov_b32_dpp v25, v75 row_shr:1 row_mask:0xf bank_mask:0xf
	v_cmp_ne_u32_e64 s[0:1], 0, v20
	v_mov_b32_dpp v21, v13 row_shr:1 row_mask:0xf bank_mask:0xf
	v_mov_b64_e32 v[4:5], v[74:75]
	v_mov_b32_e32 v9, v75
	v_mov_b32_e32 v8, v74
	s_and_saveexec_b64 s[30:31], s[0:1]
; %bb.152:
	v_cmp_eq_u32_e64 s[0:1], 0, v13
	v_and_or_b32 v13, v21, 1, v13
	s_nop 0
	v_cndmask_b32_e64 v5, 0, v25, s[0:1]
	v_cndmask_b32_e64 v4, 0, v24, s[0:1]
	v_lshl_add_u64 v[4:5], v[74:75], 0, v[4:5]
	v_mov_b32_e32 v9, v5
	v_mov_b32_e32 v8, v4
; %bb.153:
	s_or_b64 exec, exec, s[30:31]
	s_nop 0
	v_mov_b32_dpp v24, v8 row_shr:2 row_mask:0xf bank_mask:0xf
	v_mov_b32_dpp v25, v9 row_shr:2 row_mask:0xf bank_mask:0xf
	v_mov_b32_dpp v21, v13 row_shr:2 row_mask:0xf bank_mask:0xf
	v_cmp_lt_u32_e64 s[0:1], 1, v20
	s_and_saveexec_b64 s[30:31], s[0:1]
; %bb.154:
	v_cmp_eq_u32_e64 s[0:1], 0, v13
	s_nop 1
	v_cndmask_b32_e64 v9, 0, v25, s[0:1]
	v_cndmask_b32_e64 v8, 0, v24, s[0:1]
	v_lshl_add_u64 v[8:9], v[8:9], 0, v[4:5]
	v_or_b32_e32 v4, v21, v13
	v_and_b32_e32 v13, 1, v4
	v_mov_b64_e32 v[4:5], v[8:9]
; %bb.155:
	s_or_b64 exec, exec, s[30:31]
	v_mov_b32_dpp v24, v8 row_shr:4 row_mask:0xf bank_mask:0xf
	v_mov_b32_dpp v25, v9 row_shr:4 row_mask:0xf bank_mask:0xf
	v_mov_b32_dpp v21, v13 row_shr:4 row_mask:0xf bank_mask:0xf
	v_cmp_lt_u32_e64 s[0:1], 3, v20
	s_and_saveexec_b64 s[30:31], s[0:1]
; %bb.156:
	v_cmp_eq_u32_e64 s[0:1], 0, v13
	s_nop 1
	v_cndmask_b32_e64 v9, 0, v25, s[0:1]
	v_cndmask_b32_e64 v8, 0, v24, s[0:1]
	v_lshl_add_u64 v[8:9], v[8:9], 0, v[4:5]
	v_or_b32_e32 v4, v21, v13
	v_and_b32_e32 v13, 1, v4
	v_mov_b64_e32 v[4:5], v[8:9]
; %bb.157:
	s_or_b64 exec, exec, s[30:31]
	;; [unrolled: 16-line block ×3, first 2 shown]
	v_and_b32_e32 v25, 16, v12
	v_mov_b32_dpp v21, v8 row_bcast:15 row_mask:0xf bank_mask:0xf
	v_mov_b32_dpp v24, v9 row_bcast:15 row_mask:0xf bank_mask:0xf
	v_mov_b32_dpp v20, v13 row_bcast:15 row_mask:0xf bank_mask:0xf
	v_cmp_ne_u32_e64 s[0:1], 0, v25
	s_and_saveexec_b64 s[30:31], s[0:1]
; %bb.160:
	v_cmp_eq_u32_e64 s[0:1], 0, v13
	s_nop 1
	v_cndmask_b32_e64 v9, 0, v24, s[0:1]
	v_cndmask_b32_e64 v8, 0, v21, s[0:1]
	v_lshl_add_u64 v[4:5], v[8:9], 0, v[4:5]
	v_or_b32_e32 v8, v20, v13
	v_and_b32_e32 v13, 1, v8
	v_mov_b32_e32 v9, v5
	v_mov_b32_e32 v8, v4
; %bb.161:
	s_or_b64 exec, exec, s[30:31]
	s_nop 0
	v_mov_b32_dpp v20, v8 row_bcast:31 row_mask:0xf bank_mask:0xf
	v_mov_b32_dpp v21, v9 row_bcast:31 row_mask:0xf bank_mask:0xf
	;; [unrolled: 1-line block ×3, first 2 shown]
	v_cmp_lt_u32_e64 s[0:1], 31, v12
	v_mov_b32_e32 v8, v13
	s_and_saveexec_b64 s[30:31], s[0:1]
; %bb.162:
	v_cmp_eq_u32_e64 s[0:1], 0, v13
	v_or_b32_e32 v9, v9, v13
	v_and_b32_e32 v8, 1, v9
	v_cndmask_b32_e64 v21, 0, v21, s[0:1]
	v_cndmask_b32_e64 v20, 0, v20, s[0:1]
	v_lshl_add_u64 v[4:5], v[20:21], 0, v[4:5]
	v_and_b32_e32 v13, 1, v9
; %bb.163:
	s_or_b64 exec, exec, s[30:31]
	v_or_b32_e32 v9, 63, v0
	v_lshrrev_b32_e32 v20, 6, v0
	v_cmp_eq_u32_e64 s[0:1], v9, v0
	s_and_saveexec_b64 s[30:31], s[0:1]
	s_cbranch_execz .LBB107_165
; %bb.164:
	v_lshlrev_b32_e32 v9, 4, v20
	ds_write_b64 v9, v[4:5]
	ds_write_b8 v9, v8 offset:8
.LBB107_165:
	s_or_b64 exec, exec, s[30:31]
	v_cmp_gt_u32_e64 s[0:1], 4, v0
	s_waitcnt lgkmcnt(0)
	s_barrier
	s_and_saveexec_b64 s[34:35], s[0:1]
	s_cbranch_execz .LBB107_171
; %bb.166:
	v_lshlrev_b32_e32 v21, 4, v0
	ds_read_b64 v[8:9], v21
	ds_read_b32 v24, v21 offset:8
	v_and_b32_e32 v25, 3, v12
	v_cmp_ne_u32_e64 s[0:1], 0, v25
	s_waitcnt lgkmcnt(1)
	v_mov_b32_dpp v36, v8 row_shr:1 row_mask:0xf bank_mask:0xf
	v_mov_b32_dpp v37, v9 row_shr:1 row_mask:0xf bank_mask:0xf
	s_waitcnt lgkmcnt(0)
	v_mov_b32_dpp v33, v24 row_shr:1 row_mask:0xf bank_mask:0xf
	v_mov_b32_e32 v28, v24
	v_mov_b32_e32 v29, v24
	s_and_saveexec_b64 s[30:31], s[0:1]
; %bb.167:
	v_mov_b32_e32 v28, 0
	v_cmp_eq_u16_sdwa s[0:1], v24, v28 src0_sel:BYTE_0 src1_sel:DWORD
	s_nop 1
	v_cndmask_b32_e64 v29, 0, v37, s[0:1]
	v_cndmask_b32_e64 v28, 0, v36, s[0:1]
	v_lshl_add_u64 v[8:9], v[28:29], 0, v[8:9]
	v_or_b32_e32 v29, v33, v24
	v_and_b32_e32 v28, 1, v29
	v_and_b32_e32 v29, 1, v29
	s_movk_i32 s0, 0xff00
	v_and_or_b32 v24, v24, s0, v29
; %bb.168:
	s_or_b64 exec, exec, s[30:31]
	v_mov_b32_dpp v33, v8 row_shr:2 row_mask:0xf bank_mask:0xf
	v_mov_b32_dpp v36, v9 row_shr:2 row_mask:0xf bank_mask:0xf
	;; [unrolled: 1-line block ×3, first 2 shown]
	v_cmp_lt_u32_e64 s[0:1], 1, v25
	s_and_saveexec_b64 s[40:41], s[0:1]
; %bb.169:
	v_mov_b32_e32 v25, 0
	v_cmp_eq_u16_sdwa s[0:1], v29, v25 src0_sel:BYTE_0 src1_sel:DWORD
	v_and_b32_e32 v25, 1, v29
	v_and_b32_e32 v24, 1, v24
	v_cndmask_b32_e64 v37, 0, v36, s[0:1]
	v_cndmask_b32_e64 v36, 0, v33, s[0:1]
	v_cmp_eq_u32_e64 s[0:1], 1, v25
	v_cmp_eq_u32_e64 s[30:31], 1, v24
	s_or_b64 s[0:1], s[0:1], s[30:31]
	v_lshl_add_u64 v[8:9], v[36:37], 0, v[8:9]
	v_cndmask_b32_e64 v28, 0, 1, s[0:1]
; %bb.170:
	s_or_b64 exec, exec, s[40:41]
	ds_write_b64 v21, v[8:9]
	ds_write_b8 v21, v28 offset:8
.LBB107_171:
	s_or_b64 exec, exec, s[34:35]
	v_cmp_lt_u32_e64 s[0:1], 63, v0
	v_mov_b64_e32 v[8:9], 0
	s_waitcnt lgkmcnt(0)
	s_barrier
	s_and_saveexec_b64 s[30:31], s[0:1]
	s_cbranch_execz .LBB107_173
; %bb.172:
	v_lshl_add_u32 v8, v20, 4, -16
	ds_read_b64 v[8:9], v8
	v_cmp_eq_u32_e64 s[0:1], 0, v13
	s_waitcnt lgkmcnt(0)
	s_nop 0
	v_cndmask_b32_e64 v21, 0, v9, s[0:1]
	v_cndmask_b32_e64 v20, 0, v8, s[0:1]
	v_lshl_add_u64 v[4:5], v[20:21], 0, v[4:5]
.LBB107_173:
	s_or_b64 exec, exec, s[30:31]
	v_add_u32_e32 v13, -1, v12
	v_and_b32_e32 v20, 64, v12
	v_cmp_lt_i32_e64 s[0:1], v13, v20
	s_nop 1
	v_cndmask_b32_e64 v13, v13, v12, s[0:1]
	v_lshlrev_b32_e32 v13, 2, v13
	ds_bpermute_b32 v4, v13, v4
	ds_bpermute_b32 v5, v13, v5
	s_and_saveexec_b64 s[30:31], s[4:5]
	s_cbranch_execz .LBB107_175
; %bb.174:
	v_cmp_eq_u32_e64 s[0:1], 0, v12
	;;#ASMSTART
	;;#ASMEND
	s_waitcnt lgkmcnt(1)
	s_nop 0
	v_cndmask_b32_e64 v4, v4, v8, s[0:1]
	v_mov_b32_e32 v8, 0
	s_waitcnt lgkmcnt(0)
	v_cndmask_b32_e64 v5, v5, v9, s[0:1]
	v_cmp_eq_u16_sdwa s[0:1], v1, v8 src0_sel:BYTE_0 src1_sel:DWORD
	s_nop 1
	v_cndmask_b32_e64 v5, 0, v5, s[0:1]
	v_cndmask_b32_e64 v4, 0, v4, s[0:1]
	v_lshl_add_u64 v[2:3], v[4:5], 0, v[2:3]
	v_cndmask_b32_e32 v5, 0, v3, vcc
	v_cndmask_b32_e32 v4, 0, v2, vcc
	v_lshl_add_u64 v[50:51], v[4:5], 0, v[14:15]
	v_cndmask_b32_e64 v5, 0, v51, s[6:7]
	v_cndmask_b32_e64 v4, 0, v50, s[6:7]
	v_lshl_add_u64 v[52:53], v[4:5], 0, v[6:7]
	v_cndmask_b32_e64 v5, 0, v53, s[8:9]
	v_cndmask_b32_e64 v4, 0, v52, s[8:9]
	;; [unrolled: 3-line block ×12, first 2 shown]
	v_lshl_add_u64 v[74:75], v[4:5], 0, v[16:17]
.LBB107_175:
	s_or_b64 exec, exec, s[30:31]
	s_and_saveexec_b64 s[0:1], s[36:37]
	s_cbranch_execz .LBB107_177
; %bb.176:
	v_mov_b32_e32 v1, 0
	s_waitcnt lgkmcnt(0)
	ds_read_b64 v[4:5], v1 offset:48
	ds_read_u8 v6, v1 offset:56
	s_waitcnt lgkmcnt(1)
	global_store_dword v1, v4, s[42:43] offset:1024 sc1
	global_store_dword v1, v5, s[42:43] offset:1028 sc1
	s_waitcnt lgkmcnt(0)
	global_store_dword v1, v6, s[42:43] offset:1032 sc1
	global_store_dword v1, v1, s[42:43] offset:1036 sc1
	v_mov_b32_e32 v4, 2
	s_waitcnt vmcnt(0)
	global_store_byte v1, v4, s[44:45] offset:64 sc1
.LBB107_177:
	s_or_b64 exec, exec, s[0:1]
	v_mov_b64_e32 v[48:49], v[2:3]
.LBB107_178:
	s_add_u32 s0, s38, s56
	s_addc_u32 s1, s39, s57
	s_add_u32 s0, s0, s52
	v_mul_u32_u24_e32 v1, 14, v0
	s_addc_u32 s1, s1, s53
	s_and_b64 vcc, exec, s[2:3]
	v_lshlrev_b32_e32 v30, 3, v1
	s_cbranch_vccz .LBB107_206
; %bb.179:
	s_movk_i32 s2, 0xff98
	v_mad_i32_i24 v1, v0, s2, v30
	s_waitcnt lgkmcnt(0)
	s_barrier
	ds_write_b128 v30, v[48:51]
	ds_write_b128 v30, v[52:55] offset:16
	ds_write_b128 v30, v[56:59] offset:32
	;; [unrolled: 1-line block ×6, first 2 shown]
	s_waitcnt lgkmcnt(0)
	s_barrier
	ds_read2st64_b64 v[26:29], v1 offset0:4 offset1:8
	ds_read2st64_b64 v[22:25], v1 offset0:12 offset1:16
	;; [unrolled: 1-line block ×6, first 2 shown]
	ds_read_b64 v[4:5], v1 offset:26624
	s_add_i32 s33, s33, s46
	v_mov_b32_e32 v33, 0
	v_lshl_add_u64 v[2:3], s[0:1], 0, v[32:33]
	v_cmp_gt_u32_e32 vcc, s33, v0
	s_and_saveexec_b64 s[2:3], vcc
	s_cbranch_execz .LBB107_181
; %bb.180:
	v_mul_i32_i24_e32 v1, 0xffffff98, v0
	v_add_u32_e32 v1, v30, v1
	ds_read_b64 v[34:35], v1
	s_waitcnt lgkmcnt(0)
	global_store_dwordx2 v[2:3], v[34:35], off
.LBB107_181:
	s_or_b64 exec, exec, s[2:3]
	v_or_b32_e32 v1, 0x100, v0
	v_cmp_gt_u32_e32 vcc, s33, v1
	s_and_saveexec_b64 s[2:3], vcc
	s_cbranch_execz .LBB107_183
; %bb.182:
	s_waitcnt lgkmcnt(6)
	global_store_dwordx2 v[2:3], v[26:27], off offset:2048
.LBB107_183:
	s_or_b64 exec, exec, s[2:3]
	v_or_b32_e32 v1, 0x200, v0
	v_cmp_gt_u32_e32 vcc, s33, v1
	s_and_saveexec_b64 s[2:3], vcc
	s_cbranch_execz .LBB107_185
; %bb.184:
	s_waitcnt lgkmcnt(6)
	v_add_co_u32_e32 v26, vcc, 0x1000, v2
	s_nop 1
	v_addc_co_u32_e32 v27, vcc, 0, v3, vcc
	global_store_dwordx2 v[26:27], v[28:29], off
.LBB107_185:
	s_or_b64 exec, exec, s[2:3]
	v_or_b32_e32 v1, 0x300, v0
	v_cmp_gt_u32_e32 vcc, s33, v1
	s_and_saveexec_b64 s[2:3], vcc
	s_cbranch_execz .LBB107_187
; %bb.186:
	s_waitcnt lgkmcnt(6)
	v_add_co_u32_e32 v26, vcc, 0x1000, v2
	s_nop 1
	v_addc_co_u32_e32 v27, vcc, 0, v3, vcc
	s_waitcnt lgkmcnt(5)
	global_store_dwordx2 v[26:27], v[22:23], off offset:2048
.LBB107_187:
	s_or_b64 exec, exec, s[2:3]
	v_or_b32_e32 v1, 0x400, v0
	v_cmp_gt_u32_e32 vcc, s33, v1
	s_and_saveexec_b64 s[2:3], vcc
	s_cbranch_execz .LBB107_189
; %bb.188:
	s_waitcnt lgkmcnt(5)
	v_add_co_u32_e32 v22, vcc, 0x2000, v2
	s_nop 1
	v_addc_co_u32_e32 v23, vcc, 0, v3, vcc
	global_store_dwordx2 v[22:23], v[24:25], off
.LBB107_189:
	s_or_b64 exec, exec, s[2:3]
	v_or_b32_e32 v1, 0x500, v0
	v_cmp_gt_u32_e32 vcc, s33, v1
	s_and_saveexec_b64 s[2:3], vcc
	s_cbranch_execz .LBB107_191
; %bb.190:
	s_waitcnt lgkmcnt(5)
	v_add_co_u32_e32 v22, vcc, 0x2000, v2
	s_nop 1
	v_addc_co_u32_e32 v23, vcc, 0, v3, vcc
	s_waitcnt lgkmcnt(4)
	global_store_dwordx2 v[22:23], v[18:19], off offset:2048
.LBB107_191:
	;; [unrolled: 25-line block ×5, first 2 shown]
	s_or_b64 exec, exec, s[2:3]
	v_or_b32_e32 v1, 0xc00, v0
	v_cmp_gt_u32_e32 vcc, s33, v1
	s_and_saveexec_b64 s[2:3], vcc
	s_cbranch_execz .LBB107_205
; %bb.204:
	v_add_co_u32_e32 v2, vcc, 0x6000, v2
	s_nop 1
	v_addc_co_u32_e32 v3, vcc, 0, v3, vcc
	s_waitcnt lgkmcnt(1)
	global_store_dwordx2 v[2:3], v[8:9], off
.LBB107_205:
	s_or_b64 exec, exec, s[2:3]
	v_or_b32_e32 v2, 0xd00, v0
	v_mov_b32_e32 v1, v33
	v_cmp_gt_u32_e64 s[2:3], s33, v2
	s_branch .LBB107_208
.LBB107_206:
	s_mov_b64 s[2:3], 0
                                        ; implicit-def: $vgpr4_vgpr5
	s_cbranch_execz .LBB107_208
; %bb.207:
	v_mov_b32_e32 v1, 0
	s_movk_i32 s4, 0xff98
	v_mad_i32_i24 v2, v0, s4, v30
	v_mov_b32_e32 v33, v1
	s_waitcnt lgkmcnt(0)
	s_barrier
	ds_write_b128 v30, v[48:51]
	ds_write_b128 v30, v[52:55] offset:16
	ds_write_b128 v30, v[56:59] offset:32
	;; [unrolled: 1-line block ×6, first 2 shown]
	s_waitcnt lgkmcnt(0)
	s_barrier
	ds_read2st64_b64 v[6:9], v2 offset1:4
	ds_read2st64_b64 v[10:13], v2 offset0:8 offset1:12
	ds_read2st64_b64 v[14:17], v2 offset0:16 offset1:20
	;; [unrolled: 1-line block ×6, first 2 shown]
	v_lshl_add_u64 v[30:31], s[0:1], 0, v[32:33]
	s_movk_i32 s4, 0x1000
	s_waitcnt lgkmcnt(6)
	global_store_dwordx2 v32, v[6:7], s[0:1]
	global_store_dwordx2 v32, v[8:9], s[0:1] offset:2048
	v_add_co_u32_e32 v6, vcc, s4, v30
	s_movk_i32 s4, 0x2000
	s_nop 0
	v_addc_co_u32_e32 v7, vcc, 0, v31, vcc
	v_add_co_u32_e32 v8, vcc, s4, v30
	s_movk_i32 s4, 0x3000
	s_nop 0
	v_addc_co_u32_e32 v9, vcc, 0, v31, vcc
	s_waitcnt lgkmcnt(5)
	global_store_dwordx2 v[8:9], v[10:11], off offset:-4096
	global_store_dwordx2 v[6:7], v[12:13], off offset:2048
	s_waitcnt lgkmcnt(4)
	global_store_dwordx2 v[8:9], v[14:15], off
	global_store_dwordx2 v[8:9], v[16:17], off offset:2048
	v_add_co_u32_e32 v6, vcc, s4, v30
	s_movk_i32 s4, 0x4000
	s_nop 0
	v_addc_co_u32_e32 v7, vcc, 0, v31, vcc
	v_add_co_u32_e32 v8, vcc, s4, v30
	s_or_b64 s[2:3], s[2:3], exec
	s_nop 0
	v_addc_co_u32_e32 v9, vcc, 0, v31, vcc
	s_waitcnt lgkmcnt(3)
	global_store_dwordx2 v[8:9], v[18:19], off offset:-4096
	global_store_dwordx2 v[6:7], v[20:21], off offset:2048
	s_waitcnt lgkmcnt(2)
	global_store_dwordx2 v[8:9], v[22:23], off
	global_store_dwordx2 v[8:9], v[24:25], off offset:2048
	v_add_co_u32_e32 v6, vcc, 0x5000, v30
	s_nop 1
	v_addc_co_u32_e32 v7, vcc, 0, v31, vcc
	s_waitcnt lgkmcnt(1)
	global_store_dwordx2 v[6:7], v[26:27], off
	global_store_dwordx2 v[6:7], v[28:29], off offset:2048
	v_add_co_u32_e32 v6, vcc, 0x6000, v30
	s_nop 1
	v_addc_co_u32_e32 v7, vcc, 0, v31, vcc
	s_waitcnt lgkmcnt(0)
	global_store_dwordx2 v[6:7], v[2:3], off
.LBB107_208:
	s_and_saveexec_b64 s[4:5], s[2:3]
	s_cbranch_execnz .LBB107_210
; %bb.209:
	s_endpgm
.LBB107_210:
	v_lshl_add_u64 v[0:1], v[0:1], 3, s[0:1]
	v_add_co_u32_e32 v0, vcc, 0x6000, v0
	s_nop 1
	v_addc_co_u32_e32 v1, vcc, 0, v1, vcc
	s_waitcnt lgkmcnt(0)
	global_store_dwordx2 v[0:1], v[4:5], off offset:2048
	s_endpgm
.LBB107_211:
                                        ; implicit-def: $sgpr0_sgpr1
	s_andn2_b64 vcc, exec, s[14:15]
	s_cbranch_vccz .LBB107_36
	s_branch .LBB107_37
.LBB107_212:
                                        ; implicit-def: $sgpr0_sgpr1
	s_branch .LBB107_70
	.section	.rodata,"a",@progbits
	.p2align	6, 0x0
	.amdhsa_kernel _ZN7rocprim17ROCPRIM_400000_NS6detail17trampoline_kernelINS0_14default_configENS1_27scan_by_key_config_selectorIllEEZZNS1_16scan_by_key_implILNS1_25lookback_scan_determinismE0ELb0ES3_PKlN6hipcub16HIPCUB_304000_NS21ConstantInputIteratorIllEEPllNSB_3SumENSB_8EqualityElEE10hipError_tPvRmT2_T3_T4_T5_mT6_T7_P12ihipStream_tbENKUlT_T0_E_clISt17integral_constantIbLb1EESX_EEDaSS_ST_EUlSS_E_NS1_11comp_targetILNS1_3genE5ELNS1_11target_archE942ELNS1_3gpuE9ELNS1_3repE0EEENS1_30default_config_static_selectorELNS0_4arch9wavefront6targetE1EEEvT1_
		.amdhsa_group_segment_fixed_size 32768
		.amdhsa_private_segment_fixed_size 0
		.amdhsa_kernarg_size 144
		.amdhsa_user_sgpr_count 2
		.amdhsa_user_sgpr_dispatch_ptr 0
		.amdhsa_user_sgpr_queue_ptr 0
		.amdhsa_user_sgpr_kernarg_segment_ptr 1
		.amdhsa_user_sgpr_dispatch_id 0
		.amdhsa_user_sgpr_kernarg_preload_length 0
		.amdhsa_user_sgpr_kernarg_preload_offset 0
		.amdhsa_user_sgpr_private_segment_size 0
		.amdhsa_uses_dynamic_stack 0
		.amdhsa_enable_private_segment 0
		.amdhsa_system_sgpr_workgroup_id_x 1
		.amdhsa_system_sgpr_workgroup_id_y 0
		.amdhsa_system_sgpr_workgroup_id_z 0
		.amdhsa_system_sgpr_workgroup_info 0
		.amdhsa_system_vgpr_workitem_id 0
		.amdhsa_next_free_vgpr 92
		.amdhsa_next_free_sgpr 70
		.amdhsa_accum_offset 92
		.amdhsa_reserve_vcc 1
		.amdhsa_float_round_mode_32 0
		.amdhsa_float_round_mode_16_64 0
		.amdhsa_float_denorm_mode_32 3
		.amdhsa_float_denorm_mode_16_64 3
		.amdhsa_dx10_clamp 1
		.amdhsa_ieee_mode 1
		.amdhsa_fp16_overflow 0
		.amdhsa_tg_split 0
		.amdhsa_exception_fp_ieee_invalid_op 0
		.amdhsa_exception_fp_denorm_src 0
		.amdhsa_exception_fp_ieee_div_zero 0
		.amdhsa_exception_fp_ieee_overflow 0
		.amdhsa_exception_fp_ieee_underflow 0
		.amdhsa_exception_fp_ieee_inexact 0
		.amdhsa_exception_int_div_zero 0
	.end_amdhsa_kernel
	.section	.text._ZN7rocprim17ROCPRIM_400000_NS6detail17trampoline_kernelINS0_14default_configENS1_27scan_by_key_config_selectorIllEEZZNS1_16scan_by_key_implILNS1_25lookback_scan_determinismE0ELb0ES3_PKlN6hipcub16HIPCUB_304000_NS21ConstantInputIteratorIllEEPllNSB_3SumENSB_8EqualityElEE10hipError_tPvRmT2_T3_T4_T5_mT6_T7_P12ihipStream_tbENKUlT_T0_E_clISt17integral_constantIbLb1EESX_EEDaSS_ST_EUlSS_E_NS1_11comp_targetILNS1_3genE5ELNS1_11target_archE942ELNS1_3gpuE9ELNS1_3repE0EEENS1_30default_config_static_selectorELNS0_4arch9wavefront6targetE1EEEvT1_,"axG",@progbits,_ZN7rocprim17ROCPRIM_400000_NS6detail17trampoline_kernelINS0_14default_configENS1_27scan_by_key_config_selectorIllEEZZNS1_16scan_by_key_implILNS1_25lookback_scan_determinismE0ELb0ES3_PKlN6hipcub16HIPCUB_304000_NS21ConstantInputIteratorIllEEPllNSB_3SumENSB_8EqualityElEE10hipError_tPvRmT2_T3_T4_T5_mT6_T7_P12ihipStream_tbENKUlT_T0_E_clISt17integral_constantIbLb1EESX_EEDaSS_ST_EUlSS_E_NS1_11comp_targetILNS1_3genE5ELNS1_11target_archE942ELNS1_3gpuE9ELNS1_3repE0EEENS1_30default_config_static_selectorELNS0_4arch9wavefront6targetE1EEEvT1_,comdat
.Lfunc_end107:
	.size	_ZN7rocprim17ROCPRIM_400000_NS6detail17trampoline_kernelINS0_14default_configENS1_27scan_by_key_config_selectorIllEEZZNS1_16scan_by_key_implILNS1_25lookback_scan_determinismE0ELb0ES3_PKlN6hipcub16HIPCUB_304000_NS21ConstantInputIteratorIllEEPllNSB_3SumENSB_8EqualityElEE10hipError_tPvRmT2_T3_T4_T5_mT6_T7_P12ihipStream_tbENKUlT_T0_E_clISt17integral_constantIbLb1EESX_EEDaSS_ST_EUlSS_E_NS1_11comp_targetILNS1_3genE5ELNS1_11target_archE942ELNS1_3gpuE9ELNS1_3repE0EEENS1_30default_config_static_selectorELNS0_4arch9wavefront6targetE1EEEvT1_, .Lfunc_end107-_ZN7rocprim17ROCPRIM_400000_NS6detail17trampoline_kernelINS0_14default_configENS1_27scan_by_key_config_selectorIllEEZZNS1_16scan_by_key_implILNS1_25lookback_scan_determinismE0ELb0ES3_PKlN6hipcub16HIPCUB_304000_NS21ConstantInputIteratorIllEEPllNSB_3SumENSB_8EqualityElEE10hipError_tPvRmT2_T3_T4_T5_mT6_T7_P12ihipStream_tbENKUlT_T0_E_clISt17integral_constantIbLb1EESX_EEDaSS_ST_EUlSS_E_NS1_11comp_targetILNS1_3genE5ELNS1_11target_archE942ELNS1_3gpuE9ELNS1_3repE0EEENS1_30default_config_static_selectorELNS0_4arch9wavefront6targetE1EEEvT1_
                                        ; -- End function
	.section	.AMDGPU.csdata,"",@progbits
; Kernel info:
; codeLenInByte = 11552
; NumSgprs: 76
; NumVgprs: 92
; NumAgprs: 0
; TotalNumVgprs: 92
; ScratchSize: 0
; MemoryBound: 0
; FloatMode: 240
; IeeeMode: 1
; LDSByteSize: 32768 bytes/workgroup (compile time only)
; SGPRBlocks: 9
; VGPRBlocks: 11
; NumSGPRsForWavesPerEU: 76
; NumVGPRsForWavesPerEU: 92
; AccumOffset: 92
; Occupancy: 2
; WaveLimiterHint : 1
; COMPUTE_PGM_RSRC2:SCRATCH_EN: 0
; COMPUTE_PGM_RSRC2:USER_SGPR: 2
; COMPUTE_PGM_RSRC2:TRAP_HANDLER: 0
; COMPUTE_PGM_RSRC2:TGID_X_EN: 1
; COMPUTE_PGM_RSRC2:TGID_Y_EN: 0
; COMPUTE_PGM_RSRC2:TGID_Z_EN: 0
; COMPUTE_PGM_RSRC2:TIDIG_COMP_CNT: 0
; COMPUTE_PGM_RSRC3_GFX90A:ACCUM_OFFSET: 22
; COMPUTE_PGM_RSRC3_GFX90A:TG_SPLIT: 0
	.section	.text._ZN7rocprim17ROCPRIM_400000_NS6detail17trampoline_kernelINS0_14default_configENS1_27scan_by_key_config_selectorIllEEZZNS1_16scan_by_key_implILNS1_25lookback_scan_determinismE0ELb0ES3_PKlN6hipcub16HIPCUB_304000_NS21ConstantInputIteratorIllEEPllNSB_3SumENSB_8EqualityElEE10hipError_tPvRmT2_T3_T4_T5_mT6_T7_P12ihipStream_tbENKUlT_T0_E_clISt17integral_constantIbLb1EESX_EEDaSS_ST_EUlSS_E_NS1_11comp_targetILNS1_3genE4ELNS1_11target_archE910ELNS1_3gpuE8ELNS1_3repE0EEENS1_30default_config_static_selectorELNS0_4arch9wavefront6targetE1EEEvT1_,"axG",@progbits,_ZN7rocprim17ROCPRIM_400000_NS6detail17trampoline_kernelINS0_14default_configENS1_27scan_by_key_config_selectorIllEEZZNS1_16scan_by_key_implILNS1_25lookback_scan_determinismE0ELb0ES3_PKlN6hipcub16HIPCUB_304000_NS21ConstantInputIteratorIllEEPllNSB_3SumENSB_8EqualityElEE10hipError_tPvRmT2_T3_T4_T5_mT6_T7_P12ihipStream_tbENKUlT_T0_E_clISt17integral_constantIbLb1EESX_EEDaSS_ST_EUlSS_E_NS1_11comp_targetILNS1_3genE4ELNS1_11target_archE910ELNS1_3gpuE8ELNS1_3repE0EEENS1_30default_config_static_selectorELNS0_4arch9wavefront6targetE1EEEvT1_,comdat
	.protected	_ZN7rocprim17ROCPRIM_400000_NS6detail17trampoline_kernelINS0_14default_configENS1_27scan_by_key_config_selectorIllEEZZNS1_16scan_by_key_implILNS1_25lookback_scan_determinismE0ELb0ES3_PKlN6hipcub16HIPCUB_304000_NS21ConstantInputIteratorIllEEPllNSB_3SumENSB_8EqualityElEE10hipError_tPvRmT2_T3_T4_T5_mT6_T7_P12ihipStream_tbENKUlT_T0_E_clISt17integral_constantIbLb1EESX_EEDaSS_ST_EUlSS_E_NS1_11comp_targetILNS1_3genE4ELNS1_11target_archE910ELNS1_3gpuE8ELNS1_3repE0EEENS1_30default_config_static_selectorELNS0_4arch9wavefront6targetE1EEEvT1_ ; -- Begin function _ZN7rocprim17ROCPRIM_400000_NS6detail17trampoline_kernelINS0_14default_configENS1_27scan_by_key_config_selectorIllEEZZNS1_16scan_by_key_implILNS1_25lookback_scan_determinismE0ELb0ES3_PKlN6hipcub16HIPCUB_304000_NS21ConstantInputIteratorIllEEPllNSB_3SumENSB_8EqualityElEE10hipError_tPvRmT2_T3_T4_T5_mT6_T7_P12ihipStream_tbENKUlT_T0_E_clISt17integral_constantIbLb1EESX_EEDaSS_ST_EUlSS_E_NS1_11comp_targetILNS1_3genE4ELNS1_11target_archE910ELNS1_3gpuE8ELNS1_3repE0EEENS1_30default_config_static_selectorELNS0_4arch9wavefront6targetE1EEEvT1_
	.globl	_ZN7rocprim17ROCPRIM_400000_NS6detail17trampoline_kernelINS0_14default_configENS1_27scan_by_key_config_selectorIllEEZZNS1_16scan_by_key_implILNS1_25lookback_scan_determinismE0ELb0ES3_PKlN6hipcub16HIPCUB_304000_NS21ConstantInputIteratorIllEEPllNSB_3SumENSB_8EqualityElEE10hipError_tPvRmT2_T3_T4_T5_mT6_T7_P12ihipStream_tbENKUlT_T0_E_clISt17integral_constantIbLb1EESX_EEDaSS_ST_EUlSS_E_NS1_11comp_targetILNS1_3genE4ELNS1_11target_archE910ELNS1_3gpuE8ELNS1_3repE0EEENS1_30default_config_static_selectorELNS0_4arch9wavefront6targetE1EEEvT1_
	.p2align	8
	.type	_ZN7rocprim17ROCPRIM_400000_NS6detail17trampoline_kernelINS0_14default_configENS1_27scan_by_key_config_selectorIllEEZZNS1_16scan_by_key_implILNS1_25lookback_scan_determinismE0ELb0ES3_PKlN6hipcub16HIPCUB_304000_NS21ConstantInputIteratorIllEEPllNSB_3SumENSB_8EqualityElEE10hipError_tPvRmT2_T3_T4_T5_mT6_T7_P12ihipStream_tbENKUlT_T0_E_clISt17integral_constantIbLb1EESX_EEDaSS_ST_EUlSS_E_NS1_11comp_targetILNS1_3genE4ELNS1_11target_archE910ELNS1_3gpuE8ELNS1_3repE0EEENS1_30default_config_static_selectorELNS0_4arch9wavefront6targetE1EEEvT1_,@function
_ZN7rocprim17ROCPRIM_400000_NS6detail17trampoline_kernelINS0_14default_configENS1_27scan_by_key_config_selectorIllEEZZNS1_16scan_by_key_implILNS1_25lookback_scan_determinismE0ELb0ES3_PKlN6hipcub16HIPCUB_304000_NS21ConstantInputIteratorIllEEPllNSB_3SumENSB_8EqualityElEE10hipError_tPvRmT2_T3_T4_T5_mT6_T7_P12ihipStream_tbENKUlT_T0_E_clISt17integral_constantIbLb1EESX_EEDaSS_ST_EUlSS_E_NS1_11comp_targetILNS1_3genE4ELNS1_11target_archE910ELNS1_3gpuE8ELNS1_3repE0EEENS1_30default_config_static_selectorELNS0_4arch9wavefront6targetE1EEEvT1_: ; @_ZN7rocprim17ROCPRIM_400000_NS6detail17trampoline_kernelINS0_14default_configENS1_27scan_by_key_config_selectorIllEEZZNS1_16scan_by_key_implILNS1_25lookback_scan_determinismE0ELb0ES3_PKlN6hipcub16HIPCUB_304000_NS21ConstantInputIteratorIllEEPllNSB_3SumENSB_8EqualityElEE10hipError_tPvRmT2_T3_T4_T5_mT6_T7_P12ihipStream_tbENKUlT_T0_E_clISt17integral_constantIbLb1EESX_EEDaSS_ST_EUlSS_E_NS1_11comp_targetILNS1_3genE4ELNS1_11target_archE910ELNS1_3gpuE8ELNS1_3repE0EEENS1_30default_config_static_selectorELNS0_4arch9wavefront6targetE1EEEvT1_
; %bb.0:
	.section	.rodata,"a",@progbits
	.p2align	6, 0x0
	.amdhsa_kernel _ZN7rocprim17ROCPRIM_400000_NS6detail17trampoline_kernelINS0_14default_configENS1_27scan_by_key_config_selectorIllEEZZNS1_16scan_by_key_implILNS1_25lookback_scan_determinismE0ELb0ES3_PKlN6hipcub16HIPCUB_304000_NS21ConstantInputIteratorIllEEPllNSB_3SumENSB_8EqualityElEE10hipError_tPvRmT2_T3_T4_T5_mT6_T7_P12ihipStream_tbENKUlT_T0_E_clISt17integral_constantIbLb1EESX_EEDaSS_ST_EUlSS_E_NS1_11comp_targetILNS1_3genE4ELNS1_11target_archE910ELNS1_3gpuE8ELNS1_3repE0EEENS1_30default_config_static_selectorELNS0_4arch9wavefront6targetE1EEEvT1_
		.amdhsa_group_segment_fixed_size 0
		.amdhsa_private_segment_fixed_size 0
		.amdhsa_kernarg_size 144
		.amdhsa_user_sgpr_count 2
		.amdhsa_user_sgpr_dispatch_ptr 0
		.amdhsa_user_sgpr_queue_ptr 0
		.amdhsa_user_sgpr_kernarg_segment_ptr 1
		.amdhsa_user_sgpr_dispatch_id 0
		.amdhsa_user_sgpr_kernarg_preload_length 0
		.amdhsa_user_sgpr_kernarg_preload_offset 0
		.amdhsa_user_sgpr_private_segment_size 0
		.amdhsa_uses_dynamic_stack 0
		.amdhsa_enable_private_segment 0
		.amdhsa_system_sgpr_workgroup_id_x 1
		.amdhsa_system_sgpr_workgroup_id_y 0
		.amdhsa_system_sgpr_workgroup_id_z 0
		.amdhsa_system_sgpr_workgroup_info 0
		.amdhsa_system_vgpr_workitem_id 0
		.amdhsa_next_free_vgpr 1
		.amdhsa_next_free_sgpr 0
		.amdhsa_accum_offset 4
		.amdhsa_reserve_vcc 0
		.amdhsa_float_round_mode_32 0
		.amdhsa_float_round_mode_16_64 0
		.amdhsa_float_denorm_mode_32 3
		.amdhsa_float_denorm_mode_16_64 3
		.amdhsa_dx10_clamp 1
		.amdhsa_ieee_mode 1
		.amdhsa_fp16_overflow 0
		.amdhsa_tg_split 0
		.amdhsa_exception_fp_ieee_invalid_op 0
		.amdhsa_exception_fp_denorm_src 0
		.amdhsa_exception_fp_ieee_div_zero 0
		.amdhsa_exception_fp_ieee_overflow 0
		.amdhsa_exception_fp_ieee_underflow 0
		.amdhsa_exception_fp_ieee_inexact 0
		.amdhsa_exception_int_div_zero 0
	.end_amdhsa_kernel
	.section	.text._ZN7rocprim17ROCPRIM_400000_NS6detail17trampoline_kernelINS0_14default_configENS1_27scan_by_key_config_selectorIllEEZZNS1_16scan_by_key_implILNS1_25lookback_scan_determinismE0ELb0ES3_PKlN6hipcub16HIPCUB_304000_NS21ConstantInputIteratorIllEEPllNSB_3SumENSB_8EqualityElEE10hipError_tPvRmT2_T3_T4_T5_mT6_T7_P12ihipStream_tbENKUlT_T0_E_clISt17integral_constantIbLb1EESX_EEDaSS_ST_EUlSS_E_NS1_11comp_targetILNS1_3genE4ELNS1_11target_archE910ELNS1_3gpuE8ELNS1_3repE0EEENS1_30default_config_static_selectorELNS0_4arch9wavefront6targetE1EEEvT1_,"axG",@progbits,_ZN7rocprim17ROCPRIM_400000_NS6detail17trampoline_kernelINS0_14default_configENS1_27scan_by_key_config_selectorIllEEZZNS1_16scan_by_key_implILNS1_25lookback_scan_determinismE0ELb0ES3_PKlN6hipcub16HIPCUB_304000_NS21ConstantInputIteratorIllEEPllNSB_3SumENSB_8EqualityElEE10hipError_tPvRmT2_T3_T4_T5_mT6_T7_P12ihipStream_tbENKUlT_T0_E_clISt17integral_constantIbLb1EESX_EEDaSS_ST_EUlSS_E_NS1_11comp_targetILNS1_3genE4ELNS1_11target_archE910ELNS1_3gpuE8ELNS1_3repE0EEENS1_30default_config_static_selectorELNS0_4arch9wavefront6targetE1EEEvT1_,comdat
.Lfunc_end108:
	.size	_ZN7rocprim17ROCPRIM_400000_NS6detail17trampoline_kernelINS0_14default_configENS1_27scan_by_key_config_selectorIllEEZZNS1_16scan_by_key_implILNS1_25lookback_scan_determinismE0ELb0ES3_PKlN6hipcub16HIPCUB_304000_NS21ConstantInputIteratorIllEEPllNSB_3SumENSB_8EqualityElEE10hipError_tPvRmT2_T3_T4_T5_mT6_T7_P12ihipStream_tbENKUlT_T0_E_clISt17integral_constantIbLb1EESX_EEDaSS_ST_EUlSS_E_NS1_11comp_targetILNS1_3genE4ELNS1_11target_archE910ELNS1_3gpuE8ELNS1_3repE0EEENS1_30default_config_static_selectorELNS0_4arch9wavefront6targetE1EEEvT1_, .Lfunc_end108-_ZN7rocprim17ROCPRIM_400000_NS6detail17trampoline_kernelINS0_14default_configENS1_27scan_by_key_config_selectorIllEEZZNS1_16scan_by_key_implILNS1_25lookback_scan_determinismE0ELb0ES3_PKlN6hipcub16HIPCUB_304000_NS21ConstantInputIteratorIllEEPllNSB_3SumENSB_8EqualityElEE10hipError_tPvRmT2_T3_T4_T5_mT6_T7_P12ihipStream_tbENKUlT_T0_E_clISt17integral_constantIbLb1EESX_EEDaSS_ST_EUlSS_E_NS1_11comp_targetILNS1_3genE4ELNS1_11target_archE910ELNS1_3gpuE8ELNS1_3repE0EEENS1_30default_config_static_selectorELNS0_4arch9wavefront6targetE1EEEvT1_
                                        ; -- End function
	.section	.AMDGPU.csdata,"",@progbits
; Kernel info:
; codeLenInByte = 0
; NumSgprs: 6
; NumVgprs: 0
; NumAgprs: 0
; TotalNumVgprs: 0
; ScratchSize: 0
; MemoryBound: 0
; FloatMode: 240
; IeeeMode: 1
; LDSByteSize: 0 bytes/workgroup (compile time only)
; SGPRBlocks: 0
; VGPRBlocks: 0
; NumSGPRsForWavesPerEU: 6
; NumVGPRsForWavesPerEU: 1
; AccumOffset: 4
; Occupancy: 8
; WaveLimiterHint : 0
; COMPUTE_PGM_RSRC2:SCRATCH_EN: 0
; COMPUTE_PGM_RSRC2:USER_SGPR: 2
; COMPUTE_PGM_RSRC2:TRAP_HANDLER: 0
; COMPUTE_PGM_RSRC2:TGID_X_EN: 1
; COMPUTE_PGM_RSRC2:TGID_Y_EN: 0
; COMPUTE_PGM_RSRC2:TGID_Z_EN: 0
; COMPUTE_PGM_RSRC2:TIDIG_COMP_CNT: 0
; COMPUTE_PGM_RSRC3_GFX90A:ACCUM_OFFSET: 0
; COMPUTE_PGM_RSRC3_GFX90A:TG_SPLIT: 0
	.section	.text._ZN7rocprim17ROCPRIM_400000_NS6detail17trampoline_kernelINS0_14default_configENS1_27scan_by_key_config_selectorIllEEZZNS1_16scan_by_key_implILNS1_25lookback_scan_determinismE0ELb0ES3_PKlN6hipcub16HIPCUB_304000_NS21ConstantInputIteratorIllEEPllNSB_3SumENSB_8EqualityElEE10hipError_tPvRmT2_T3_T4_T5_mT6_T7_P12ihipStream_tbENKUlT_T0_E_clISt17integral_constantIbLb1EESX_EEDaSS_ST_EUlSS_E_NS1_11comp_targetILNS1_3genE3ELNS1_11target_archE908ELNS1_3gpuE7ELNS1_3repE0EEENS1_30default_config_static_selectorELNS0_4arch9wavefront6targetE1EEEvT1_,"axG",@progbits,_ZN7rocprim17ROCPRIM_400000_NS6detail17trampoline_kernelINS0_14default_configENS1_27scan_by_key_config_selectorIllEEZZNS1_16scan_by_key_implILNS1_25lookback_scan_determinismE0ELb0ES3_PKlN6hipcub16HIPCUB_304000_NS21ConstantInputIteratorIllEEPllNSB_3SumENSB_8EqualityElEE10hipError_tPvRmT2_T3_T4_T5_mT6_T7_P12ihipStream_tbENKUlT_T0_E_clISt17integral_constantIbLb1EESX_EEDaSS_ST_EUlSS_E_NS1_11comp_targetILNS1_3genE3ELNS1_11target_archE908ELNS1_3gpuE7ELNS1_3repE0EEENS1_30default_config_static_selectorELNS0_4arch9wavefront6targetE1EEEvT1_,comdat
	.protected	_ZN7rocprim17ROCPRIM_400000_NS6detail17trampoline_kernelINS0_14default_configENS1_27scan_by_key_config_selectorIllEEZZNS1_16scan_by_key_implILNS1_25lookback_scan_determinismE0ELb0ES3_PKlN6hipcub16HIPCUB_304000_NS21ConstantInputIteratorIllEEPllNSB_3SumENSB_8EqualityElEE10hipError_tPvRmT2_T3_T4_T5_mT6_T7_P12ihipStream_tbENKUlT_T0_E_clISt17integral_constantIbLb1EESX_EEDaSS_ST_EUlSS_E_NS1_11comp_targetILNS1_3genE3ELNS1_11target_archE908ELNS1_3gpuE7ELNS1_3repE0EEENS1_30default_config_static_selectorELNS0_4arch9wavefront6targetE1EEEvT1_ ; -- Begin function _ZN7rocprim17ROCPRIM_400000_NS6detail17trampoline_kernelINS0_14default_configENS1_27scan_by_key_config_selectorIllEEZZNS1_16scan_by_key_implILNS1_25lookback_scan_determinismE0ELb0ES3_PKlN6hipcub16HIPCUB_304000_NS21ConstantInputIteratorIllEEPllNSB_3SumENSB_8EqualityElEE10hipError_tPvRmT2_T3_T4_T5_mT6_T7_P12ihipStream_tbENKUlT_T0_E_clISt17integral_constantIbLb1EESX_EEDaSS_ST_EUlSS_E_NS1_11comp_targetILNS1_3genE3ELNS1_11target_archE908ELNS1_3gpuE7ELNS1_3repE0EEENS1_30default_config_static_selectorELNS0_4arch9wavefront6targetE1EEEvT1_
	.globl	_ZN7rocprim17ROCPRIM_400000_NS6detail17trampoline_kernelINS0_14default_configENS1_27scan_by_key_config_selectorIllEEZZNS1_16scan_by_key_implILNS1_25lookback_scan_determinismE0ELb0ES3_PKlN6hipcub16HIPCUB_304000_NS21ConstantInputIteratorIllEEPllNSB_3SumENSB_8EqualityElEE10hipError_tPvRmT2_T3_T4_T5_mT6_T7_P12ihipStream_tbENKUlT_T0_E_clISt17integral_constantIbLb1EESX_EEDaSS_ST_EUlSS_E_NS1_11comp_targetILNS1_3genE3ELNS1_11target_archE908ELNS1_3gpuE7ELNS1_3repE0EEENS1_30default_config_static_selectorELNS0_4arch9wavefront6targetE1EEEvT1_
	.p2align	8
	.type	_ZN7rocprim17ROCPRIM_400000_NS6detail17trampoline_kernelINS0_14default_configENS1_27scan_by_key_config_selectorIllEEZZNS1_16scan_by_key_implILNS1_25lookback_scan_determinismE0ELb0ES3_PKlN6hipcub16HIPCUB_304000_NS21ConstantInputIteratorIllEEPllNSB_3SumENSB_8EqualityElEE10hipError_tPvRmT2_T3_T4_T5_mT6_T7_P12ihipStream_tbENKUlT_T0_E_clISt17integral_constantIbLb1EESX_EEDaSS_ST_EUlSS_E_NS1_11comp_targetILNS1_3genE3ELNS1_11target_archE908ELNS1_3gpuE7ELNS1_3repE0EEENS1_30default_config_static_selectorELNS0_4arch9wavefront6targetE1EEEvT1_,@function
_ZN7rocprim17ROCPRIM_400000_NS6detail17trampoline_kernelINS0_14default_configENS1_27scan_by_key_config_selectorIllEEZZNS1_16scan_by_key_implILNS1_25lookback_scan_determinismE0ELb0ES3_PKlN6hipcub16HIPCUB_304000_NS21ConstantInputIteratorIllEEPllNSB_3SumENSB_8EqualityElEE10hipError_tPvRmT2_T3_T4_T5_mT6_T7_P12ihipStream_tbENKUlT_T0_E_clISt17integral_constantIbLb1EESX_EEDaSS_ST_EUlSS_E_NS1_11comp_targetILNS1_3genE3ELNS1_11target_archE908ELNS1_3gpuE7ELNS1_3repE0EEENS1_30default_config_static_selectorELNS0_4arch9wavefront6targetE1EEEvT1_: ; @_ZN7rocprim17ROCPRIM_400000_NS6detail17trampoline_kernelINS0_14default_configENS1_27scan_by_key_config_selectorIllEEZZNS1_16scan_by_key_implILNS1_25lookback_scan_determinismE0ELb0ES3_PKlN6hipcub16HIPCUB_304000_NS21ConstantInputIteratorIllEEPllNSB_3SumENSB_8EqualityElEE10hipError_tPvRmT2_T3_T4_T5_mT6_T7_P12ihipStream_tbENKUlT_T0_E_clISt17integral_constantIbLb1EESX_EEDaSS_ST_EUlSS_E_NS1_11comp_targetILNS1_3genE3ELNS1_11target_archE908ELNS1_3gpuE7ELNS1_3repE0EEENS1_30default_config_static_selectorELNS0_4arch9wavefront6targetE1EEEvT1_
; %bb.0:
	.section	.rodata,"a",@progbits
	.p2align	6, 0x0
	.amdhsa_kernel _ZN7rocprim17ROCPRIM_400000_NS6detail17trampoline_kernelINS0_14default_configENS1_27scan_by_key_config_selectorIllEEZZNS1_16scan_by_key_implILNS1_25lookback_scan_determinismE0ELb0ES3_PKlN6hipcub16HIPCUB_304000_NS21ConstantInputIteratorIllEEPllNSB_3SumENSB_8EqualityElEE10hipError_tPvRmT2_T3_T4_T5_mT6_T7_P12ihipStream_tbENKUlT_T0_E_clISt17integral_constantIbLb1EESX_EEDaSS_ST_EUlSS_E_NS1_11comp_targetILNS1_3genE3ELNS1_11target_archE908ELNS1_3gpuE7ELNS1_3repE0EEENS1_30default_config_static_selectorELNS0_4arch9wavefront6targetE1EEEvT1_
		.amdhsa_group_segment_fixed_size 0
		.amdhsa_private_segment_fixed_size 0
		.amdhsa_kernarg_size 144
		.amdhsa_user_sgpr_count 2
		.amdhsa_user_sgpr_dispatch_ptr 0
		.amdhsa_user_sgpr_queue_ptr 0
		.amdhsa_user_sgpr_kernarg_segment_ptr 1
		.amdhsa_user_sgpr_dispatch_id 0
		.amdhsa_user_sgpr_kernarg_preload_length 0
		.amdhsa_user_sgpr_kernarg_preload_offset 0
		.amdhsa_user_sgpr_private_segment_size 0
		.amdhsa_uses_dynamic_stack 0
		.amdhsa_enable_private_segment 0
		.amdhsa_system_sgpr_workgroup_id_x 1
		.amdhsa_system_sgpr_workgroup_id_y 0
		.amdhsa_system_sgpr_workgroup_id_z 0
		.amdhsa_system_sgpr_workgroup_info 0
		.amdhsa_system_vgpr_workitem_id 0
		.amdhsa_next_free_vgpr 1
		.amdhsa_next_free_sgpr 0
		.amdhsa_accum_offset 4
		.amdhsa_reserve_vcc 0
		.amdhsa_float_round_mode_32 0
		.amdhsa_float_round_mode_16_64 0
		.amdhsa_float_denorm_mode_32 3
		.amdhsa_float_denorm_mode_16_64 3
		.amdhsa_dx10_clamp 1
		.amdhsa_ieee_mode 1
		.amdhsa_fp16_overflow 0
		.amdhsa_tg_split 0
		.amdhsa_exception_fp_ieee_invalid_op 0
		.amdhsa_exception_fp_denorm_src 0
		.amdhsa_exception_fp_ieee_div_zero 0
		.amdhsa_exception_fp_ieee_overflow 0
		.amdhsa_exception_fp_ieee_underflow 0
		.amdhsa_exception_fp_ieee_inexact 0
		.amdhsa_exception_int_div_zero 0
	.end_amdhsa_kernel
	.section	.text._ZN7rocprim17ROCPRIM_400000_NS6detail17trampoline_kernelINS0_14default_configENS1_27scan_by_key_config_selectorIllEEZZNS1_16scan_by_key_implILNS1_25lookback_scan_determinismE0ELb0ES3_PKlN6hipcub16HIPCUB_304000_NS21ConstantInputIteratorIllEEPllNSB_3SumENSB_8EqualityElEE10hipError_tPvRmT2_T3_T4_T5_mT6_T7_P12ihipStream_tbENKUlT_T0_E_clISt17integral_constantIbLb1EESX_EEDaSS_ST_EUlSS_E_NS1_11comp_targetILNS1_3genE3ELNS1_11target_archE908ELNS1_3gpuE7ELNS1_3repE0EEENS1_30default_config_static_selectorELNS0_4arch9wavefront6targetE1EEEvT1_,"axG",@progbits,_ZN7rocprim17ROCPRIM_400000_NS6detail17trampoline_kernelINS0_14default_configENS1_27scan_by_key_config_selectorIllEEZZNS1_16scan_by_key_implILNS1_25lookback_scan_determinismE0ELb0ES3_PKlN6hipcub16HIPCUB_304000_NS21ConstantInputIteratorIllEEPllNSB_3SumENSB_8EqualityElEE10hipError_tPvRmT2_T3_T4_T5_mT6_T7_P12ihipStream_tbENKUlT_T0_E_clISt17integral_constantIbLb1EESX_EEDaSS_ST_EUlSS_E_NS1_11comp_targetILNS1_3genE3ELNS1_11target_archE908ELNS1_3gpuE7ELNS1_3repE0EEENS1_30default_config_static_selectorELNS0_4arch9wavefront6targetE1EEEvT1_,comdat
.Lfunc_end109:
	.size	_ZN7rocprim17ROCPRIM_400000_NS6detail17trampoline_kernelINS0_14default_configENS1_27scan_by_key_config_selectorIllEEZZNS1_16scan_by_key_implILNS1_25lookback_scan_determinismE0ELb0ES3_PKlN6hipcub16HIPCUB_304000_NS21ConstantInputIteratorIllEEPllNSB_3SumENSB_8EqualityElEE10hipError_tPvRmT2_T3_T4_T5_mT6_T7_P12ihipStream_tbENKUlT_T0_E_clISt17integral_constantIbLb1EESX_EEDaSS_ST_EUlSS_E_NS1_11comp_targetILNS1_3genE3ELNS1_11target_archE908ELNS1_3gpuE7ELNS1_3repE0EEENS1_30default_config_static_selectorELNS0_4arch9wavefront6targetE1EEEvT1_, .Lfunc_end109-_ZN7rocprim17ROCPRIM_400000_NS6detail17trampoline_kernelINS0_14default_configENS1_27scan_by_key_config_selectorIllEEZZNS1_16scan_by_key_implILNS1_25lookback_scan_determinismE0ELb0ES3_PKlN6hipcub16HIPCUB_304000_NS21ConstantInputIteratorIllEEPllNSB_3SumENSB_8EqualityElEE10hipError_tPvRmT2_T3_T4_T5_mT6_T7_P12ihipStream_tbENKUlT_T0_E_clISt17integral_constantIbLb1EESX_EEDaSS_ST_EUlSS_E_NS1_11comp_targetILNS1_3genE3ELNS1_11target_archE908ELNS1_3gpuE7ELNS1_3repE0EEENS1_30default_config_static_selectorELNS0_4arch9wavefront6targetE1EEEvT1_
                                        ; -- End function
	.section	.AMDGPU.csdata,"",@progbits
; Kernel info:
; codeLenInByte = 0
; NumSgprs: 6
; NumVgprs: 0
; NumAgprs: 0
; TotalNumVgprs: 0
; ScratchSize: 0
; MemoryBound: 0
; FloatMode: 240
; IeeeMode: 1
; LDSByteSize: 0 bytes/workgroup (compile time only)
; SGPRBlocks: 0
; VGPRBlocks: 0
; NumSGPRsForWavesPerEU: 6
; NumVGPRsForWavesPerEU: 1
; AccumOffset: 4
; Occupancy: 8
; WaveLimiterHint : 0
; COMPUTE_PGM_RSRC2:SCRATCH_EN: 0
; COMPUTE_PGM_RSRC2:USER_SGPR: 2
; COMPUTE_PGM_RSRC2:TRAP_HANDLER: 0
; COMPUTE_PGM_RSRC2:TGID_X_EN: 1
; COMPUTE_PGM_RSRC2:TGID_Y_EN: 0
; COMPUTE_PGM_RSRC2:TGID_Z_EN: 0
; COMPUTE_PGM_RSRC2:TIDIG_COMP_CNT: 0
; COMPUTE_PGM_RSRC3_GFX90A:ACCUM_OFFSET: 0
; COMPUTE_PGM_RSRC3_GFX90A:TG_SPLIT: 0
	.section	.text._ZN7rocprim17ROCPRIM_400000_NS6detail17trampoline_kernelINS0_14default_configENS1_27scan_by_key_config_selectorIllEEZZNS1_16scan_by_key_implILNS1_25lookback_scan_determinismE0ELb0ES3_PKlN6hipcub16HIPCUB_304000_NS21ConstantInputIteratorIllEEPllNSB_3SumENSB_8EqualityElEE10hipError_tPvRmT2_T3_T4_T5_mT6_T7_P12ihipStream_tbENKUlT_T0_E_clISt17integral_constantIbLb1EESX_EEDaSS_ST_EUlSS_E_NS1_11comp_targetILNS1_3genE2ELNS1_11target_archE906ELNS1_3gpuE6ELNS1_3repE0EEENS1_30default_config_static_selectorELNS0_4arch9wavefront6targetE1EEEvT1_,"axG",@progbits,_ZN7rocprim17ROCPRIM_400000_NS6detail17trampoline_kernelINS0_14default_configENS1_27scan_by_key_config_selectorIllEEZZNS1_16scan_by_key_implILNS1_25lookback_scan_determinismE0ELb0ES3_PKlN6hipcub16HIPCUB_304000_NS21ConstantInputIteratorIllEEPllNSB_3SumENSB_8EqualityElEE10hipError_tPvRmT2_T3_T4_T5_mT6_T7_P12ihipStream_tbENKUlT_T0_E_clISt17integral_constantIbLb1EESX_EEDaSS_ST_EUlSS_E_NS1_11comp_targetILNS1_3genE2ELNS1_11target_archE906ELNS1_3gpuE6ELNS1_3repE0EEENS1_30default_config_static_selectorELNS0_4arch9wavefront6targetE1EEEvT1_,comdat
	.protected	_ZN7rocprim17ROCPRIM_400000_NS6detail17trampoline_kernelINS0_14default_configENS1_27scan_by_key_config_selectorIllEEZZNS1_16scan_by_key_implILNS1_25lookback_scan_determinismE0ELb0ES3_PKlN6hipcub16HIPCUB_304000_NS21ConstantInputIteratorIllEEPllNSB_3SumENSB_8EqualityElEE10hipError_tPvRmT2_T3_T4_T5_mT6_T7_P12ihipStream_tbENKUlT_T0_E_clISt17integral_constantIbLb1EESX_EEDaSS_ST_EUlSS_E_NS1_11comp_targetILNS1_3genE2ELNS1_11target_archE906ELNS1_3gpuE6ELNS1_3repE0EEENS1_30default_config_static_selectorELNS0_4arch9wavefront6targetE1EEEvT1_ ; -- Begin function _ZN7rocprim17ROCPRIM_400000_NS6detail17trampoline_kernelINS0_14default_configENS1_27scan_by_key_config_selectorIllEEZZNS1_16scan_by_key_implILNS1_25lookback_scan_determinismE0ELb0ES3_PKlN6hipcub16HIPCUB_304000_NS21ConstantInputIteratorIllEEPllNSB_3SumENSB_8EqualityElEE10hipError_tPvRmT2_T3_T4_T5_mT6_T7_P12ihipStream_tbENKUlT_T0_E_clISt17integral_constantIbLb1EESX_EEDaSS_ST_EUlSS_E_NS1_11comp_targetILNS1_3genE2ELNS1_11target_archE906ELNS1_3gpuE6ELNS1_3repE0EEENS1_30default_config_static_selectorELNS0_4arch9wavefront6targetE1EEEvT1_
	.globl	_ZN7rocprim17ROCPRIM_400000_NS6detail17trampoline_kernelINS0_14default_configENS1_27scan_by_key_config_selectorIllEEZZNS1_16scan_by_key_implILNS1_25lookback_scan_determinismE0ELb0ES3_PKlN6hipcub16HIPCUB_304000_NS21ConstantInputIteratorIllEEPllNSB_3SumENSB_8EqualityElEE10hipError_tPvRmT2_T3_T4_T5_mT6_T7_P12ihipStream_tbENKUlT_T0_E_clISt17integral_constantIbLb1EESX_EEDaSS_ST_EUlSS_E_NS1_11comp_targetILNS1_3genE2ELNS1_11target_archE906ELNS1_3gpuE6ELNS1_3repE0EEENS1_30default_config_static_selectorELNS0_4arch9wavefront6targetE1EEEvT1_
	.p2align	8
	.type	_ZN7rocprim17ROCPRIM_400000_NS6detail17trampoline_kernelINS0_14default_configENS1_27scan_by_key_config_selectorIllEEZZNS1_16scan_by_key_implILNS1_25lookback_scan_determinismE0ELb0ES3_PKlN6hipcub16HIPCUB_304000_NS21ConstantInputIteratorIllEEPllNSB_3SumENSB_8EqualityElEE10hipError_tPvRmT2_T3_T4_T5_mT6_T7_P12ihipStream_tbENKUlT_T0_E_clISt17integral_constantIbLb1EESX_EEDaSS_ST_EUlSS_E_NS1_11comp_targetILNS1_3genE2ELNS1_11target_archE906ELNS1_3gpuE6ELNS1_3repE0EEENS1_30default_config_static_selectorELNS0_4arch9wavefront6targetE1EEEvT1_,@function
_ZN7rocprim17ROCPRIM_400000_NS6detail17trampoline_kernelINS0_14default_configENS1_27scan_by_key_config_selectorIllEEZZNS1_16scan_by_key_implILNS1_25lookback_scan_determinismE0ELb0ES3_PKlN6hipcub16HIPCUB_304000_NS21ConstantInputIteratorIllEEPllNSB_3SumENSB_8EqualityElEE10hipError_tPvRmT2_T3_T4_T5_mT6_T7_P12ihipStream_tbENKUlT_T0_E_clISt17integral_constantIbLb1EESX_EEDaSS_ST_EUlSS_E_NS1_11comp_targetILNS1_3genE2ELNS1_11target_archE906ELNS1_3gpuE6ELNS1_3repE0EEENS1_30default_config_static_selectorELNS0_4arch9wavefront6targetE1EEEvT1_: ; @_ZN7rocprim17ROCPRIM_400000_NS6detail17trampoline_kernelINS0_14default_configENS1_27scan_by_key_config_selectorIllEEZZNS1_16scan_by_key_implILNS1_25lookback_scan_determinismE0ELb0ES3_PKlN6hipcub16HIPCUB_304000_NS21ConstantInputIteratorIllEEPllNSB_3SumENSB_8EqualityElEE10hipError_tPvRmT2_T3_T4_T5_mT6_T7_P12ihipStream_tbENKUlT_T0_E_clISt17integral_constantIbLb1EESX_EEDaSS_ST_EUlSS_E_NS1_11comp_targetILNS1_3genE2ELNS1_11target_archE906ELNS1_3gpuE6ELNS1_3repE0EEENS1_30default_config_static_selectorELNS0_4arch9wavefront6targetE1EEEvT1_
; %bb.0:
	.section	.rodata,"a",@progbits
	.p2align	6, 0x0
	.amdhsa_kernel _ZN7rocprim17ROCPRIM_400000_NS6detail17trampoline_kernelINS0_14default_configENS1_27scan_by_key_config_selectorIllEEZZNS1_16scan_by_key_implILNS1_25lookback_scan_determinismE0ELb0ES3_PKlN6hipcub16HIPCUB_304000_NS21ConstantInputIteratorIllEEPllNSB_3SumENSB_8EqualityElEE10hipError_tPvRmT2_T3_T4_T5_mT6_T7_P12ihipStream_tbENKUlT_T0_E_clISt17integral_constantIbLb1EESX_EEDaSS_ST_EUlSS_E_NS1_11comp_targetILNS1_3genE2ELNS1_11target_archE906ELNS1_3gpuE6ELNS1_3repE0EEENS1_30default_config_static_selectorELNS0_4arch9wavefront6targetE1EEEvT1_
		.amdhsa_group_segment_fixed_size 0
		.amdhsa_private_segment_fixed_size 0
		.amdhsa_kernarg_size 144
		.amdhsa_user_sgpr_count 2
		.amdhsa_user_sgpr_dispatch_ptr 0
		.amdhsa_user_sgpr_queue_ptr 0
		.amdhsa_user_sgpr_kernarg_segment_ptr 1
		.amdhsa_user_sgpr_dispatch_id 0
		.amdhsa_user_sgpr_kernarg_preload_length 0
		.amdhsa_user_sgpr_kernarg_preload_offset 0
		.amdhsa_user_sgpr_private_segment_size 0
		.amdhsa_uses_dynamic_stack 0
		.amdhsa_enable_private_segment 0
		.amdhsa_system_sgpr_workgroup_id_x 1
		.amdhsa_system_sgpr_workgroup_id_y 0
		.amdhsa_system_sgpr_workgroup_id_z 0
		.amdhsa_system_sgpr_workgroup_info 0
		.amdhsa_system_vgpr_workitem_id 0
		.amdhsa_next_free_vgpr 1
		.amdhsa_next_free_sgpr 0
		.amdhsa_accum_offset 4
		.amdhsa_reserve_vcc 0
		.amdhsa_float_round_mode_32 0
		.amdhsa_float_round_mode_16_64 0
		.amdhsa_float_denorm_mode_32 3
		.amdhsa_float_denorm_mode_16_64 3
		.amdhsa_dx10_clamp 1
		.amdhsa_ieee_mode 1
		.amdhsa_fp16_overflow 0
		.amdhsa_tg_split 0
		.amdhsa_exception_fp_ieee_invalid_op 0
		.amdhsa_exception_fp_denorm_src 0
		.amdhsa_exception_fp_ieee_div_zero 0
		.amdhsa_exception_fp_ieee_overflow 0
		.amdhsa_exception_fp_ieee_underflow 0
		.amdhsa_exception_fp_ieee_inexact 0
		.amdhsa_exception_int_div_zero 0
	.end_amdhsa_kernel
	.section	.text._ZN7rocprim17ROCPRIM_400000_NS6detail17trampoline_kernelINS0_14default_configENS1_27scan_by_key_config_selectorIllEEZZNS1_16scan_by_key_implILNS1_25lookback_scan_determinismE0ELb0ES3_PKlN6hipcub16HIPCUB_304000_NS21ConstantInputIteratorIllEEPllNSB_3SumENSB_8EqualityElEE10hipError_tPvRmT2_T3_T4_T5_mT6_T7_P12ihipStream_tbENKUlT_T0_E_clISt17integral_constantIbLb1EESX_EEDaSS_ST_EUlSS_E_NS1_11comp_targetILNS1_3genE2ELNS1_11target_archE906ELNS1_3gpuE6ELNS1_3repE0EEENS1_30default_config_static_selectorELNS0_4arch9wavefront6targetE1EEEvT1_,"axG",@progbits,_ZN7rocprim17ROCPRIM_400000_NS6detail17trampoline_kernelINS0_14default_configENS1_27scan_by_key_config_selectorIllEEZZNS1_16scan_by_key_implILNS1_25lookback_scan_determinismE0ELb0ES3_PKlN6hipcub16HIPCUB_304000_NS21ConstantInputIteratorIllEEPllNSB_3SumENSB_8EqualityElEE10hipError_tPvRmT2_T3_T4_T5_mT6_T7_P12ihipStream_tbENKUlT_T0_E_clISt17integral_constantIbLb1EESX_EEDaSS_ST_EUlSS_E_NS1_11comp_targetILNS1_3genE2ELNS1_11target_archE906ELNS1_3gpuE6ELNS1_3repE0EEENS1_30default_config_static_selectorELNS0_4arch9wavefront6targetE1EEEvT1_,comdat
.Lfunc_end110:
	.size	_ZN7rocprim17ROCPRIM_400000_NS6detail17trampoline_kernelINS0_14default_configENS1_27scan_by_key_config_selectorIllEEZZNS1_16scan_by_key_implILNS1_25lookback_scan_determinismE0ELb0ES3_PKlN6hipcub16HIPCUB_304000_NS21ConstantInputIteratorIllEEPllNSB_3SumENSB_8EqualityElEE10hipError_tPvRmT2_T3_T4_T5_mT6_T7_P12ihipStream_tbENKUlT_T0_E_clISt17integral_constantIbLb1EESX_EEDaSS_ST_EUlSS_E_NS1_11comp_targetILNS1_3genE2ELNS1_11target_archE906ELNS1_3gpuE6ELNS1_3repE0EEENS1_30default_config_static_selectorELNS0_4arch9wavefront6targetE1EEEvT1_, .Lfunc_end110-_ZN7rocprim17ROCPRIM_400000_NS6detail17trampoline_kernelINS0_14default_configENS1_27scan_by_key_config_selectorIllEEZZNS1_16scan_by_key_implILNS1_25lookback_scan_determinismE0ELb0ES3_PKlN6hipcub16HIPCUB_304000_NS21ConstantInputIteratorIllEEPllNSB_3SumENSB_8EqualityElEE10hipError_tPvRmT2_T3_T4_T5_mT6_T7_P12ihipStream_tbENKUlT_T0_E_clISt17integral_constantIbLb1EESX_EEDaSS_ST_EUlSS_E_NS1_11comp_targetILNS1_3genE2ELNS1_11target_archE906ELNS1_3gpuE6ELNS1_3repE0EEENS1_30default_config_static_selectorELNS0_4arch9wavefront6targetE1EEEvT1_
                                        ; -- End function
	.section	.AMDGPU.csdata,"",@progbits
; Kernel info:
; codeLenInByte = 0
; NumSgprs: 6
; NumVgprs: 0
; NumAgprs: 0
; TotalNumVgprs: 0
; ScratchSize: 0
; MemoryBound: 0
; FloatMode: 240
; IeeeMode: 1
; LDSByteSize: 0 bytes/workgroup (compile time only)
; SGPRBlocks: 0
; VGPRBlocks: 0
; NumSGPRsForWavesPerEU: 6
; NumVGPRsForWavesPerEU: 1
; AccumOffset: 4
; Occupancy: 8
; WaveLimiterHint : 0
; COMPUTE_PGM_RSRC2:SCRATCH_EN: 0
; COMPUTE_PGM_RSRC2:USER_SGPR: 2
; COMPUTE_PGM_RSRC2:TRAP_HANDLER: 0
; COMPUTE_PGM_RSRC2:TGID_X_EN: 1
; COMPUTE_PGM_RSRC2:TGID_Y_EN: 0
; COMPUTE_PGM_RSRC2:TGID_Z_EN: 0
; COMPUTE_PGM_RSRC2:TIDIG_COMP_CNT: 0
; COMPUTE_PGM_RSRC3_GFX90A:ACCUM_OFFSET: 0
; COMPUTE_PGM_RSRC3_GFX90A:TG_SPLIT: 0
	.section	.text._ZN7rocprim17ROCPRIM_400000_NS6detail17trampoline_kernelINS0_14default_configENS1_27scan_by_key_config_selectorIllEEZZNS1_16scan_by_key_implILNS1_25lookback_scan_determinismE0ELb0ES3_PKlN6hipcub16HIPCUB_304000_NS21ConstantInputIteratorIllEEPllNSB_3SumENSB_8EqualityElEE10hipError_tPvRmT2_T3_T4_T5_mT6_T7_P12ihipStream_tbENKUlT_T0_E_clISt17integral_constantIbLb1EESX_EEDaSS_ST_EUlSS_E_NS1_11comp_targetILNS1_3genE10ELNS1_11target_archE1200ELNS1_3gpuE4ELNS1_3repE0EEENS1_30default_config_static_selectorELNS0_4arch9wavefront6targetE1EEEvT1_,"axG",@progbits,_ZN7rocprim17ROCPRIM_400000_NS6detail17trampoline_kernelINS0_14default_configENS1_27scan_by_key_config_selectorIllEEZZNS1_16scan_by_key_implILNS1_25lookback_scan_determinismE0ELb0ES3_PKlN6hipcub16HIPCUB_304000_NS21ConstantInputIteratorIllEEPllNSB_3SumENSB_8EqualityElEE10hipError_tPvRmT2_T3_T4_T5_mT6_T7_P12ihipStream_tbENKUlT_T0_E_clISt17integral_constantIbLb1EESX_EEDaSS_ST_EUlSS_E_NS1_11comp_targetILNS1_3genE10ELNS1_11target_archE1200ELNS1_3gpuE4ELNS1_3repE0EEENS1_30default_config_static_selectorELNS0_4arch9wavefront6targetE1EEEvT1_,comdat
	.protected	_ZN7rocprim17ROCPRIM_400000_NS6detail17trampoline_kernelINS0_14default_configENS1_27scan_by_key_config_selectorIllEEZZNS1_16scan_by_key_implILNS1_25lookback_scan_determinismE0ELb0ES3_PKlN6hipcub16HIPCUB_304000_NS21ConstantInputIteratorIllEEPllNSB_3SumENSB_8EqualityElEE10hipError_tPvRmT2_T3_T4_T5_mT6_T7_P12ihipStream_tbENKUlT_T0_E_clISt17integral_constantIbLb1EESX_EEDaSS_ST_EUlSS_E_NS1_11comp_targetILNS1_3genE10ELNS1_11target_archE1200ELNS1_3gpuE4ELNS1_3repE0EEENS1_30default_config_static_selectorELNS0_4arch9wavefront6targetE1EEEvT1_ ; -- Begin function _ZN7rocprim17ROCPRIM_400000_NS6detail17trampoline_kernelINS0_14default_configENS1_27scan_by_key_config_selectorIllEEZZNS1_16scan_by_key_implILNS1_25lookback_scan_determinismE0ELb0ES3_PKlN6hipcub16HIPCUB_304000_NS21ConstantInputIteratorIllEEPllNSB_3SumENSB_8EqualityElEE10hipError_tPvRmT2_T3_T4_T5_mT6_T7_P12ihipStream_tbENKUlT_T0_E_clISt17integral_constantIbLb1EESX_EEDaSS_ST_EUlSS_E_NS1_11comp_targetILNS1_3genE10ELNS1_11target_archE1200ELNS1_3gpuE4ELNS1_3repE0EEENS1_30default_config_static_selectorELNS0_4arch9wavefront6targetE1EEEvT1_
	.globl	_ZN7rocprim17ROCPRIM_400000_NS6detail17trampoline_kernelINS0_14default_configENS1_27scan_by_key_config_selectorIllEEZZNS1_16scan_by_key_implILNS1_25lookback_scan_determinismE0ELb0ES3_PKlN6hipcub16HIPCUB_304000_NS21ConstantInputIteratorIllEEPllNSB_3SumENSB_8EqualityElEE10hipError_tPvRmT2_T3_T4_T5_mT6_T7_P12ihipStream_tbENKUlT_T0_E_clISt17integral_constantIbLb1EESX_EEDaSS_ST_EUlSS_E_NS1_11comp_targetILNS1_3genE10ELNS1_11target_archE1200ELNS1_3gpuE4ELNS1_3repE0EEENS1_30default_config_static_selectorELNS0_4arch9wavefront6targetE1EEEvT1_
	.p2align	8
	.type	_ZN7rocprim17ROCPRIM_400000_NS6detail17trampoline_kernelINS0_14default_configENS1_27scan_by_key_config_selectorIllEEZZNS1_16scan_by_key_implILNS1_25lookback_scan_determinismE0ELb0ES3_PKlN6hipcub16HIPCUB_304000_NS21ConstantInputIteratorIllEEPllNSB_3SumENSB_8EqualityElEE10hipError_tPvRmT2_T3_T4_T5_mT6_T7_P12ihipStream_tbENKUlT_T0_E_clISt17integral_constantIbLb1EESX_EEDaSS_ST_EUlSS_E_NS1_11comp_targetILNS1_3genE10ELNS1_11target_archE1200ELNS1_3gpuE4ELNS1_3repE0EEENS1_30default_config_static_selectorELNS0_4arch9wavefront6targetE1EEEvT1_,@function
_ZN7rocprim17ROCPRIM_400000_NS6detail17trampoline_kernelINS0_14default_configENS1_27scan_by_key_config_selectorIllEEZZNS1_16scan_by_key_implILNS1_25lookback_scan_determinismE0ELb0ES3_PKlN6hipcub16HIPCUB_304000_NS21ConstantInputIteratorIllEEPllNSB_3SumENSB_8EqualityElEE10hipError_tPvRmT2_T3_T4_T5_mT6_T7_P12ihipStream_tbENKUlT_T0_E_clISt17integral_constantIbLb1EESX_EEDaSS_ST_EUlSS_E_NS1_11comp_targetILNS1_3genE10ELNS1_11target_archE1200ELNS1_3gpuE4ELNS1_3repE0EEENS1_30default_config_static_selectorELNS0_4arch9wavefront6targetE1EEEvT1_: ; @_ZN7rocprim17ROCPRIM_400000_NS6detail17trampoline_kernelINS0_14default_configENS1_27scan_by_key_config_selectorIllEEZZNS1_16scan_by_key_implILNS1_25lookback_scan_determinismE0ELb0ES3_PKlN6hipcub16HIPCUB_304000_NS21ConstantInputIteratorIllEEPllNSB_3SumENSB_8EqualityElEE10hipError_tPvRmT2_T3_T4_T5_mT6_T7_P12ihipStream_tbENKUlT_T0_E_clISt17integral_constantIbLb1EESX_EEDaSS_ST_EUlSS_E_NS1_11comp_targetILNS1_3genE10ELNS1_11target_archE1200ELNS1_3gpuE4ELNS1_3repE0EEENS1_30default_config_static_selectorELNS0_4arch9wavefront6targetE1EEEvT1_
; %bb.0:
	.section	.rodata,"a",@progbits
	.p2align	6, 0x0
	.amdhsa_kernel _ZN7rocprim17ROCPRIM_400000_NS6detail17trampoline_kernelINS0_14default_configENS1_27scan_by_key_config_selectorIllEEZZNS1_16scan_by_key_implILNS1_25lookback_scan_determinismE0ELb0ES3_PKlN6hipcub16HIPCUB_304000_NS21ConstantInputIteratorIllEEPllNSB_3SumENSB_8EqualityElEE10hipError_tPvRmT2_T3_T4_T5_mT6_T7_P12ihipStream_tbENKUlT_T0_E_clISt17integral_constantIbLb1EESX_EEDaSS_ST_EUlSS_E_NS1_11comp_targetILNS1_3genE10ELNS1_11target_archE1200ELNS1_3gpuE4ELNS1_3repE0EEENS1_30default_config_static_selectorELNS0_4arch9wavefront6targetE1EEEvT1_
		.amdhsa_group_segment_fixed_size 0
		.amdhsa_private_segment_fixed_size 0
		.amdhsa_kernarg_size 144
		.amdhsa_user_sgpr_count 2
		.amdhsa_user_sgpr_dispatch_ptr 0
		.amdhsa_user_sgpr_queue_ptr 0
		.amdhsa_user_sgpr_kernarg_segment_ptr 1
		.amdhsa_user_sgpr_dispatch_id 0
		.amdhsa_user_sgpr_kernarg_preload_length 0
		.amdhsa_user_sgpr_kernarg_preload_offset 0
		.amdhsa_user_sgpr_private_segment_size 0
		.amdhsa_uses_dynamic_stack 0
		.amdhsa_enable_private_segment 0
		.amdhsa_system_sgpr_workgroup_id_x 1
		.amdhsa_system_sgpr_workgroup_id_y 0
		.amdhsa_system_sgpr_workgroup_id_z 0
		.amdhsa_system_sgpr_workgroup_info 0
		.amdhsa_system_vgpr_workitem_id 0
		.amdhsa_next_free_vgpr 1
		.amdhsa_next_free_sgpr 0
		.amdhsa_accum_offset 4
		.amdhsa_reserve_vcc 0
		.amdhsa_float_round_mode_32 0
		.amdhsa_float_round_mode_16_64 0
		.amdhsa_float_denorm_mode_32 3
		.amdhsa_float_denorm_mode_16_64 3
		.amdhsa_dx10_clamp 1
		.amdhsa_ieee_mode 1
		.amdhsa_fp16_overflow 0
		.amdhsa_tg_split 0
		.amdhsa_exception_fp_ieee_invalid_op 0
		.amdhsa_exception_fp_denorm_src 0
		.amdhsa_exception_fp_ieee_div_zero 0
		.amdhsa_exception_fp_ieee_overflow 0
		.amdhsa_exception_fp_ieee_underflow 0
		.amdhsa_exception_fp_ieee_inexact 0
		.amdhsa_exception_int_div_zero 0
	.end_amdhsa_kernel
	.section	.text._ZN7rocprim17ROCPRIM_400000_NS6detail17trampoline_kernelINS0_14default_configENS1_27scan_by_key_config_selectorIllEEZZNS1_16scan_by_key_implILNS1_25lookback_scan_determinismE0ELb0ES3_PKlN6hipcub16HIPCUB_304000_NS21ConstantInputIteratorIllEEPllNSB_3SumENSB_8EqualityElEE10hipError_tPvRmT2_T3_T4_T5_mT6_T7_P12ihipStream_tbENKUlT_T0_E_clISt17integral_constantIbLb1EESX_EEDaSS_ST_EUlSS_E_NS1_11comp_targetILNS1_3genE10ELNS1_11target_archE1200ELNS1_3gpuE4ELNS1_3repE0EEENS1_30default_config_static_selectorELNS0_4arch9wavefront6targetE1EEEvT1_,"axG",@progbits,_ZN7rocprim17ROCPRIM_400000_NS6detail17trampoline_kernelINS0_14default_configENS1_27scan_by_key_config_selectorIllEEZZNS1_16scan_by_key_implILNS1_25lookback_scan_determinismE0ELb0ES3_PKlN6hipcub16HIPCUB_304000_NS21ConstantInputIteratorIllEEPllNSB_3SumENSB_8EqualityElEE10hipError_tPvRmT2_T3_T4_T5_mT6_T7_P12ihipStream_tbENKUlT_T0_E_clISt17integral_constantIbLb1EESX_EEDaSS_ST_EUlSS_E_NS1_11comp_targetILNS1_3genE10ELNS1_11target_archE1200ELNS1_3gpuE4ELNS1_3repE0EEENS1_30default_config_static_selectorELNS0_4arch9wavefront6targetE1EEEvT1_,comdat
.Lfunc_end111:
	.size	_ZN7rocprim17ROCPRIM_400000_NS6detail17trampoline_kernelINS0_14default_configENS1_27scan_by_key_config_selectorIllEEZZNS1_16scan_by_key_implILNS1_25lookback_scan_determinismE0ELb0ES3_PKlN6hipcub16HIPCUB_304000_NS21ConstantInputIteratorIllEEPllNSB_3SumENSB_8EqualityElEE10hipError_tPvRmT2_T3_T4_T5_mT6_T7_P12ihipStream_tbENKUlT_T0_E_clISt17integral_constantIbLb1EESX_EEDaSS_ST_EUlSS_E_NS1_11comp_targetILNS1_3genE10ELNS1_11target_archE1200ELNS1_3gpuE4ELNS1_3repE0EEENS1_30default_config_static_selectorELNS0_4arch9wavefront6targetE1EEEvT1_, .Lfunc_end111-_ZN7rocprim17ROCPRIM_400000_NS6detail17trampoline_kernelINS0_14default_configENS1_27scan_by_key_config_selectorIllEEZZNS1_16scan_by_key_implILNS1_25lookback_scan_determinismE0ELb0ES3_PKlN6hipcub16HIPCUB_304000_NS21ConstantInputIteratorIllEEPllNSB_3SumENSB_8EqualityElEE10hipError_tPvRmT2_T3_T4_T5_mT6_T7_P12ihipStream_tbENKUlT_T0_E_clISt17integral_constantIbLb1EESX_EEDaSS_ST_EUlSS_E_NS1_11comp_targetILNS1_3genE10ELNS1_11target_archE1200ELNS1_3gpuE4ELNS1_3repE0EEENS1_30default_config_static_selectorELNS0_4arch9wavefront6targetE1EEEvT1_
                                        ; -- End function
	.section	.AMDGPU.csdata,"",@progbits
; Kernel info:
; codeLenInByte = 0
; NumSgprs: 6
; NumVgprs: 0
; NumAgprs: 0
; TotalNumVgprs: 0
; ScratchSize: 0
; MemoryBound: 0
; FloatMode: 240
; IeeeMode: 1
; LDSByteSize: 0 bytes/workgroup (compile time only)
; SGPRBlocks: 0
; VGPRBlocks: 0
; NumSGPRsForWavesPerEU: 6
; NumVGPRsForWavesPerEU: 1
; AccumOffset: 4
; Occupancy: 8
; WaveLimiterHint : 0
; COMPUTE_PGM_RSRC2:SCRATCH_EN: 0
; COMPUTE_PGM_RSRC2:USER_SGPR: 2
; COMPUTE_PGM_RSRC2:TRAP_HANDLER: 0
; COMPUTE_PGM_RSRC2:TGID_X_EN: 1
; COMPUTE_PGM_RSRC2:TGID_Y_EN: 0
; COMPUTE_PGM_RSRC2:TGID_Z_EN: 0
; COMPUTE_PGM_RSRC2:TIDIG_COMP_CNT: 0
; COMPUTE_PGM_RSRC3_GFX90A:ACCUM_OFFSET: 0
; COMPUTE_PGM_RSRC3_GFX90A:TG_SPLIT: 0
	.section	.text._ZN7rocprim17ROCPRIM_400000_NS6detail17trampoline_kernelINS0_14default_configENS1_27scan_by_key_config_selectorIllEEZZNS1_16scan_by_key_implILNS1_25lookback_scan_determinismE0ELb0ES3_PKlN6hipcub16HIPCUB_304000_NS21ConstantInputIteratorIllEEPllNSB_3SumENSB_8EqualityElEE10hipError_tPvRmT2_T3_T4_T5_mT6_T7_P12ihipStream_tbENKUlT_T0_E_clISt17integral_constantIbLb1EESX_EEDaSS_ST_EUlSS_E_NS1_11comp_targetILNS1_3genE9ELNS1_11target_archE1100ELNS1_3gpuE3ELNS1_3repE0EEENS1_30default_config_static_selectorELNS0_4arch9wavefront6targetE1EEEvT1_,"axG",@progbits,_ZN7rocprim17ROCPRIM_400000_NS6detail17trampoline_kernelINS0_14default_configENS1_27scan_by_key_config_selectorIllEEZZNS1_16scan_by_key_implILNS1_25lookback_scan_determinismE0ELb0ES3_PKlN6hipcub16HIPCUB_304000_NS21ConstantInputIteratorIllEEPllNSB_3SumENSB_8EqualityElEE10hipError_tPvRmT2_T3_T4_T5_mT6_T7_P12ihipStream_tbENKUlT_T0_E_clISt17integral_constantIbLb1EESX_EEDaSS_ST_EUlSS_E_NS1_11comp_targetILNS1_3genE9ELNS1_11target_archE1100ELNS1_3gpuE3ELNS1_3repE0EEENS1_30default_config_static_selectorELNS0_4arch9wavefront6targetE1EEEvT1_,comdat
	.protected	_ZN7rocprim17ROCPRIM_400000_NS6detail17trampoline_kernelINS0_14default_configENS1_27scan_by_key_config_selectorIllEEZZNS1_16scan_by_key_implILNS1_25lookback_scan_determinismE0ELb0ES3_PKlN6hipcub16HIPCUB_304000_NS21ConstantInputIteratorIllEEPllNSB_3SumENSB_8EqualityElEE10hipError_tPvRmT2_T3_T4_T5_mT6_T7_P12ihipStream_tbENKUlT_T0_E_clISt17integral_constantIbLb1EESX_EEDaSS_ST_EUlSS_E_NS1_11comp_targetILNS1_3genE9ELNS1_11target_archE1100ELNS1_3gpuE3ELNS1_3repE0EEENS1_30default_config_static_selectorELNS0_4arch9wavefront6targetE1EEEvT1_ ; -- Begin function _ZN7rocprim17ROCPRIM_400000_NS6detail17trampoline_kernelINS0_14default_configENS1_27scan_by_key_config_selectorIllEEZZNS1_16scan_by_key_implILNS1_25lookback_scan_determinismE0ELb0ES3_PKlN6hipcub16HIPCUB_304000_NS21ConstantInputIteratorIllEEPllNSB_3SumENSB_8EqualityElEE10hipError_tPvRmT2_T3_T4_T5_mT6_T7_P12ihipStream_tbENKUlT_T0_E_clISt17integral_constantIbLb1EESX_EEDaSS_ST_EUlSS_E_NS1_11comp_targetILNS1_3genE9ELNS1_11target_archE1100ELNS1_3gpuE3ELNS1_3repE0EEENS1_30default_config_static_selectorELNS0_4arch9wavefront6targetE1EEEvT1_
	.globl	_ZN7rocprim17ROCPRIM_400000_NS6detail17trampoline_kernelINS0_14default_configENS1_27scan_by_key_config_selectorIllEEZZNS1_16scan_by_key_implILNS1_25lookback_scan_determinismE0ELb0ES3_PKlN6hipcub16HIPCUB_304000_NS21ConstantInputIteratorIllEEPllNSB_3SumENSB_8EqualityElEE10hipError_tPvRmT2_T3_T4_T5_mT6_T7_P12ihipStream_tbENKUlT_T0_E_clISt17integral_constantIbLb1EESX_EEDaSS_ST_EUlSS_E_NS1_11comp_targetILNS1_3genE9ELNS1_11target_archE1100ELNS1_3gpuE3ELNS1_3repE0EEENS1_30default_config_static_selectorELNS0_4arch9wavefront6targetE1EEEvT1_
	.p2align	8
	.type	_ZN7rocprim17ROCPRIM_400000_NS6detail17trampoline_kernelINS0_14default_configENS1_27scan_by_key_config_selectorIllEEZZNS1_16scan_by_key_implILNS1_25lookback_scan_determinismE0ELb0ES3_PKlN6hipcub16HIPCUB_304000_NS21ConstantInputIteratorIllEEPllNSB_3SumENSB_8EqualityElEE10hipError_tPvRmT2_T3_T4_T5_mT6_T7_P12ihipStream_tbENKUlT_T0_E_clISt17integral_constantIbLb1EESX_EEDaSS_ST_EUlSS_E_NS1_11comp_targetILNS1_3genE9ELNS1_11target_archE1100ELNS1_3gpuE3ELNS1_3repE0EEENS1_30default_config_static_selectorELNS0_4arch9wavefront6targetE1EEEvT1_,@function
_ZN7rocprim17ROCPRIM_400000_NS6detail17trampoline_kernelINS0_14default_configENS1_27scan_by_key_config_selectorIllEEZZNS1_16scan_by_key_implILNS1_25lookback_scan_determinismE0ELb0ES3_PKlN6hipcub16HIPCUB_304000_NS21ConstantInputIteratorIllEEPllNSB_3SumENSB_8EqualityElEE10hipError_tPvRmT2_T3_T4_T5_mT6_T7_P12ihipStream_tbENKUlT_T0_E_clISt17integral_constantIbLb1EESX_EEDaSS_ST_EUlSS_E_NS1_11comp_targetILNS1_3genE9ELNS1_11target_archE1100ELNS1_3gpuE3ELNS1_3repE0EEENS1_30default_config_static_selectorELNS0_4arch9wavefront6targetE1EEEvT1_: ; @_ZN7rocprim17ROCPRIM_400000_NS6detail17trampoline_kernelINS0_14default_configENS1_27scan_by_key_config_selectorIllEEZZNS1_16scan_by_key_implILNS1_25lookback_scan_determinismE0ELb0ES3_PKlN6hipcub16HIPCUB_304000_NS21ConstantInputIteratorIllEEPllNSB_3SumENSB_8EqualityElEE10hipError_tPvRmT2_T3_T4_T5_mT6_T7_P12ihipStream_tbENKUlT_T0_E_clISt17integral_constantIbLb1EESX_EEDaSS_ST_EUlSS_E_NS1_11comp_targetILNS1_3genE9ELNS1_11target_archE1100ELNS1_3gpuE3ELNS1_3repE0EEENS1_30default_config_static_selectorELNS0_4arch9wavefront6targetE1EEEvT1_
; %bb.0:
	.section	.rodata,"a",@progbits
	.p2align	6, 0x0
	.amdhsa_kernel _ZN7rocprim17ROCPRIM_400000_NS6detail17trampoline_kernelINS0_14default_configENS1_27scan_by_key_config_selectorIllEEZZNS1_16scan_by_key_implILNS1_25lookback_scan_determinismE0ELb0ES3_PKlN6hipcub16HIPCUB_304000_NS21ConstantInputIteratorIllEEPllNSB_3SumENSB_8EqualityElEE10hipError_tPvRmT2_T3_T4_T5_mT6_T7_P12ihipStream_tbENKUlT_T0_E_clISt17integral_constantIbLb1EESX_EEDaSS_ST_EUlSS_E_NS1_11comp_targetILNS1_3genE9ELNS1_11target_archE1100ELNS1_3gpuE3ELNS1_3repE0EEENS1_30default_config_static_selectorELNS0_4arch9wavefront6targetE1EEEvT1_
		.amdhsa_group_segment_fixed_size 0
		.amdhsa_private_segment_fixed_size 0
		.amdhsa_kernarg_size 144
		.amdhsa_user_sgpr_count 2
		.amdhsa_user_sgpr_dispatch_ptr 0
		.amdhsa_user_sgpr_queue_ptr 0
		.amdhsa_user_sgpr_kernarg_segment_ptr 1
		.amdhsa_user_sgpr_dispatch_id 0
		.amdhsa_user_sgpr_kernarg_preload_length 0
		.amdhsa_user_sgpr_kernarg_preload_offset 0
		.amdhsa_user_sgpr_private_segment_size 0
		.amdhsa_uses_dynamic_stack 0
		.amdhsa_enable_private_segment 0
		.amdhsa_system_sgpr_workgroup_id_x 1
		.amdhsa_system_sgpr_workgroup_id_y 0
		.amdhsa_system_sgpr_workgroup_id_z 0
		.amdhsa_system_sgpr_workgroup_info 0
		.amdhsa_system_vgpr_workitem_id 0
		.amdhsa_next_free_vgpr 1
		.amdhsa_next_free_sgpr 0
		.amdhsa_accum_offset 4
		.amdhsa_reserve_vcc 0
		.amdhsa_float_round_mode_32 0
		.amdhsa_float_round_mode_16_64 0
		.amdhsa_float_denorm_mode_32 3
		.amdhsa_float_denorm_mode_16_64 3
		.amdhsa_dx10_clamp 1
		.amdhsa_ieee_mode 1
		.amdhsa_fp16_overflow 0
		.amdhsa_tg_split 0
		.amdhsa_exception_fp_ieee_invalid_op 0
		.amdhsa_exception_fp_denorm_src 0
		.amdhsa_exception_fp_ieee_div_zero 0
		.amdhsa_exception_fp_ieee_overflow 0
		.amdhsa_exception_fp_ieee_underflow 0
		.amdhsa_exception_fp_ieee_inexact 0
		.amdhsa_exception_int_div_zero 0
	.end_amdhsa_kernel
	.section	.text._ZN7rocprim17ROCPRIM_400000_NS6detail17trampoline_kernelINS0_14default_configENS1_27scan_by_key_config_selectorIllEEZZNS1_16scan_by_key_implILNS1_25lookback_scan_determinismE0ELb0ES3_PKlN6hipcub16HIPCUB_304000_NS21ConstantInputIteratorIllEEPllNSB_3SumENSB_8EqualityElEE10hipError_tPvRmT2_T3_T4_T5_mT6_T7_P12ihipStream_tbENKUlT_T0_E_clISt17integral_constantIbLb1EESX_EEDaSS_ST_EUlSS_E_NS1_11comp_targetILNS1_3genE9ELNS1_11target_archE1100ELNS1_3gpuE3ELNS1_3repE0EEENS1_30default_config_static_selectorELNS0_4arch9wavefront6targetE1EEEvT1_,"axG",@progbits,_ZN7rocprim17ROCPRIM_400000_NS6detail17trampoline_kernelINS0_14default_configENS1_27scan_by_key_config_selectorIllEEZZNS1_16scan_by_key_implILNS1_25lookback_scan_determinismE0ELb0ES3_PKlN6hipcub16HIPCUB_304000_NS21ConstantInputIteratorIllEEPllNSB_3SumENSB_8EqualityElEE10hipError_tPvRmT2_T3_T4_T5_mT6_T7_P12ihipStream_tbENKUlT_T0_E_clISt17integral_constantIbLb1EESX_EEDaSS_ST_EUlSS_E_NS1_11comp_targetILNS1_3genE9ELNS1_11target_archE1100ELNS1_3gpuE3ELNS1_3repE0EEENS1_30default_config_static_selectorELNS0_4arch9wavefront6targetE1EEEvT1_,comdat
.Lfunc_end112:
	.size	_ZN7rocprim17ROCPRIM_400000_NS6detail17trampoline_kernelINS0_14default_configENS1_27scan_by_key_config_selectorIllEEZZNS1_16scan_by_key_implILNS1_25lookback_scan_determinismE0ELb0ES3_PKlN6hipcub16HIPCUB_304000_NS21ConstantInputIteratorIllEEPllNSB_3SumENSB_8EqualityElEE10hipError_tPvRmT2_T3_T4_T5_mT6_T7_P12ihipStream_tbENKUlT_T0_E_clISt17integral_constantIbLb1EESX_EEDaSS_ST_EUlSS_E_NS1_11comp_targetILNS1_3genE9ELNS1_11target_archE1100ELNS1_3gpuE3ELNS1_3repE0EEENS1_30default_config_static_selectorELNS0_4arch9wavefront6targetE1EEEvT1_, .Lfunc_end112-_ZN7rocprim17ROCPRIM_400000_NS6detail17trampoline_kernelINS0_14default_configENS1_27scan_by_key_config_selectorIllEEZZNS1_16scan_by_key_implILNS1_25lookback_scan_determinismE0ELb0ES3_PKlN6hipcub16HIPCUB_304000_NS21ConstantInputIteratorIllEEPllNSB_3SumENSB_8EqualityElEE10hipError_tPvRmT2_T3_T4_T5_mT6_T7_P12ihipStream_tbENKUlT_T0_E_clISt17integral_constantIbLb1EESX_EEDaSS_ST_EUlSS_E_NS1_11comp_targetILNS1_3genE9ELNS1_11target_archE1100ELNS1_3gpuE3ELNS1_3repE0EEENS1_30default_config_static_selectorELNS0_4arch9wavefront6targetE1EEEvT1_
                                        ; -- End function
	.section	.AMDGPU.csdata,"",@progbits
; Kernel info:
; codeLenInByte = 0
; NumSgprs: 6
; NumVgprs: 0
; NumAgprs: 0
; TotalNumVgprs: 0
; ScratchSize: 0
; MemoryBound: 0
; FloatMode: 240
; IeeeMode: 1
; LDSByteSize: 0 bytes/workgroup (compile time only)
; SGPRBlocks: 0
; VGPRBlocks: 0
; NumSGPRsForWavesPerEU: 6
; NumVGPRsForWavesPerEU: 1
; AccumOffset: 4
; Occupancy: 8
; WaveLimiterHint : 0
; COMPUTE_PGM_RSRC2:SCRATCH_EN: 0
; COMPUTE_PGM_RSRC2:USER_SGPR: 2
; COMPUTE_PGM_RSRC2:TRAP_HANDLER: 0
; COMPUTE_PGM_RSRC2:TGID_X_EN: 1
; COMPUTE_PGM_RSRC2:TGID_Y_EN: 0
; COMPUTE_PGM_RSRC2:TGID_Z_EN: 0
; COMPUTE_PGM_RSRC2:TIDIG_COMP_CNT: 0
; COMPUTE_PGM_RSRC3_GFX90A:ACCUM_OFFSET: 0
; COMPUTE_PGM_RSRC3_GFX90A:TG_SPLIT: 0
	.section	.text._ZN7rocprim17ROCPRIM_400000_NS6detail17trampoline_kernelINS0_14default_configENS1_27scan_by_key_config_selectorIllEEZZNS1_16scan_by_key_implILNS1_25lookback_scan_determinismE0ELb0ES3_PKlN6hipcub16HIPCUB_304000_NS21ConstantInputIteratorIllEEPllNSB_3SumENSB_8EqualityElEE10hipError_tPvRmT2_T3_T4_T5_mT6_T7_P12ihipStream_tbENKUlT_T0_E_clISt17integral_constantIbLb1EESX_EEDaSS_ST_EUlSS_E_NS1_11comp_targetILNS1_3genE8ELNS1_11target_archE1030ELNS1_3gpuE2ELNS1_3repE0EEENS1_30default_config_static_selectorELNS0_4arch9wavefront6targetE1EEEvT1_,"axG",@progbits,_ZN7rocprim17ROCPRIM_400000_NS6detail17trampoline_kernelINS0_14default_configENS1_27scan_by_key_config_selectorIllEEZZNS1_16scan_by_key_implILNS1_25lookback_scan_determinismE0ELb0ES3_PKlN6hipcub16HIPCUB_304000_NS21ConstantInputIteratorIllEEPllNSB_3SumENSB_8EqualityElEE10hipError_tPvRmT2_T3_T4_T5_mT6_T7_P12ihipStream_tbENKUlT_T0_E_clISt17integral_constantIbLb1EESX_EEDaSS_ST_EUlSS_E_NS1_11comp_targetILNS1_3genE8ELNS1_11target_archE1030ELNS1_3gpuE2ELNS1_3repE0EEENS1_30default_config_static_selectorELNS0_4arch9wavefront6targetE1EEEvT1_,comdat
	.protected	_ZN7rocprim17ROCPRIM_400000_NS6detail17trampoline_kernelINS0_14default_configENS1_27scan_by_key_config_selectorIllEEZZNS1_16scan_by_key_implILNS1_25lookback_scan_determinismE0ELb0ES3_PKlN6hipcub16HIPCUB_304000_NS21ConstantInputIteratorIllEEPllNSB_3SumENSB_8EqualityElEE10hipError_tPvRmT2_T3_T4_T5_mT6_T7_P12ihipStream_tbENKUlT_T0_E_clISt17integral_constantIbLb1EESX_EEDaSS_ST_EUlSS_E_NS1_11comp_targetILNS1_3genE8ELNS1_11target_archE1030ELNS1_3gpuE2ELNS1_3repE0EEENS1_30default_config_static_selectorELNS0_4arch9wavefront6targetE1EEEvT1_ ; -- Begin function _ZN7rocprim17ROCPRIM_400000_NS6detail17trampoline_kernelINS0_14default_configENS1_27scan_by_key_config_selectorIllEEZZNS1_16scan_by_key_implILNS1_25lookback_scan_determinismE0ELb0ES3_PKlN6hipcub16HIPCUB_304000_NS21ConstantInputIteratorIllEEPllNSB_3SumENSB_8EqualityElEE10hipError_tPvRmT2_T3_T4_T5_mT6_T7_P12ihipStream_tbENKUlT_T0_E_clISt17integral_constantIbLb1EESX_EEDaSS_ST_EUlSS_E_NS1_11comp_targetILNS1_3genE8ELNS1_11target_archE1030ELNS1_3gpuE2ELNS1_3repE0EEENS1_30default_config_static_selectorELNS0_4arch9wavefront6targetE1EEEvT1_
	.globl	_ZN7rocprim17ROCPRIM_400000_NS6detail17trampoline_kernelINS0_14default_configENS1_27scan_by_key_config_selectorIllEEZZNS1_16scan_by_key_implILNS1_25lookback_scan_determinismE0ELb0ES3_PKlN6hipcub16HIPCUB_304000_NS21ConstantInputIteratorIllEEPllNSB_3SumENSB_8EqualityElEE10hipError_tPvRmT2_T3_T4_T5_mT6_T7_P12ihipStream_tbENKUlT_T0_E_clISt17integral_constantIbLb1EESX_EEDaSS_ST_EUlSS_E_NS1_11comp_targetILNS1_3genE8ELNS1_11target_archE1030ELNS1_3gpuE2ELNS1_3repE0EEENS1_30default_config_static_selectorELNS0_4arch9wavefront6targetE1EEEvT1_
	.p2align	8
	.type	_ZN7rocprim17ROCPRIM_400000_NS6detail17trampoline_kernelINS0_14default_configENS1_27scan_by_key_config_selectorIllEEZZNS1_16scan_by_key_implILNS1_25lookback_scan_determinismE0ELb0ES3_PKlN6hipcub16HIPCUB_304000_NS21ConstantInputIteratorIllEEPllNSB_3SumENSB_8EqualityElEE10hipError_tPvRmT2_T3_T4_T5_mT6_T7_P12ihipStream_tbENKUlT_T0_E_clISt17integral_constantIbLb1EESX_EEDaSS_ST_EUlSS_E_NS1_11comp_targetILNS1_3genE8ELNS1_11target_archE1030ELNS1_3gpuE2ELNS1_3repE0EEENS1_30default_config_static_selectorELNS0_4arch9wavefront6targetE1EEEvT1_,@function
_ZN7rocprim17ROCPRIM_400000_NS6detail17trampoline_kernelINS0_14default_configENS1_27scan_by_key_config_selectorIllEEZZNS1_16scan_by_key_implILNS1_25lookback_scan_determinismE0ELb0ES3_PKlN6hipcub16HIPCUB_304000_NS21ConstantInputIteratorIllEEPllNSB_3SumENSB_8EqualityElEE10hipError_tPvRmT2_T3_T4_T5_mT6_T7_P12ihipStream_tbENKUlT_T0_E_clISt17integral_constantIbLb1EESX_EEDaSS_ST_EUlSS_E_NS1_11comp_targetILNS1_3genE8ELNS1_11target_archE1030ELNS1_3gpuE2ELNS1_3repE0EEENS1_30default_config_static_selectorELNS0_4arch9wavefront6targetE1EEEvT1_: ; @_ZN7rocprim17ROCPRIM_400000_NS6detail17trampoline_kernelINS0_14default_configENS1_27scan_by_key_config_selectorIllEEZZNS1_16scan_by_key_implILNS1_25lookback_scan_determinismE0ELb0ES3_PKlN6hipcub16HIPCUB_304000_NS21ConstantInputIteratorIllEEPllNSB_3SumENSB_8EqualityElEE10hipError_tPvRmT2_T3_T4_T5_mT6_T7_P12ihipStream_tbENKUlT_T0_E_clISt17integral_constantIbLb1EESX_EEDaSS_ST_EUlSS_E_NS1_11comp_targetILNS1_3genE8ELNS1_11target_archE1030ELNS1_3gpuE2ELNS1_3repE0EEENS1_30default_config_static_selectorELNS0_4arch9wavefront6targetE1EEEvT1_
; %bb.0:
	.section	.rodata,"a",@progbits
	.p2align	6, 0x0
	.amdhsa_kernel _ZN7rocprim17ROCPRIM_400000_NS6detail17trampoline_kernelINS0_14default_configENS1_27scan_by_key_config_selectorIllEEZZNS1_16scan_by_key_implILNS1_25lookback_scan_determinismE0ELb0ES3_PKlN6hipcub16HIPCUB_304000_NS21ConstantInputIteratorIllEEPllNSB_3SumENSB_8EqualityElEE10hipError_tPvRmT2_T3_T4_T5_mT6_T7_P12ihipStream_tbENKUlT_T0_E_clISt17integral_constantIbLb1EESX_EEDaSS_ST_EUlSS_E_NS1_11comp_targetILNS1_3genE8ELNS1_11target_archE1030ELNS1_3gpuE2ELNS1_3repE0EEENS1_30default_config_static_selectorELNS0_4arch9wavefront6targetE1EEEvT1_
		.amdhsa_group_segment_fixed_size 0
		.amdhsa_private_segment_fixed_size 0
		.amdhsa_kernarg_size 144
		.amdhsa_user_sgpr_count 2
		.amdhsa_user_sgpr_dispatch_ptr 0
		.amdhsa_user_sgpr_queue_ptr 0
		.amdhsa_user_sgpr_kernarg_segment_ptr 1
		.amdhsa_user_sgpr_dispatch_id 0
		.amdhsa_user_sgpr_kernarg_preload_length 0
		.amdhsa_user_sgpr_kernarg_preload_offset 0
		.amdhsa_user_sgpr_private_segment_size 0
		.amdhsa_uses_dynamic_stack 0
		.amdhsa_enable_private_segment 0
		.amdhsa_system_sgpr_workgroup_id_x 1
		.amdhsa_system_sgpr_workgroup_id_y 0
		.amdhsa_system_sgpr_workgroup_id_z 0
		.amdhsa_system_sgpr_workgroup_info 0
		.amdhsa_system_vgpr_workitem_id 0
		.amdhsa_next_free_vgpr 1
		.amdhsa_next_free_sgpr 0
		.amdhsa_accum_offset 4
		.amdhsa_reserve_vcc 0
		.amdhsa_float_round_mode_32 0
		.amdhsa_float_round_mode_16_64 0
		.amdhsa_float_denorm_mode_32 3
		.amdhsa_float_denorm_mode_16_64 3
		.amdhsa_dx10_clamp 1
		.amdhsa_ieee_mode 1
		.amdhsa_fp16_overflow 0
		.amdhsa_tg_split 0
		.amdhsa_exception_fp_ieee_invalid_op 0
		.amdhsa_exception_fp_denorm_src 0
		.amdhsa_exception_fp_ieee_div_zero 0
		.amdhsa_exception_fp_ieee_overflow 0
		.amdhsa_exception_fp_ieee_underflow 0
		.amdhsa_exception_fp_ieee_inexact 0
		.amdhsa_exception_int_div_zero 0
	.end_amdhsa_kernel
	.section	.text._ZN7rocprim17ROCPRIM_400000_NS6detail17trampoline_kernelINS0_14default_configENS1_27scan_by_key_config_selectorIllEEZZNS1_16scan_by_key_implILNS1_25lookback_scan_determinismE0ELb0ES3_PKlN6hipcub16HIPCUB_304000_NS21ConstantInputIteratorIllEEPllNSB_3SumENSB_8EqualityElEE10hipError_tPvRmT2_T3_T4_T5_mT6_T7_P12ihipStream_tbENKUlT_T0_E_clISt17integral_constantIbLb1EESX_EEDaSS_ST_EUlSS_E_NS1_11comp_targetILNS1_3genE8ELNS1_11target_archE1030ELNS1_3gpuE2ELNS1_3repE0EEENS1_30default_config_static_selectorELNS0_4arch9wavefront6targetE1EEEvT1_,"axG",@progbits,_ZN7rocprim17ROCPRIM_400000_NS6detail17trampoline_kernelINS0_14default_configENS1_27scan_by_key_config_selectorIllEEZZNS1_16scan_by_key_implILNS1_25lookback_scan_determinismE0ELb0ES3_PKlN6hipcub16HIPCUB_304000_NS21ConstantInputIteratorIllEEPllNSB_3SumENSB_8EqualityElEE10hipError_tPvRmT2_T3_T4_T5_mT6_T7_P12ihipStream_tbENKUlT_T0_E_clISt17integral_constantIbLb1EESX_EEDaSS_ST_EUlSS_E_NS1_11comp_targetILNS1_3genE8ELNS1_11target_archE1030ELNS1_3gpuE2ELNS1_3repE0EEENS1_30default_config_static_selectorELNS0_4arch9wavefront6targetE1EEEvT1_,comdat
.Lfunc_end113:
	.size	_ZN7rocprim17ROCPRIM_400000_NS6detail17trampoline_kernelINS0_14default_configENS1_27scan_by_key_config_selectorIllEEZZNS1_16scan_by_key_implILNS1_25lookback_scan_determinismE0ELb0ES3_PKlN6hipcub16HIPCUB_304000_NS21ConstantInputIteratorIllEEPllNSB_3SumENSB_8EqualityElEE10hipError_tPvRmT2_T3_T4_T5_mT6_T7_P12ihipStream_tbENKUlT_T0_E_clISt17integral_constantIbLb1EESX_EEDaSS_ST_EUlSS_E_NS1_11comp_targetILNS1_3genE8ELNS1_11target_archE1030ELNS1_3gpuE2ELNS1_3repE0EEENS1_30default_config_static_selectorELNS0_4arch9wavefront6targetE1EEEvT1_, .Lfunc_end113-_ZN7rocprim17ROCPRIM_400000_NS6detail17trampoline_kernelINS0_14default_configENS1_27scan_by_key_config_selectorIllEEZZNS1_16scan_by_key_implILNS1_25lookback_scan_determinismE0ELb0ES3_PKlN6hipcub16HIPCUB_304000_NS21ConstantInputIteratorIllEEPllNSB_3SumENSB_8EqualityElEE10hipError_tPvRmT2_T3_T4_T5_mT6_T7_P12ihipStream_tbENKUlT_T0_E_clISt17integral_constantIbLb1EESX_EEDaSS_ST_EUlSS_E_NS1_11comp_targetILNS1_3genE8ELNS1_11target_archE1030ELNS1_3gpuE2ELNS1_3repE0EEENS1_30default_config_static_selectorELNS0_4arch9wavefront6targetE1EEEvT1_
                                        ; -- End function
	.section	.AMDGPU.csdata,"",@progbits
; Kernel info:
; codeLenInByte = 0
; NumSgprs: 6
; NumVgprs: 0
; NumAgprs: 0
; TotalNumVgprs: 0
; ScratchSize: 0
; MemoryBound: 0
; FloatMode: 240
; IeeeMode: 1
; LDSByteSize: 0 bytes/workgroup (compile time only)
; SGPRBlocks: 0
; VGPRBlocks: 0
; NumSGPRsForWavesPerEU: 6
; NumVGPRsForWavesPerEU: 1
; AccumOffset: 4
; Occupancy: 8
; WaveLimiterHint : 0
; COMPUTE_PGM_RSRC2:SCRATCH_EN: 0
; COMPUTE_PGM_RSRC2:USER_SGPR: 2
; COMPUTE_PGM_RSRC2:TRAP_HANDLER: 0
; COMPUTE_PGM_RSRC2:TGID_X_EN: 1
; COMPUTE_PGM_RSRC2:TGID_Y_EN: 0
; COMPUTE_PGM_RSRC2:TGID_Z_EN: 0
; COMPUTE_PGM_RSRC2:TIDIG_COMP_CNT: 0
; COMPUTE_PGM_RSRC3_GFX90A:ACCUM_OFFSET: 0
; COMPUTE_PGM_RSRC3_GFX90A:TG_SPLIT: 0
	.section	.text._ZN7rocprim17ROCPRIM_400000_NS6detail30init_device_scan_by_key_kernelINS1_19lookback_scan_stateINS0_5tupleIJlbEEELb1ELb0EEEPKljNS1_16block_id_wrapperIjLb0EEEEEvT_jjPNSB_10value_typeET0_PNSt15iterator_traitsISE_E10value_typeEmT1_T2_,"axG",@progbits,_ZN7rocprim17ROCPRIM_400000_NS6detail30init_device_scan_by_key_kernelINS1_19lookback_scan_stateINS0_5tupleIJlbEEELb1ELb0EEEPKljNS1_16block_id_wrapperIjLb0EEEEEvT_jjPNSB_10value_typeET0_PNSt15iterator_traitsISE_E10value_typeEmT1_T2_,comdat
	.protected	_ZN7rocprim17ROCPRIM_400000_NS6detail30init_device_scan_by_key_kernelINS1_19lookback_scan_stateINS0_5tupleIJlbEEELb1ELb0EEEPKljNS1_16block_id_wrapperIjLb0EEEEEvT_jjPNSB_10value_typeET0_PNSt15iterator_traitsISE_E10value_typeEmT1_T2_ ; -- Begin function _ZN7rocprim17ROCPRIM_400000_NS6detail30init_device_scan_by_key_kernelINS1_19lookback_scan_stateINS0_5tupleIJlbEEELb1ELb0EEEPKljNS1_16block_id_wrapperIjLb0EEEEEvT_jjPNSB_10value_typeET0_PNSt15iterator_traitsISE_E10value_typeEmT1_T2_
	.globl	_ZN7rocprim17ROCPRIM_400000_NS6detail30init_device_scan_by_key_kernelINS1_19lookback_scan_stateINS0_5tupleIJlbEEELb1ELb0EEEPKljNS1_16block_id_wrapperIjLb0EEEEEvT_jjPNSB_10value_typeET0_PNSt15iterator_traitsISE_E10value_typeEmT1_T2_
	.p2align	8
	.type	_ZN7rocprim17ROCPRIM_400000_NS6detail30init_device_scan_by_key_kernelINS1_19lookback_scan_stateINS0_5tupleIJlbEEELb1ELb0EEEPKljNS1_16block_id_wrapperIjLb0EEEEEvT_jjPNSB_10value_typeET0_PNSt15iterator_traitsISE_E10value_typeEmT1_T2_,@function
_ZN7rocprim17ROCPRIM_400000_NS6detail30init_device_scan_by_key_kernelINS1_19lookback_scan_stateINS0_5tupleIJlbEEELb1ELb0EEEPKljNS1_16block_id_wrapperIjLb0EEEEEvT_jjPNSB_10value_typeET0_PNSt15iterator_traitsISE_E10value_typeEmT1_T2_: ; @_ZN7rocprim17ROCPRIM_400000_NS6detail30init_device_scan_by_key_kernelINS1_19lookback_scan_stateINS0_5tupleIJlbEEELb1ELb0EEEPKljNS1_16block_id_wrapperIjLb0EEEEEvT_jjPNSB_10value_typeET0_PNSt15iterator_traitsISE_E10value_typeEmT1_T2_
; %bb.0:
	s_load_dword s3, s[0:1], 0x54
	s_load_dwordx8 s[4:11], s[0:1], 0x10
	s_load_dword s20, s[0:1], 0x48
	s_waitcnt lgkmcnt(0)
	s_and_b32 s21, s3, 0xffff
	s_mul_i32 s2, s2, s21
	s_cmp_eq_u64 s[8:9], 0
	v_add_u32_e32 v0, s2, v0
	s_cbranch_scc1 .LBB114_11
; %bb.1:
	s_cmp_lt_u32 s7, s6
	s_cselect_b32 s2, s7, 0
	s_mov_b32 s17, 0
	v_cmp_eq_u32_e32 vcc, s2, v0
	s_and_saveexec_b64 s[2:3], vcc
	s_cbranch_execz .LBB114_10
; %bb.2:
	s_add_i32 s16, s7, 64
	v_mov_b32_e32 v1, s16
	global_load_ubyte v1, v1, s[4:5] sc1
	s_load_dwordx4 s[12:15], s[0:1], 0x0
	s_add_u32 s18, s4, s16
	s_addc_u32 s19, s5, 0
	s_waitcnt vmcnt(0)
	v_cmp_ne_u16_e32 vcc, 0, v1
	v_readfirstlane_b32 s7, v1
	s_cbranch_vccz .LBB114_4
; %bb.3:
	s_and_b32 s7, 0xffff, s7
	s_branch .LBB114_9
.LBB114_4:
	s_mov_b32 s7, 1
	v_mov_b32_e32 v1, 0
.LBB114_5:                              ; =>This Loop Header: Depth=1
                                        ;     Child Loop BB114_6 Depth 2
	s_max_u32 s22, s7, 1
.LBB114_6:                              ;   Parent Loop BB114_5 Depth=1
                                        ; =>  This Inner Loop Header: Depth=2
	s_add_i32 s22, s22, -1
	s_cmp_eq_u32 s22, 0
	s_sleep 1
	s_cbranch_scc0 .LBB114_6
; %bb.7:                                ;   in Loop: Header=BB114_5 Depth=1
	global_load_ubyte v2, v1, s[18:19] sc1
	s_cmp_lt_u32 s7, 32
	s_cselect_b64 s[22:23], -1, 0
	s_cmp_lg_u64 s[22:23], 0
	s_addc_u32 s7, s7, 0
	s_waitcnt vmcnt(0)
	v_cmp_ne_u16_e32 vcc, 0, v2
	v_readfirstlane_b32 s22, v2
	s_cbranch_vccz .LBB114_5
; %bb.8:
	s_and_b32 s7, 0xffff, s22
.LBB114_9:
	s_cmp_eq_u32 s7, 1
	s_waitcnt lgkmcnt(0)
	s_cselect_b32 s7, s13, s15
	s_cselect_b32 s14, s12, s14
	s_lshl_b64 s[12:13], s[16:17], 4
	s_add_u32 s12, s14, s12
	s_addc_u32 s13, s7, s13
	v_mov_b32_e32 v1, 0
	s_waitcnt vmcnt(0)
	global_load_dword v2, v1, s[12:13] sc1
	global_load_dword v3, v1, s[12:13] offset:4 sc1
	global_load_dword v4, v1, s[12:13] offset:8 sc1
	;; [unrolled: 1-line block ×3, first 2 shown]
	s_waitcnt vmcnt(2)
	global_store_dwordx2 v1, v[2:3], s[8:9]
	s_waitcnt vmcnt(2)
	global_store_byte v1, v4, s[8:9] offset:8
.LBB114_10:
	s_or_b64 exec, exec, s[2:3]
.LBB114_11:
	v_cmp_gt_u32_e32 vcc, s6, v0
	s_and_saveexec_b64 s[2:3], vcc
	s_cbranch_execz .LBB114_13
; %bb.12:
	v_add_u32_e32 v1, 64, v0
	v_mov_b32_e32 v2, 0
	global_store_byte v1, v2, s[4:5]
.LBB114_13:
	s_or_b64 exec, exec, s[2:3]
	v_cmp_gt_u32_e32 vcc, 64, v0
	v_mov_b32_e32 v1, 0
	s_and_saveexec_b64 s[2:3], vcc
	s_cbranch_execz .LBB114_15
; %bb.14:
	v_lshl_add_u64 v[2:3], s[4:5], 0, v[0:1]
	v_mov_b32_e32 v4, 0xff
	global_store_byte v[2:3], v4, off
.LBB114_15:
	s_or_b64 exec, exec, s[2:3]
	s_load_dwordx2 s[2:3], s[0:1], 0x38
	s_waitcnt lgkmcnt(0)
	v_cmp_gt_u64_e32 vcc, s[2:3], v[0:1]
	s_and_saveexec_b64 s[4:5], vcc
	s_cbranch_execz .LBB114_18
; %bb.16:
	s_load_dword s12, s[0:1], 0x40
	s_load_dwordx2 s[6:7], s[0:1], 0x30
	s_mov_b32 s5, 0
	s_mov_b32 s1, s5
	s_mul_i32 s0, s20, s21
	s_waitcnt lgkmcnt(0)
	s_add_i32 s4, s12, -1
	s_lshl_b64 s[4:5], s[4:5], 3
	s_add_u32 s4, s10, s4
	v_mad_u64_u32 v[2:3], s[8:9], s12, v0, 0
	s_addc_u32 s5, s11, s5
	v_lshl_add_u64 v[2:3], v[2:3], 3, s[4:5]
	s_mul_hi_u32 s5, s12, s0
	s_mul_i32 s4, s12, s0
	s_lshl_b64 s[4:5], s[4:5], 3
	s_waitcnt vmcnt(2)
	v_lshl_add_u64 v[4:5], v[0:1], 3, s[6:7]
	s_lshl_b64 s[6:7], s[0:1], 3
	s_mov_b64 s[8:9], 0
.LBB114_17:                             ; =>This Inner Loop Header: Depth=1
	global_load_dwordx2 v[6:7], v[2:3], off
	v_lshl_add_u64 v[0:1], v[0:1], 0, s[0:1]
	v_cmp_le_u64_e32 vcc, s[2:3], v[0:1]
	v_lshl_add_u64 v[2:3], v[2:3], 0, s[4:5]
	s_or_b64 s[8:9], vcc, s[8:9]
	s_waitcnt vmcnt(0)
	global_store_dwordx2 v[4:5], v[6:7], off
	v_lshl_add_u64 v[4:5], v[4:5], 0, s[6:7]
	s_andn2_b64 exec, exec, s[8:9]
	s_cbranch_execnz .LBB114_17
.LBB114_18:
	s_endpgm
	.section	.rodata,"a",@progbits
	.p2align	6, 0x0
	.amdhsa_kernel _ZN7rocprim17ROCPRIM_400000_NS6detail30init_device_scan_by_key_kernelINS1_19lookback_scan_stateINS0_5tupleIJlbEEELb1ELb0EEEPKljNS1_16block_id_wrapperIjLb0EEEEEvT_jjPNSB_10value_typeET0_PNSt15iterator_traitsISE_E10value_typeEmT1_T2_
		.amdhsa_group_segment_fixed_size 0
		.amdhsa_private_segment_fixed_size 0
		.amdhsa_kernarg_size 328
		.amdhsa_user_sgpr_count 2
		.amdhsa_user_sgpr_dispatch_ptr 0
		.amdhsa_user_sgpr_queue_ptr 0
		.amdhsa_user_sgpr_kernarg_segment_ptr 1
		.amdhsa_user_sgpr_dispatch_id 0
		.amdhsa_user_sgpr_kernarg_preload_length 0
		.amdhsa_user_sgpr_kernarg_preload_offset 0
		.amdhsa_user_sgpr_private_segment_size 0
		.amdhsa_uses_dynamic_stack 0
		.amdhsa_enable_private_segment 0
		.amdhsa_system_sgpr_workgroup_id_x 1
		.amdhsa_system_sgpr_workgroup_id_y 0
		.amdhsa_system_sgpr_workgroup_id_z 0
		.amdhsa_system_sgpr_workgroup_info 0
		.amdhsa_system_vgpr_workitem_id 0
		.amdhsa_next_free_vgpr 8
		.amdhsa_next_free_sgpr 24
		.amdhsa_accum_offset 8
		.amdhsa_reserve_vcc 1
		.amdhsa_float_round_mode_32 0
		.amdhsa_float_round_mode_16_64 0
		.amdhsa_float_denorm_mode_32 3
		.amdhsa_float_denorm_mode_16_64 3
		.amdhsa_dx10_clamp 1
		.amdhsa_ieee_mode 1
		.amdhsa_fp16_overflow 0
		.amdhsa_tg_split 0
		.amdhsa_exception_fp_ieee_invalid_op 0
		.amdhsa_exception_fp_denorm_src 0
		.amdhsa_exception_fp_ieee_div_zero 0
		.amdhsa_exception_fp_ieee_overflow 0
		.amdhsa_exception_fp_ieee_underflow 0
		.amdhsa_exception_fp_ieee_inexact 0
		.amdhsa_exception_int_div_zero 0
	.end_amdhsa_kernel
	.section	.text._ZN7rocprim17ROCPRIM_400000_NS6detail30init_device_scan_by_key_kernelINS1_19lookback_scan_stateINS0_5tupleIJlbEEELb1ELb0EEEPKljNS1_16block_id_wrapperIjLb0EEEEEvT_jjPNSB_10value_typeET0_PNSt15iterator_traitsISE_E10value_typeEmT1_T2_,"axG",@progbits,_ZN7rocprim17ROCPRIM_400000_NS6detail30init_device_scan_by_key_kernelINS1_19lookback_scan_stateINS0_5tupleIJlbEEELb1ELb0EEEPKljNS1_16block_id_wrapperIjLb0EEEEEvT_jjPNSB_10value_typeET0_PNSt15iterator_traitsISE_E10value_typeEmT1_T2_,comdat
.Lfunc_end114:
	.size	_ZN7rocprim17ROCPRIM_400000_NS6detail30init_device_scan_by_key_kernelINS1_19lookback_scan_stateINS0_5tupleIJlbEEELb1ELb0EEEPKljNS1_16block_id_wrapperIjLb0EEEEEvT_jjPNSB_10value_typeET0_PNSt15iterator_traitsISE_E10value_typeEmT1_T2_, .Lfunc_end114-_ZN7rocprim17ROCPRIM_400000_NS6detail30init_device_scan_by_key_kernelINS1_19lookback_scan_stateINS0_5tupleIJlbEEELb1ELb0EEEPKljNS1_16block_id_wrapperIjLb0EEEEEvT_jjPNSB_10value_typeET0_PNSt15iterator_traitsISE_E10value_typeEmT1_T2_
                                        ; -- End function
	.section	.AMDGPU.csdata,"",@progbits
; Kernel info:
; codeLenInByte = 568
; NumSgprs: 30
; NumVgprs: 8
; NumAgprs: 0
; TotalNumVgprs: 8
; ScratchSize: 0
; MemoryBound: 0
; FloatMode: 240
; IeeeMode: 1
; LDSByteSize: 0 bytes/workgroup (compile time only)
; SGPRBlocks: 3
; VGPRBlocks: 0
; NumSGPRsForWavesPerEU: 30
; NumVGPRsForWavesPerEU: 8
; AccumOffset: 8
; Occupancy: 8
; WaveLimiterHint : 0
; COMPUTE_PGM_RSRC2:SCRATCH_EN: 0
; COMPUTE_PGM_RSRC2:USER_SGPR: 2
; COMPUTE_PGM_RSRC2:TRAP_HANDLER: 0
; COMPUTE_PGM_RSRC2:TGID_X_EN: 1
; COMPUTE_PGM_RSRC2:TGID_Y_EN: 0
; COMPUTE_PGM_RSRC2:TGID_Z_EN: 0
; COMPUTE_PGM_RSRC2:TIDIG_COMP_CNT: 0
; COMPUTE_PGM_RSRC3_GFX90A:ACCUM_OFFSET: 1
; COMPUTE_PGM_RSRC3_GFX90A:TG_SPLIT: 0
	.section	.text._ZN7rocprim17ROCPRIM_400000_NS6detail30init_device_scan_by_key_kernelINS1_19lookback_scan_stateINS0_5tupleIJlbEEELb1ELb0EEENS1_16block_id_wrapperIjLb0EEEEEvT_jjPNS9_10value_typeET0_,"axG",@progbits,_ZN7rocprim17ROCPRIM_400000_NS6detail30init_device_scan_by_key_kernelINS1_19lookback_scan_stateINS0_5tupleIJlbEEELb1ELb0EEENS1_16block_id_wrapperIjLb0EEEEEvT_jjPNS9_10value_typeET0_,comdat
	.protected	_ZN7rocprim17ROCPRIM_400000_NS6detail30init_device_scan_by_key_kernelINS1_19lookback_scan_stateINS0_5tupleIJlbEEELb1ELb0EEENS1_16block_id_wrapperIjLb0EEEEEvT_jjPNS9_10value_typeET0_ ; -- Begin function _ZN7rocprim17ROCPRIM_400000_NS6detail30init_device_scan_by_key_kernelINS1_19lookback_scan_stateINS0_5tupleIJlbEEELb1ELb0EEENS1_16block_id_wrapperIjLb0EEEEEvT_jjPNS9_10value_typeET0_
	.globl	_ZN7rocprim17ROCPRIM_400000_NS6detail30init_device_scan_by_key_kernelINS1_19lookback_scan_stateINS0_5tupleIJlbEEELb1ELb0EEENS1_16block_id_wrapperIjLb0EEEEEvT_jjPNS9_10value_typeET0_
	.p2align	8
	.type	_ZN7rocprim17ROCPRIM_400000_NS6detail30init_device_scan_by_key_kernelINS1_19lookback_scan_stateINS0_5tupleIJlbEEELb1ELb0EEENS1_16block_id_wrapperIjLb0EEEEEvT_jjPNS9_10value_typeET0_,@function
_ZN7rocprim17ROCPRIM_400000_NS6detail30init_device_scan_by_key_kernelINS1_19lookback_scan_stateINS0_5tupleIJlbEEELb1ELb0EEENS1_16block_id_wrapperIjLb0EEEEEvT_jjPNS9_10value_typeET0_: ; @_ZN7rocprim17ROCPRIM_400000_NS6detail30init_device_scan_by_key_kernelINS1_19lookback_scan_stateINS0_5tupleIJlbEEELb1ELb0EEENS1_16block_id_wrapperIjLb0EEEEEvT_jjPNS9_10value_typeET0_
; %bb.0:
	s_load_dword s3, s[0:1], 0x3c
	s_load_dwordx2 s[8:9], s[0:1], 0x20
	s_load_dwordx4 s[4:7], s[0:1], 0x10
	s_waitcnt lgkmcnt(0)
	s_and_b32 s3, s3, 0xffff
	s_mul_i32 s2, s2, s3
	s_cmp_eq_u64 s[8:9], 0
	v_add_u32_e32 v0, s2, v0
	s_cbranch_scc1 .LBB115_11
; %bb.1:
	s_cmp_lt_u32 s7, s6
	s_cselect_b32 s2, s7, 0
	s_mov_b32 s13, 0
	v_cmp_eq_u32_e32 vcc, s2, v0
	s_and_saveexec_b64 s[10:11], vcc
	s_cbranch_execz .LBB115_10
; %bb.2:
	s_add_i32 s12, s7, 64
	v_mov_b32_e32 v1, s12
	global_load_ubyte v1, v1, s[4:5] sc1
	s_load_dwordx4 s[0:3], s[0:1], 0x0
	s_add_u32 s14, s4, s12
	s_addc_u32 s15, s5, 0
	s_waitcnt vmcnt(0)
	v_cmp_ne_u16_e32 vcc, 0, v1
	v_readfirstlane_b32 s7, v1
	s_cbranch_vccz .LBB115_4
; %bb.3:
	s_and_b32 s7, 0xffff, s7
	s_branch .LBB115_9
.LBB115_4:
	s_mov_b32 s7, 1
	v_mov_b32_e32 v1, 0
.LBB115_5:                              ; =>This Loop Header: Depth=1
                                        ;     Child Loop BB115_6 Depth 2
	s_max_u32 s16, s7, 1
.LBB115_6:                              ;   Parent Loop BB115_5 Depth=1
                                        ; =>  This Inner Loop Header: Depth=2
	s_add_i32 s16, s16, -1
	s_cmp_eq_u32 s16, 0
	s_sleep 1
	s_cbranch_scc0 .LBB115_6
; %bb.7:                                ;   in Loop: Header=BB115_5 Depth=1
	global_load_ubyte v2, v1, s[14:15] sc1
	s_cmp_lt_u32 s7, 32
	s_cselect_b64 s[16:17], -1, 0
	s_cmp_lg_u64 s[16:17], 0
	s_addc_u32 s7, s7, 0
	s_waitcnt vmcnt(0)
	v_cmp_ne_u16_e32 vcc, 0, v2
	v_readfirstlane_b32 s16, v2
	s_cbranch_vccz .LBB115_5
; %bb.8:
	s_and_b32 s7, 0xffff, s16
.LBB115_9:
	s_cmp_eq_u32 s7, 1
	s_waitcnt lgkmcnt(0)
	s_cselect_b32 s3, s1, s3
	s_cselect_b32 s2, s0, s2
	s_lshl_b64 s[0:1], s[12:13], 4
	s_add_u32 s0, s2, s0
	s_addc_u32 s1, s3, s1
	v_mov_b32_e32 v1, 0
	s_waitcnt vmcnt(0)
	global_load_dword v2, v1, s[0:1] sc1
	global_load_dword v3, v1, s[0:1] offset:4 sc1
	global_load_dword v4, v1, s[0:1] offset:8 sc1
	;; [unrolled: 1-line block ×3, first 2 shown]
	s_waitcnt vmcnt(2)
	global_store_dwordx2 v1, v[2:3], s[8:9]
	s_waitcnt vmcnt(2)
	global_store_byte v1, v4, s[8:9] offset:8
.LBB115_10:
	s_or_b64 exec, exec, s[10:11]
.LBB115_11:
	v_cmp_gt_u32_e32 vcc, s6, v0
	s_and_saveexec_b64 s[0:1], vcc
	s_cbranch_execnz .LBB115_14
; %bb.12:
	s_or_b64 exec, exec, s[0:1]
	v_cmp_gt_u32_e32 vcc, 64, v0
	s_and_saveexec_b64 s[0:1], vcc
	s_cbranch_execnz .LBB115_15
.LBB115_13:
	s_endpgm
.LBB115_14:
	v_add_u32_e32 v1, 64, v0
	v_mov_b32_e32 v2, 0
	global_store_byte v1, v2, s[4:5]
	s_or_b64 exec, exec, s[0:1]
	v_cmp_gt_u32_e32 vcc, 64, v0
	s_and_saveexec_b64 s[0:1], vcc
	s_cbranch_execz .LBB115_13
.LBB115_15:
	v_mov_b32_e32 v1, 0xff
	global_store_byte v0, v1, s[4:5]
	s_endpgm
	.section	.rodata,"a",@progbits
	.p2align	6, 0x0
	.amdhsa_kernel _ZN7rocprim17ROCPRIM_400000_NS6detail30init_device_scan_by_key_kernelINS1_19lookback_scan_stateINS0_5tupleIJlbEEELb1ELb0EEENS1_16block_id_wrapperIjLb0EEEEEvT_jjPNS9_10value_typeET0_
		.amdhsa_group_segment_fixed_size 0
		.amdhsa_private_segment_fixed_size 0
		.amdhsa_kernarg_size 304
		.amdhsa_user_sgpr_count 2
		.amdhsa_user_sgpr_dispatch_ptr 0
		.amdhsa_user_sgpr_queue_ptr 0
		.amdhsa_user_sgpr_kernarg_segment_ptr 1
		.amdhsa_user_sgpr_dispatch_id 0
		.amdhsa_user_sgpr_kernarg_preload_length 0
		.amdhsa_user_sgpr_kernarg_preload_offset 0
		.amdhsa_user_sgpr_private_segment_size 0
		.amdhsa_uses_dynamic_stack 0
		.amdhsa_enable_private_segment 0
		.amdhsa_system_sgpr_workgroup_id_x 1
		.amdhsa_system_sgpr_workgroup_id_y 0
		.amdhsa_system_sgpr_workgroup_id_z 0
		.amdhsa_system_sgpr_workgroup_info 0
		.amdhsa_system_vgpr_workitem_id 0
		.amdhsa_next_free_vgpr 6
		.amdhsa_next_free_sgpr 18
		.amdhsa_accum_offset 8
		.amdhsa_reserve_vcc 1
		.amdhsa_float_round_mode_32 0
		.amdhsa_float_round_mode_16_64 0
		.amdhsa_float_denorm_mode_32 3
		.amdhsa_float_denorm_mode_16_64 3
		.amdhsa_dx10_clamp 1
		.amdhsa_ieee_mode 1
		.amdhsa_fp16_overflow 0
		.amdhsa_tg_split 0
		.amdhsa_exception_fp_ieee_invalid_op 0
		.amdhsa_exception_fp_denorm_src 0
		.amdhsa_exception_fp_ieee_div_zero 0
		.amdhsa_exception_fp_ieee_overflow 0
		.amdhsa_exception_fp_ieee_underflow 0
		.amdhsa_exception_fp_ieee_inexact 0
		.amdhsa_exception_int_div_zero 0
	.end_amdhsa_kernel
	.section	.text._ZN7rocprim17ROCPRIM_400000_NS6detail30init_device_scan_by_key_kernelINS1_19lookback_scan_stateINS0_5tupleIJlbEEELb1ELb0EEENS1_16block_id_wrapperIjLb0EEEEEvT_jjPNS9_10value_typeET0_,"axG",@progbits,_ZN7rocprim17ROCPRIM_400000_NS6detail30init_device_scan_by_key_kernelINS1_19lookback_scan_stateINS0_5tupleIJlbEEELb1ELb0EEENS1_16block_id_wrapperIjLb0EEEEEvT_jjPNS9_10value_typeET0_,comdat
.Lfunc_end115:
	.size	_ZN7rocprim17ROCPRIM_400000_NS6detail30init_device_scan_by_key_kernelINS1_19lookback_scan_stateINS0_5tupleIJlbEEELb1ELb0EEENS1_16block_id_wrapperIjLb0EEEEEvT_jjPNS9_10value_typeET0_, .Lfunc_end115-_ZN7rocprim17ROCPRIM_400000_NS6detail30init_device_scan_by_key_kernelINS1_19lookback_scan_stateINS0_5tupleIJlbEEELb1ELb0EEENS1_16block_id_wrapperIjLb0EEEEEvT_jjPNS9_10value_typeET0_
                                        ; -- End function
	.section	.AMDGPU.csdata,"",@progbits
; Kernel info:
; codeLenInByte = 392
; NumSgprs: 24
; NumVgprs: 6
; NumAgprs: 0
; TotalNumVgprs: 6
; ScratchSize: 0
; MemoryBound: 0
; FloatMode: 240
; IeeeMode: 1
; LDSByteSize: 0 bytes/workgroup (compile time only)
; SGPRBlocks: 2
; VGPRBlocks: 0
; NumSGPRsForWavesPerEU: 24
; NumVGPRsForWavesPerEU: 6
; AccumOffset: 8
; Occupancy: 8
; WaveLimiterHint : 0
; COMPUTE_PGM_RSRC2:SCRATCH_EN: 0
; COMPUTE_PGM_RSRC2:USER_SGPR: 2
; COMPUTE_PGM_RSRC2:TRAP_HANDLER: 0
; COMPUTE_PGM_RSRC2:TGID_X_EN: 1
; COMPUTE_PGM_RSRC2:TGID_Y_EN: 0
; COMPUTE_PGM_RSRC2:TGID_Z_EN: 0
; COMPUTE_PGM_RSRC2:TIDIG_COMP_CNT: 0
; COMPUTE_PGM_RSRC3_GFX90A:ACCUM_OFFSET: 1
; COMPUTE_PGM_RSRC3_GFX90A:TG_SPLIT: 0
	.section	.text._ZN7rocprim17ROCPRIM_400000_NS6detail17trampoline_kernelINS0_14default_configENS1_27scan_by_key_config_selectorIllEEZZNS1_16scan_by_key_implILNS1_25lookback_scan_determinismE0ELb0ES3_PKlN6hipcub16HIPCUB_304000_NS21ConstantInputIteratorIllEEPllNSB_3SumENSB_8EqualityElEE10hipError_tPvRmT2_T3_T4_T5_mT6_T7_P12ihipStream_tbENKUlT_T0_E_clISt17integral_constantIbLb1EESW_IbLb0EEEEDaSS_ST_EUlSS_E_NS1_11comp_targetILNS1_3genE0ELNS1_11target_archE4294967295ELNS1_3gpuE0ELNS1_3repE0EEENS1_30default_config_static_selectorELNS0_4arch9wavefront6targetE1EEEvT1_,"axG",@progbits,_ZN7rocprim17ROCPRIM_400000_NS6detail17trampoline_kernelINS0_14default_configENS1_27scan_by_key_config_selectorIllEEZZNS1_16scan_by_key_implILNS1_25lookback_scan_determinismE0ELb0ES3_PKlN6hipcub16HIPCUB_304000_NS21ConstantInputIteratorIllEEPllNSB_3SumENSB_8EqualityElEE10hipError_tPvRmT2_T3_T4_T5_mT6_T7_P12ihipStream_tbENKUlT_T0_E_clISt17integral_constantIbLb1EESW_IbLb0EEEEDaSS_ST_EUlSS_E_NS1_11comp_targetILNS1_3genE0ELNS1_11target_archE4294967295ELNS1_3gpuE0ELNS1_3repE0EEENS1_30default_config_static_selectorELNS0_4arch9wavefront6targetE1EEEvT1_,comdat
	.protected	_ZN7rocprim17ROCPRIM_400000_NS6detail17trampoline_kernelINS0_14default_configENS1_27scan_by_key_config_selectorIllEEZZNS1_16scan_by_key_implILNS1_25lookback_scan_determinismE0ELb0ES3_PKlN6hipcub16HIPCUB_304000_NS21ConstantInputIteratorIllEEPllNSB_3SumENSB_8EqualityElEE10hipError_tPvRmT2_T3_T4_T5_mT6_T7_P12ihipStream_tbENKUlT_T0_E_clISt17integral_constantIbLb1EESW_IbLb0EEEEDaSS_ST_EUlSS_E_NS1_11comp_targetILNS1_3genE0ELNS1_11target_archE4294967295ELNS1_3gpuE0ELNS1_3repE0EEENS1_30default_config_static_selectorELNS0_4arch9wavefront6targetE1EEEvT1_ ; -- Begin function _ZN7rocprim17ROCPRIM_400000_NS6detail17trampoline_kernelINS0_14default_configENS1_27scan_by_key_config_selectorIllEEZZNS1_16scan_by_key_implILNS1_25lookback_scan_determinismE0ELb0ES3_PKlN6hipcub16HIPCUB_304000_NS21ConstantInputIteratorIllEEPllNSB_3SumENSB_8EqualityElEE10hipError_tPvRmT2_T3_T4_T5_mT6_T7_P12ihipStream_tbENKUlT_T0_E_clISt17integral_constantIbLb1EESW_IbLb0EEEEDaSS_ST_EUlSS_E_NS1_11comp_targetILNS1_3genE0ELNS1_11target_archE4294967295ELNS1_3gpuE0ELNS1_3repE0EEENS1_30default_config_static_selectorELNS0_4arch9wavefront6targetE1EEEvT1_
	.globl	_ZN7rocprim17ROCPRIM_400000_NS6detail17trampoline_kernelINS0_14default_configENS1_27scan_by_key_config_selectorIllEEZZNS1_16scan_by_key_implILNS1_25lookback_scan_determinismE0ELb0ES3_PKlN6hipcub16HIPCUB_304000_NS21ConstantInputIteratorIllEEPllNSB_3SumENSB_8EqualityElEE10hipError_tPvRmT2_T3_T4_T5_mT6_T7_P12ihipStream_tbENKUlT_T0_E_clISt17integral_constantIbLb1EESW_IbLb0EEEEDaSS_ST_EUlSS_E_NS1_11comp_targetILNS1_3genE0ELNS1_11target_archE4294967295ELNS1_3gpuE0ELNS1_3repE0EEENS1_30default_config_static_selectorELNS0_4arch9wavefront6targetE1EEEvT1_
	.p2align	8
	.type	_ZN7rocprim17ROCPRIM_400000_NS6detail17trampoline_kernelINS0_14default_configENS1_27scan_by_key_config_selectorIllEEZZNS1_16scan_by_key_implILNS1_25lookback_scan_determinismE0ELb0ES3_PKlN6hipcub16HIPCUB_304000_NS21ConstantInputIteratorIllEEPllNSB_3SumENSB_8EqualityElEE10hipError_tPvRmT2_T3_T4_T5_mT6_T7_P12ihipStream_tbENKUlT_T0_E_clISt17integral_constantIbLb1EESW_IbLb0EEEEDaSS_ST_EUlSS_E_NS1_11comp_targetILNS1_3genE0ELNS1_11target_archE4294967295ELNS1_3gpuE0ELNS1_3repE0EEENS1_30default_config_static_selectorELNS0_4arch9wavefront6targetE1EEEvT1_,@function
_ZN7rocprim17ROCPRIM_400000_NS6detail17trampoline_kernelINS0_14default_configENS1_27scan_by_key_config_selectorIllEEZZNS1_16scan_by_key_implILNS1_25lookback_scan_determinismE0ELb0ES3_PKlN6hipcub16HIPCUB_304000_NS21ConstantInputIteratorIllEEPllNSB_3SumENSB_8EqualityElEE10hipError_tPvRmT2_T3_T4_T5_mT6_T7_P12ihipStream_tbENKUlT_T0_E_clISt17integral_constantIbLb1EESW_IbLb0EEEEDaSS_ST_EUlSS_E_NS1_11comp_targetILNS1_3genE0ELNS1_11target_archE4294967295ELNS1_3gpuE0ELNS1_3repE0EEENS1_30default_config_static_selectorELNS0_4arch9wavefront6targetE1EEEvT1_: ; @_ZN7rocprim17ROCPRIM_400000_NS6detail17trampoline_kernelINS0_14default_configENS1_27scan_by_key_config_selectorIllEEZZNS1_16scan_by_key_implILNS1_25lookback_scan_determinismE0ELb0ES3_PKlN6hipcub16HIPCUB_304000_NS21ConstantInputIteratorIllEEPllNSB_3SumENSB_8EqualityElEE10hipError_tPvRmT2_T3_T4_T5_mT6_T7_P12ihipStream_tbENKUlT_T0_E_clISt17integral_constantIbLb1EESW_IbLb0EEEEDaSS_ST_EUlSS_E_NS1_11comp_targetILNS1_3genE0ELNS1_11target_archE4294967295ELNS1_3gpuE0ELNS1_3repE0EEENS1_30default_config_static_selectorELNS0_4arch9wavefront6targetE1EEEvT1_
; %bb.0:
	.section	.rodata,"a",@progbits
	.p2align	6, 0x0
	.amdhsa_kernel _ZN7rocprim17ROCPRIM_400000_NS6detail17trampoline_kernelINS0_14default_configENS1_27scan_by_key_config_selectorIllEEZZNS1_16scan_by_key_implILNS1_25lookback_scan_determinismE0ELb0ES3_PKlN6hipcub16HIPCUB_304000_NS21ConstantInputIteratorIllEEPllNSB_3SumENSB_8EqualityElEE10hipError_tPvRmT2_T3_T4_T5_mT6_T7_P12ihipStream_tbENKUlT_T0_E_clISt17integral_constantIbLb1EESW_IbLb0EEEEDaSS_ST_EUlSS_E_NS1_11comp_targetILNS1_3genE0ELNS1_11target_archE4294967295ELNS1_3gpuE0ELNS1_3repE0EEENS1_30default_config_static_selectorELNS0_4arch9wavefront6targetE1EEEvT1_
		.amdhsa_group_segment_fixed_size 0
		.amdhsa_private_segment_fixed_size 0
		.amdhsa_kernarg_size 144
		.amdhsa_user_sgpr_count 2
		.amdhsa_user_sgpr_dispatch_ptr 0
		.amdhsa_user_sgpr_queue_ptr 0
		.amdhsa_user_sgpr_kernarg_segment_ptr 1
		.amdhsa_user_sgpr_dispatch_id 0
		.amdhsa_user_sgpr_kernarg_preload_length 0
		.amdhsa_user_sgpr_kernarg_preload_offset 0
		.amdhsa_user_sgpr_private_segment_size 0
		.amdhsa_uses_dynamic_stack 0
		.amdhsa_enable_private_segment 0
		.amdhsa_system_sgpr_workgroup_id_x 1
		.amdhsa_system_sgpr_workgroup_id_y 0
		.amdhsa_system_sgpr_workgroup_id_z 0
		.amdhsa_system_sgpr_workgroup_info 0
		.amdhsa_system_vgpr_workitem_id 0
		.amdhsa_next_free_vgpr 1
		.amdhsa_next_free_sgpr 0
		.amdhsa_accum_offset 4
		.amdhsa_reserve_vcc 0
		.amdhsa_float_round_mode_32 0
		.amdhsa_float_round_mode_16_64 0
		.amdhsa_float_denorm_mode_32 3
		.amdhsa_float_denorm_mode_16_64 3
		.amdhsa_dx10_clamp 1
		.amdhsa_ieee_mode 1
		.amdhsa_fp16_overflow 0
		.amdhsa_tg_split 0
		.amdhsa_exception_fp_ieee_invalid_op 0
		.amdhsa_exception_fp_denorm_src 0
		.amdhsa_exception_fp_ieee_div_zero 0
		.amdhsa_exception_fp_ieee_overflow 0
		.amdhsa_exception_fp_ieee_underflow 0
		.amdhsa_exception_fp_ieee_inexact 0
		.amdhsa_exception_int_div_zero 0
	.end_amdhsa_kernel
	.section	.text._ZN7rocprim17ROCPRIM_400000_NS6detail17trampoline_kernelINS0_14default_configENS1_27scan_by_key_config_selectorIllEEZZNS1_16scan_by_key_implILNS1_25lookback_scan_determinismE0ELb0ES3_PKlN6hipcub16HIPCUB_304000_NS21ConstantInputIteratorIllEEPllNSB_3SumENSB_8EqualityElEE10hipError_tPvRmT2_T3_T4_T5_mT6_T7_P12ihipStream_tbENKUlT_T0_E_clISt17integral_constantIbLb1EESW_IbLb0EEEEDaSS_ST_EUlSS_E_NS1_11comp_targetILNS1_3genE0ELNS1_11target_archE4294967295ELNS1_3gpuE0ELNS1_3repE0EEENS1_30default_config_static_selectorELNS0_4arch9wavefront6targetE1EEEvT1_,"axG",@progbits,_ZN7rocprim17ROCPRIM_400000_NS6detail17trampoline_kernelINS0_14default_configENS1_27scan_by_key_config_selectorIllEEZZNS1_16scan_by_key_implILNS1_25lookback_scan_determinismE0ELb0ES3_PKlN6hipcub16HIPCUB_304000_NS21ConstantInputIteratorIllEEPllNSB_3SumENSB_8EqualityElEE10hipError_tPvRmT2_T3_T4_T5_mT6_T7_P12ihipStream_tbENKUlT_T0_E_clISt17integral_constantIbLb1EESW_IbLb0EEEEDaSS_ST_EUlSS_E_NS1_11comp_targetILNS1_3genE0ELNS1_11target_archE4294967295ELNS1_3gpuE0ELNS1_3repE0EEENS1_30default_config_static_selectorELNS0_4arch9wavefront6targetE1EEEvT1_,comdat
.Lfunc_end116:
	.size	_ZN7rocprim17ROCPRIM_400000_NS6detail17trampoline_kernelINS0_14default_configENS1_27scan_by_key_config_selectorIllEEZZNS1_16scan_by_key_implILNS1_25lookback_scan_determinismE0ELb0ES3_PKlN6hipcub16HIPCUB_304000_NS21ConstantInputIteratorIllEEPllNSB_3SumENSB_8EqualityElEE10hipError_tPvRmT2_T3_T4_T5_mT6_T7_P12ihipStream_tbENKUlT_T0_E_clISt17integral_constantIbLb1EESW_IbLb0EEEEDaSS_ST_EUlSS_E_NS1_11comp_targetILNS1_3genE0ELNS1_11target_archE4294967295ELNS1_3gpuE0ELNS1_3repE0EEENS1_30default_config_static_selectorELNS0_4arch9wavefront6targetE1EEEvT1_, .Lfunc_end116-_ZN7rocprim17ROCPRIM_400000_NS6detail17trampoline_kernelINS0_14default_configENS1_27scan_by_key_config_selectorIllEEZZNS1_16scan_by_key_implILNS1_25lookback_scan_determinismE0ELb0ES3_PKlN6hipcub16HIPCUB_304000_NS21ConstantInputIteratorIllEEPllNSB_3SumENSB_8EqualityElEE10hipError_tPvRmT2_T3_T4_T5_mT6_T7_P12ihipStream_tbENKUlT_T0_E_clISt17integral_constantIbLb1EESW_IbLb0EEEEDaSS_ST_EUlSS_E_NS1_11comp_targetILNS1_3genE0ELNS1_11target_archE4294967295ELNS1_3gpuE0ELNS1_3repE0EEENS1_30default_config_static_selectorELNS0_4arch9wavefront6targetE1EEEvT1_
                                        ; -- End function
	.section	.AMDGPU.csdata,"",@progbits
; Kernel info:
; codeLenInByte = 0
; NumSgprs: 6
; NumVgprs: 0
; NumAgprs: 0
; TotalNumVgprs: 0
; ScratchSize: 0
; MemoryBound: 0
; FloatMode: 240
; IeeeMode: 1
; LDSByteSize: 0 bytes/workgroup (compile time only)
; SGPRBlocks: 0
; VGPRBlocks: 0
; NumSGPRsForWavesPerEU: 6
; NumVGPRsForWavesPerEU: 1
; AccumOffset: 4
; Occupancy: 8
; WaveLimiterHint : 0
; COMPUTE_PGM_RSRC2:SCRATCH_EN: 0
; COMPUTE_PGM_RSRC2:USER_SGPR: 2
; COMPUTE_PGM_RSRC2:TRAP_HANDLER: 0
; COMPUTE_PGM_RSRC2:TGID_X_EN: 1
; COMPUTE_PGM_RSRC2:TGID_Y_EN: 0
; COMPUTE_PGM_RSRC2:TGID_Z_EN: 0
; COMPUTE_PGM_RSRC2:TIDIG_COMP_CNT: 0
; COMPUTE_PGM_RSRC3_GFX90A:ACCUM_OFFSET: 0
; COMPUTE_PGM_RSRC3_GFX90A:TG_SPLIT: 0
	.section	.text._ZN7rocprim17ROCPRIM_400000_NS6detail17trampoline_kernelINS0_14default_configENS1_27scan_by_key_config_selectorIllEEZZNS1_16scan_by_key_implILNS1_25lookback_scan_determinismE0ELb0ES3_PKlN6hipcub16HIPCUB_304000_NS21ConstantInputIteratorIllEEPllNSB_3SumENSB_8EqualityElEE10hipError_tPvRmT2_T3_T4_T5_mT6_T7_P12ihipStream_tbENKUlT_T0_E_clISt17integral_constantIbLb1EESW_IbLb0EEEEDaSS_ST_EUlSS_E_NS1_11comp_targetILNS1_3genE10ELNS1_11target_archE1201ELNS1_3gpuE5ELNS1_3repE0EEENS1_30default_config_static_selectorELNS0_4arch9wavefront6targetE1EEEvT1_,"axG",@progbits,_ZN7rocprim17ROCPRIM_400000_NS6detail17trampoline_kernelINS0_14default_configENS1_27scan_by_key_config_selectorIllEEZZNS1_16scan_by_key_implILNS1_25lookback_scan_determinismE0ELb0ES3_PKlN6hipcub16HIPCUB_304000_NS21ConstantInputIteratorIllEEPllNSB_3SumENSB_8EqualityElEE10hipError_tPvRmT2_T3_T4_T5_mT6_T7_P12ihipStream_tbENKUlT_T0_E_clISt17integral_constantIbLb1EESW_IbLb0EEEEDaSS_ST_EUlSS_E_NS1_11comp_targetILNS1_3genE10ELNS1_11target_archE1201ELNS1_3gpuE5ELNS1_3repE0EEENS1_30default_config_static_selectorELNS0_4arch9wavefront6targetE1EEEvT1_,comdat
	.protected	_ZN7rocprim17ROCPRIM_400000_NS6detail17trampoline_kernelINS0_14default_configENS1_27scan_by_key_config_selectorIllEEZZNS1_16scan_by_key_implILNS1_25lookback_scan_determinismE0ELb0ES3_PKlN6hipcub16HIPCUB_304000_NS21ConstantInputIteratorIllEEPllNSB_3SumENSB_8EqualityElEE10hipError_tPvRmT2_T3_T4_T5_mT6_T7_P12ihipStream_tbENKUlT_T0_E_clISt17integral_constantIbLb1EESW_IbLb0EEEEDaSS_ST_EUlSS_E_NS1_11comp_targetILNS1_3genE10ELNS1_11target_archE1201ELNS1_3gpuE5ELNS1_3repE0EEENS1_30default_config_static_selectorELNS0_4arch9wavefront6targetE1EEEvT1_ ; -- Begin function _ZN7rocprim17ROCPRIM_400000_NS6detail17trampoline_kernelINS0_14default_configENS1_27scan_by_key_config_selectorIllEEZZNS1_16scan_by_key_implILNS1_25lookback_scan_determinismE0ELb0ES3_PKlN6hipcub16HIPCUB_304000_NS21ConstantInputIteratorIllEEPllNSB_3SumENSB_8EqualityElEE10hipError_tPvRmT2_T3_T4_T5_mT6_T7_P12ihipStream_tbENKUlT_T0_E_clISt17integral_constantIbLb1EESW_IbLb0EEEEDaSS_ST_EUlSS_E_NS1_11comp_targetILNS1_3genE10ELNS1_11target_archE1201ELNS1_3gpuE5ELNS1_3repE0EEENS1_30default_config_static_selectorELNS0_4arch9wavefront6targetE1EEEvT1_
	.globl	_ZN7rocprim17ROCPRIM_400000_NS6detail17trampoline_kernelINS0_14default_configENS1_27scan_by_key_config_selectorIllEEZZNS1_16scan_by_key_implILNS1_25lookback_scan_determinismE0ELb0ES3_PKlN6hipcub16HIPCUB_304000_NS21ConstantInputIteratorIllEEPllNSB_3SumENSB_8EqualityElEE10hipError_tPvRmT2_T3_T4_T5_mT6_T7_P12ihipStream_tbENKUlT_T0_E_clISt17integral_constantIbLb1EESW_IbLb0EEEEDaSS_ST_EUlSS_E_NS1_11comp_targetILNS1_3genE10ELNS1_11target_archE1201ELNS1_3gpuE5ELNS1_3repE0EEENS1_30default_config_static_selectorELNS0_4arch9wavefront6targetE1EEEvT1_
	.p2align	8
	.type	_ZN7rocprim17ROCPRIM_400000_NS6detail17trampoline_kernelINS0_14default_configENS1_27scan_by_key_config_selectorIllEEZZNS1_16scan_by_key_implILNS1_25lookback_scan_determinismE0ELb0ES3_PKlN6hipcub16HIPCUB_304000_NS21ConstantInputIteratorIllEEPllNSB_3SumENSB_8EqualityElEE10hipError_tPvRmT2_T3_T4_T5_mT6_T7_P12ihipStream_tbENKUlT_T0_E_clISt17integral_constantIbLb1EESW_IbLb0EEEEDaSS_ST_EUlSS_E_NS1_11comp_targetILNS1_3genE10ELNS1_11target_archE1201ELNS1_3gpuE5ELNS1_3repE0EEENS1_30default_config_static_selectorELNS0_4arch9wavefront6targetE1EEEvT1_,@function
_ZN7rocprim17ROCPRIM_400000_NS6detail17trampoline_kernelINS0_14default_configENS1_27scan_by_key_config_selectorIllEEZZNS1_16scan_by_key_implILNS1_25lookback_scan_determinismE0ELb0ES3_PKlN6hipcub16HIPCUB_304000_NS21ConstantInputIteratorIllEEPllNSB_3SumENSB_8EqualityElEE10hipError_tPvRmT2_T3_T4_T5_mT6_T7_P12ihipStream_tbENKUlT_T0_E_clISt17integral_constantIbLb1EESW_IbLb0EEEEDaSS_ST_EUlSS_E_NS1_11comp_targetILNS1_3genE10ELNS1_11target_archE1201ELNS1_3gpuE5ELNS1_3repE0EEENS1_30default_config_static_selectorELNS0_4arch9wavefront6targetE1EEEvT1_: ; @_ZN7rocprim17ROCPRIM_400000_NS6detail17trampoline_kernelINS0_14default_configENS1_27scan_by_key_config_selectorIllEEZZNS1_16scan_by_key_implILNS1_25lookback_scan_determinismE0ELb0ES3_PKlN6hipcub16HIPCUB_304000_NS21ConstantInputIteratorIllEEPllNSB_3SumENSB_8EqualityElEE10hipError_tPvRmT2_T3_T4_T5_mT6_T7_P12ihipStream_tbENKUlT_T0_E_clISt17integral_constantIbLb1EESW_IbLb0EEEEDaSS_ST_EUlSS_E_NS1_11comp_targetILNS1_3genE10ELNS1_11target_archE1201ELNS1_3gpuE5ELNS1_3repE0EEENS1_30default_config_static_selectorELNS0_4arch9wavefront6targetE1EEEvT1_
; %bb.0:
	.section	.rodata,"a",@progbits
	.p2align	6, 0x0
	.amdhsa_kernel _ZN7rocprim17ROCPRIM_400000_NS6detail17trampoline_kernelINS0_14default_configENS1_27scan_by_key_config_selectorIllEEZZNS1_16scan_by_key_implILNS1_25lookback_scan_determinismE0ELb0ES3_PKlN6hipcub16HIPCUB_304000_NS21ConstantInputIteratorIllEEPllNSB_3SumENSB_8EqualityElEE10hipError_tPvRmT2_T3_T4_T5_mT6_T7_P12ihipStream_tbENKUlT_T0_E_clISt17integral_constantIbLb1EESW_IbLb0EEEEDaSS_ST_EUlSS_E_NS1_11comp_targetILNS1_3genE10ELNS1_11target_archE1201ELNS1_3gpuE5ELNS1_3repE0EEENS1_30default_config_static_selectorELNS0_4arch9wavefront6targetE1EEEvT1_
		.amdhsa_group_segment_fixed_size 0
		.amdhsa_private_segment_fixed_size 0
		.amdhsa_kernarg_size 144
		.amdhsa_user_sgpr_count 2
		.amdhsa_user_sgpr_dispatch_ptr 0
		.amdhsa_user_sgpr_queue_ptr 0
		.amdhsa_user_sgpr_kernarg_segment_ptr 1
		.amdhsa_user_sgpr_dispatch_id 0
		.amdhsa_user_sgpr_kernarg_preload_length 0
		.amdhsa_user_sgpr_kernarg_preload_offset 0
		.amdhsa_user_sgpr_private_segment_size 0
		.amdhsa_uses_dynamic_stack 0
		.amdhsa_enable_private_segment 0
		.amdhsa_system_sgpr_workgroup_id_x 1
		.amdhsa_system_sgpr_workgroup_id_y 0
		.amdhsa_system_sgpr_workgroup_id_z 0
		.amdhsa_system_sgpr_workgroup_info 0
		.amdhsa_system_vgpr_workitem_id 0
		.amdhsa_next_free_vgpr 1
		.amdhsa_next_free_sgpr 0
		.amdhsa_accum_offset 4
		.amdhsa_reserve_vcc 0
		.amdhsa_float_round_mode_32 0
		.amdhsa_float_round_mode_16_64 0
		.amdhsa_float_denorm_mode_32 3
		.amdhsa_float_denorm_mode_16_64 3
		.amdhsa_dx10_clamp 1
		.amdhsa_ieee_mode 1
		.amdhsa_fp16_overflow 0
		.amdhsa_tg_split 0
		.amdhsa_exception_fp_ieee_invalid_op 0
		.amdhsa_exception_fp_denorm_src 0
		.amdhsa_exception_fp_ieee_div_zero 0
		.amdhsa_exception_fp_ieee_overflow 0
		.amdhsa_exception_fp_ieee_underflow 0
		.amdhsa_exception_fp_ieee_inexact 0
		.amdhsa_exception_int_div_zero 0
	.end_amdhsa_kernel
	.section	.text._ZN7rocprim17ROCPRIM_400000_NS6detail17trampoline_kernelINS0_14default_configENS1_27scan_by_key_config_selectorIllEEZZNS1_16scan_by_key_implILNS1_25lookback_scan_determinismE0ELb0ES3_PKlN6hipcub16HIPCUB_304000_NS21ConstantInputIteratorIllEEPllNSB_3SumENSB_8EqualityElEE10hipError_tPvRmT2_T3_T4_T5_mT6_T7_P12ihipStream_tbENKUlT_T0_E_clISt17integral_constantIbLb1EESW_IbLb0EEEEDaSS_ST_EUlSS_E_NS1_11comp_targetILNS1_3genE10ELNS1_11target_archE1201ELNS1_3gpuE5ELNS1_3repE0EEENS1_30default_config_static_selectorELNS0_4arch9wavefront6targetE1EEEvT1_,"axG",@progbits,_ZN7rocprim17ROCPRIM_400000_NS6detail17trampoline_kernelINS0_14default_configENS1_27scan_by_key_config_selectorIllEEZZNS1_16scan_by_key_implILNS1_25lookback_scan_determinismE0ELb0ES3_PKlN6hipcub16HIPCUB_304000_NS21ConstantInputIteratorIllEEPllNSB_3SumENSB_8EqualityElEE10hipError_tPvRmT2_T3_T4_T5_mT6_T7_P12ihipStream_tbENKUlT_T0_E_clISt17integral_constantIbLb1EESW_IbLb0EEEEDaSS_ST_EUlSS_E_NS1_11comp_targetILNS1_3genE10ELNS1_11target_archE1201ELNS1_3gpuE5ELNS1_3repE0EEENS1_30default_config_static_selectorELNS0_4arch9wavefront6targetE1EEEvT1_,comdat
.Lfunc_end117:
	.size	_ZN7rocprim17ROCPRIM_400000_NS6detail17trampoline_kernelINS0_14default_configENS1_27scan_by_key_config_selectorIllEEZZNS1_16scan_by_key_implILNS1_25lookback_scan_determinismE0ELb0ES3_PKlN6hipcub16HIPCUB_304000_NS21ConstantInputIteratorIllEEPllNSB_3SumENSB_8EqualityElEE10hipError_tPvRmT2_T3_T4_T5_mT6_T7_P12ihipStream_tbENKUlT_T0_E_clISt17integral_constantIbLb1EESW_IbLb0EEEEDaSS_ST_EUlSS_E_NS1_11comp_targetILNS1_3genE10ELNS1_11target_archE1201ELNS1_3gpuE5ELNS1_3repE0EEENS1_30default_config_static_selectorELNS0_4arch9wavefront6targetE1EEEvT1_, .Lfunc_end117-_ZN7rocprim17ROCPRIM_400000_NS6detail17trampoline_kernelINS0_14default_configENS1_27scan_by_key_config_selectorIllEEZZNS1_16scan_by_key_implILNS1_25lookback_scan_determinismE0ELb0ES3_PKlN6hipcub16HIPCUB_304000_NS21ConstantInputIteratorIllEEPllNSB_3SumENSB_8EqualityElEE10hipError_tPvRmT2_T3_T4_T5_mT6_T7_P12ihipStream_tbENKUlT_T0_E_clISt17integral_constantIbLb1EESW_IbLb0EEEEDaSS_ST_EUlSS_E_NS1_11comp_targetILNS1_3genE10ELNS1_11target_archE1201ELNS1_3gpuE5ELNS1_3repE0EEENS1_30default_config_static_selectorELNS0_4arch9wavefront6targetE1EEEvT1_
                                        ; -- End function
	.section	.AMDGPU.csdata,"",@progbits
; Kernel info:
; codeLenInByte = 0
; NumSgprs: 6
; NumVgprs: 0
; NumAgprs: 0
; TotalNumVgprs: 0
; ScratchSize: 0
; MemoryBound: 0
; FloatMode: 240
; IeeeMode: 1
; LDSByteSize: 0 bytes/workgroup (compile time only)
; SGPRBlocks: 0
; VGPRBlocks: 0
; NumSGPRsForWavesPerEU: 6
; NumVGPRsForWavesPerEU: 1
; AccumOffset: 4
; Occupancy: 8
; WaveLimiterHint : 0
; COMPUTE_PGM_RSRC2:SCRATCH_EN: 0
; COMPUTE_PGM_RSRC2:USER_SGPR: 2
; COMPUTE_PGM_RSRC2:TRAP_HANDLER: 0
; COMPUTE_PGM_RSRC2:TGID_X_EN: 1
; COMPUTE_PGM_RSRC2:TGID_Y_EN: 0
; COMPUTE_PGM_RSRC2:TGID_Z_EN: 0
; COMPUTE_PGM_RSRC2:TIDIG_COMP_CNT: 0
; COMPUTE_PGM_RSRC3_GFX90A:ACCUM_OFFSET: 0
; COMPUTE_PGM_RSRC3_GFX90A:TG_SPLIT: 0
	.section	.text._ZN7rocprim17ROCPRIM_400000_NS6detail17trampoline_kernelINS0_14default_configENS1_27scan_by_key_config_selectorIllEEZZNS1_16scan_by_key_implILNS1_25lookback_scan_determinismE0ELb0ES3_PKlN6hipcub16HIPCUB_304000_NS21ConstantInputIteratorIllEEPllNSB_3SumENSB_8EqualityElEE10hipError_tPvRmT2_T3_T4_T5_mT6_T7_P12ihipStream_tbENKUlT_T0_E_clISt17integral_constantIbLb1EESW_IbLb0EEEEDaSS_ST_EUlSS_E_NS1_11comp_targetILNS1_3genE5ELNS1_11target_archE942ELNS1_3gpuE9ELNS1_3repE0EEENS1_30default_config_static_selectorELNS0_4arch9wavefront6targetE1EEEvT1_,"axG",@progbits,_ZN7rocprim17ROCPRIM_400000_NS6detail17trampoline_kernelINS0_14default_configENS1_27scan_by_key_config_selectorIllEEZZNS1_16scan_by_key_implILNS1_25lookback_scan_determinismE0ELb0ES3_PKlN6hipcub16HIPCUB_304000_NS21ConstantInputIteratorIllEEPllNSB_3SumENSB_8EqualityElEE10hipError_tPvRmT2_T3_T4_T5_mT6_T7_P12ihipStream_tbENKUlT_T0_E_clISt17integral_constantIbLb1EESW_IbLb0EEEEDaSS_ST_EUlSS_E_NS1_11comp_targetILNS1_3genE5ELNS1_11target_archE942ELNS1_3gpuE9ELNS1_3repE0EEENS1_30default_config_static_selectorELNS0_4arch9wavefront6targetE1EEEvT1_,comdat
	.protected	_ZN7rocprim17ROCPRIM_400000_NS6detail17trampoline_kernelINS0_14default_configENS1_27scan_by_key_config_selectorIllEEZZNS1_16scan_by_key_implILNS1_25lookback_scan_determinismE0ELb0ES3_PKlN6hipcub16HIPCUB_304000_NS21ConstantInputIteratorIllEEPllNSB_3SumENSB_8EqualityElEE10hipError_tPvRmT2_T3_T4_T5_mT6_T7_P12ihipStream_tbENKUlT_T0_E_clISt17integral_constantIbLb1EESW_IbLb0EEEEDaSS_ST_EUlSS_E_NS1_11comp_targetILNS1_3genE5ELNS1_11target_archE942ELNS1_3gpuE9ELNS1_3repE0EEENS1_30default_config_static_selectorELNS0_4arch9wavefront6targetE1EEEvT1_ ; -- Begin function _ZN7rocprim17ROCPRIM_400000_NS6detail17trampoline_kernelINS0_14default_configENS1_27scan_by_key_config_selectorIllEEZZNS1_16scan_by_key_implILNS1_25lookback_scan_determinismE0ELb0ES3_PKlN6hipcub16HIPCUB_304000_NS21ConstantInputIteratorIllEEPllNSB_3SumENSB_8EqualityElEE10hipError_tPvRmT2_T3_T4_T5_mT6_T7_P12ihipStream_tbENKUlT_T0_E_clISt17integral_constantIbLb1EESW_IbLb0EEEEDaSS_ST_EUlSS_E_NS1_11comp_targetILNS1_3genE5ELNS1_11target_archE942ELNS1_3gpuE9ELNS1_3repE0EEENS1_30default_config_static_selectorELNS0_4arch9wavefront6targetE1EEEvT1_
	.globl	_ZN7rocprim17ROCPRIM_400000_NS6detail17trampoline_kernelINS0_14default_configENS1_27scan_by_key_config_selectorIllEEZZNS1_16scan_by_key_implILNS1_25lookback_scan_determinismE0ELb0ES3_PKlN6hipcub16HIPCUB_304000_NS21ConstantInputIteratorIllEEPllNSB_3SumENSB_8EqualityElEE10hipError_tPvRmT2_T3_T4_T5_mT6_T7_P12ihipStream_tbENKUlT_T0_E_clISt17integral_constantIbLb1EESW_IbLb0EEEEDaSS_ST_EUlSS_E_NS1_11comp_targetILNS1_3genE5ELNS1_11target_archE942ELNS1_3gpuE9ELNS1_3repE0EEENS1_30default_config_static_selectorELNS0_4arch9wavefront6targetE1EEEvT1_
	.p2align	8
	.type	_ZN7rocprim17ROCPRIM_400000_NS6detail17trampoline_kernelINS0_14default_configENS1_27scan_by_key_config_selectorIllEEZZNS1_16scan_by_key_implILNS1_25lookback_scan_determinismE0ELb0ES3_PKlN6hipcub16HIPCUB_304000_NS21ConstantInputIteratorIllEEPllNSB_3SumENSB_8EqualityElEE10hipError_tPvRmT2_T3_T4_T5_mT6_T7_P12ihipStream_tbENKUlT_T0_E_clISt17integral_constantIbLb1EESW_IbLb0EEEEDaSS_ST_EUlSS_E_NS1_11comp_targetILNS1_3genE5ELNS1_11target_archE942ELNS1_3gpuE9ELNS1_3repE0EEENS1_30default_config_static_selectorELNS0_4arch9wavefront6targetE1EEEvT1_,@function
_ZN7rocprim17ROCPRIM_400000_NS6detail17trampoline_kernelINS0_14default_configENS1_27scan_by_key_config_selectorIllEEZZNS1_16scan_by_key_implILNS1_25lookback_scan_determinismE0ELb0ES3_PKlN6hipcub16HIPCUB_304000_NS21ConstantInputIteratorIllEEPllNSB_3SumENSB_8EqualityElEE10hipError_tPvRmT2_T3_T4_T5_mT6_T7_P12ihipStream_tbENKUlT_T0_E_clISt17integral_constantIbLb1EESW_IbLb0EEEEDaSS_ST_EUlSS_E_NS1_11comp_targetILNS1_3genE5ELNS1_11target_archE942ELNS1_3gpuE9ELNS1_3repE0EEENS1_30default_config_static_selectorELNS0_4arch9wavefront6targetE1EEEvT1_: ; @_ZN7rocprim17ROCPRIM_400000_NS6detail17trampoline_kernelINS0_14default_configENS1_27scan_by_key_config_selectorIllEEZZNS1_16scan_by_key_implILNS1_25lookback_scan_determinismE0ELb0ES3_PKlN6hipcub16HIPCUB_304000_NS21ConstantInputIteratorIllEEPllNSB_3SumENSB_8EqualityElEE10hipError_tPvRmT2_T3_T4_T5_mT6_T7_P12ihipStream_tbENKUlT_T0_E_clISt17integral_constantIbLb1EESW_IbLb0EEEEDaSS_ST_EUlSS_E_NS1_11comp_targetILNS1_3genE5ELNS1_11target_archE942ELNS1_3gpuE9ELNS1_3repE0EEENS1_30default_config_static_selectorELNS0_4arch9wavefront6targetE1EEEvT1_
; %bb.0:
	s_load_dwordx2 s[56:57], s[0:1], 0x58
	s_load_dword s3, s[0:1], 0x60
	s_load_dwordx4 s[8:11], s[0:1], 0x0
	s_load_dwordx2 s[6:7], s[0:1], 0x10
	s_load_dwordx8 s[40:47], s[0:1], 0x38
	s_load_dwordx8 s[48:55], s[0:1], 0x68
	s_waitcnt lgkmcnt(0)
	s_mul_i32 s4, s57, s3
	s_mul_hi_u32 s5, s56, s3
	s_add_i32 s13, s5, s4
	s_lshl_b64 s[38:39], s[10:11], 3
	s_add_u32 s8, s8, s38
	s_addc_u32 s9, s9, s39
	s_cmp_lg_u64 s[52:53], 0
	s_mul_i32 s4, s2, 0xe00
	s_mov_b32 s5, 0
	s_cselect_b64 s[10:11], -1, 0
	s_lshl_b64 s[52:53], s[4:5], 3
	s_add_u32 s8, s8, s52
	s_mul_i32 s3, s56, s3
	s_addc_u32 s9, s9, s53
	s_add_u32 s12, s3, s2
	s_addc_u32 s13, s13, 0
	s_add_u32 s4, s48, -1
	s_addc_u32 s5, s49, -1
	v_mov_b64_e32 v[2:3], s[4:5]
	v_cmp_ge_u64_e64 s[34:35], s[12:13], v[2:3]
	s_mov_b64 s[18:19], 0
	s_mov_b64 s[14:15], -1
	s_and_b64 vcc, exec, s[34:35]
	s_mul_i32 s33, s4, 0xfffff200
	s_barrier
	s_cbranch_vccz .LBB118_62
; %bb.1:
	s_load_dwordx2 s[4:5], s[8:9], 0x0
	s_add_i32 s47, s33, s46
	v_cmp_gt_u32_e32 vcc, s47, v0
	s_waitcnt lgkmcnt(0)
	v_mov_b64_e32 v[2:3], s[4:5]
	s_and_saveexec_b64 s[14:15], vcc
	s_cbranch_execz .LBB118_3
; %bb.2:
	v_lshlrev_b32_e32 v1, 3, v0
	global_load_dwordx2 v[2:3], v1, s[8:9]
.LBB118_3:
	s_or_b64 exec, exec, s[14:15]
	v_or_b32_e32 v1, 0x100, v0
	v_cmp_gt_u32_e32 vcc, s47, v1
	v_mov_b64_e32 v[4:5], s[4:5]
	s_and_saveexec_b64 s[14:15], vcc
	s_cbranch_execz .LBB118_5
; %bb.4:
	v_lshlrev_b32_e32 v1, 3, v0
	global_load_dwordx2 v[4:5], v1, s[8:9] offset:2048
.LBB118_5:
	s_or_b64 exec, exec, s[14:15]
	v_or_b32_e32 v1, 0x200, v0
	v_cmp_gt_u32_e32 vcc, s47, v1
	v_mov_b64_e32 v[6:7], s[4:5]
	s_and_saveexec_b64 s[14:15], vcc
	s_cbranch_execz .LBB118_7
; %bb.6:
	v_lshlrev_b32_e32 v1, 3, v1
	global_load_dwordx2 v[6:7], v1, s[8:9]
.LBB118_7:
	s_or_b64 exec, exec, s[14:15]
	v_or_b32_e32 v1, 0x300, v0
	v_cmp_gt_u32_e32 vcc, s47, v1
	v_mov_b64_e32 v[8:9], s[4:5]
	s_and_saveexec_b64 s[14:15], vcc
	s_cbranch_execz .LBB118_9
; %bb.8:
	v_lshlrev_b32_e32 v1, 3, v1
	global_load_dwordx2 v[8:9], v1, s[8:9]
.LBB118_9:
	;; [unrolled: 10-line block ×12, first 2 shown]
	s_or_b64 exec, exec, s[4:5]
	v_lshlrev_b32_e32 v1, 3, v0
	s_movk_i32 s3, 0x68
	s_waitcnt vmcnt(0)
	ds_write2st64_b64 v1, v[2:3], v[4:5] offset1:4
	ds_write2st64_b64 v1, v[6:7], v[8:9] offset0:8 offset1:12
	ds_write2st64_b64 v1, v[10:11], v[12:13] offset0:16 offset1:20
	;; [unrolled: 1-line block ×6, first 2 shown]
	v_mad_u32_u24 v8, v0, s3, v1
	s_waitcnt lgkmcnt(0)
	s_barrier
	ds_read_b128 v[74:77], v8
	ds_read_b128 v[70:73], v8 offset:16
	ds_read_b128 v[66:69], v8 offset:32
	;; [unrolled: 1-line block ×6, first 2 shown]
	s_cmp_eq_u64 s[12:13], 0
	s_mov_b64 s[4:5], s[8:9]
	s_cbranch_scc1 .LBB118_33
; %bb.30:
	s_andn2_b64 vcc, exec, s[10:11]
	s_cbranch_vccnz .LBB118_207
; %bb.31:
	s_lshl_b64 s[4:5], s[12:13], 3
	s_add_u32 s3, s54, s4
	s_addc_u32 s5, s55, s5
	s_add_u32 s4, s3, -8
	s_addc_u32 s5, s5, -1
	s_cbranch_execnz .LBB118_33
.LBB118_32:
	s_add_u32 s4, s8, -8
	s_addc_u32 s5, s9, -1
.LBB118_33:
	s_load_dwordx2 s[4:5], s[4:5], 0x0
	s_movk_i32 s3, 0xff98
	v_mad_i32_i24 v2, v0, s3, v8
	v_cmp_ne_u32_e32 vcc, 0, v0
	s_waitcnt lgkmcnt(0)
	ds_write_b64 v2, v[60:61] offset:28672
	v_mov_b64_e32 v[4:5], s[4:5]
	s_waitcnt lgkmcnt(0)
	s_barrier
	s_and_saveexec_b64 s[4:5], vcc
	s_cbranch_execz .LBB118_35
; %bb.34:
	v_mul_i32_i24_e32 v2, 0xffffff98, v0
	v_add_u32_e32 v2, v8, v2
	ds_read_b64 v[4:5], v2 offset:28664
.LBB118_35:
	s_or_b64 exec, exec, s[4:5]
	v_mul_u32_u24_e32 v9, 14, v0
	v_mov_b64_e32 v[2:3], s[6:7]
	v_mov_b64_e32 v[78:79], 0
	s_waitcnt lgkmcnt(0)
	s_barrier
	ds_write2st64_b64 v1, v[2:3], v[2:3] offset1:4
	ds_write2st64_b64 v1, v[2:3], v[2:3] offset0:8 offset1:12
	ds_write2st64_b64 v1, v[2:3], v[2:3] offset0:16 offset1:20
	;; [unrolled: 1-line block ×6, first 2 shown]
	v_cmp_gt_u32_e32 vcc, s47, v9
	s_mov_b64 s[14:15], 0
	s_mov_b32 s3, 0
	v_mov_b32_e32 v80, 0
	v_mov_b32_e32 v91, 0
	v_mov_b64_e32 v[46:47], v[78:79]
	v_mov_b32_e32 v90, 0
	v_mov_b64_e32 v[34:35], v[78:79]
	;; [unrolled: 2-line block ×12, first 2 shown]
	s_waitcnt lgkmcnt(0)
	s_barrier
	s_waitcnt lgkmcnt(0)
                                        ; implicit-def: $sgpr4_sgpr5
                                        ; implicit-def: $vgpr52_vgpr53
	s_and_saveexec_b64 s[16:17], vcc
	s_cbranch_execz .LBB118_61
; %bb.36:
	ds_read_b64 v[2:3], v8
	v_or_b32_e32 v6, 1, v9
	v_cmp_ne_u64_e32 vcc, v[4:5], v[74:75]
	v_mov_b64_e32 v[78:79], 0
	s_mov_b64 s[20:21], 0
	v_cndmask_b32_e64 v1, 0, 1, vcc
	v_cmp_gt_u32_e32 vcc, s47, v6
	s_mov_b64 s[4:5], 0
	v_mov_b32_e32 v80, 0
	v_mov_b32_e32 v91, 0
	v_mov_b64_e32 v[46:47], v[78:79]
	v_mov_b32_e32 v90, 0
	v_mov_b64_e32 v[34:35], v[78:79]
	;; [unrolled: 2-line block ×11, first 2 shown]
                                        ; implicit-def: $sgpr22_sgpr23
                                        ; implicit-def: $vgpr52_vgpr53
	s_and_saveexec_b64 s[18:19], vcc
	s_cbranch_execz .LBB118_60
; %bb.37:
	ds_read2_b64 v[14:17], v8 offset0:1 offset1:2
	v_cmp_ne_u64_e32 vcc, v[74:75], v[76:77]
	v_add_u32_e32 v4, 2, v9
	v_mov_b64_e32 v[78:79], 0
	v_cndmask_b32_e64 v82, 0, 1, vcc
	v_cmp_gt_u32_e32 vcc, s47, v4
	s_mov_b64 s[24:25], 0
	v_mov_b32_e32 v80, 0
	v_mov_b32_e32 v91, 0
	v_mov_b64_e32 v[46:47], v[78:79]
	v_mov_b32_e32 v90, 0
	v_mov_b64_e32 v[34:35], v[78:79]
	;; [unrolled: 2-line block ×10, first 2 shown]
                                        ; implicit-def: $sgpr22_sgpr23
                                        ; implicit-def: $vgpr52_vgpr53
	s_and_saveexec_b64 s[20:21], vcc
	s_cbranch_execz .LBB118_59
; %bb.38:
	v_cmp_ne_u64_e32 vcc, v[76:77], v[70:71]
	v_add_u32_e32 v4, 3, v9
	v_mov_b64_e32 v[78:79], 0
	s_waitcnt lgkmcnt(0)
	v_mov_b32_e32 v6, v16
	v_mov_b32_e32 v7, v17
	v_cndmask_b32_e64 v81, 0, 1, vcc
	v_cmp_gt_u32_e32 vcc, s47, v4
	v_mov_b32_e32 v80, 0
	v_mov_b32_e32 v91, 0
	v_mov_b64_e32 v[46:47], v[78:79]
	v_mov_b32_e32 v90, 0
	v_mov_b64_e32 v[34:35], v[78:79]
	;; [unrolled: 2-line block ×9, first 2 shown]
                                        ; implicit-def: $sgpr26_sgpr27
                                        ; implicit-def: $vgpr52_vgpr53
	s_and_saveexec_b64 s[22:23], vcc
	s_cbranch_execz .LBB118_58
; %bb.39:
	ds_read2_b64 v[22:25], v8 offset0:3 offset1:4
	v_cmp_ne_u64_e32 vcc, v[70:71], v[72:73]
	v_add_u32_e32 v4, 4, v9
	v_mov_b64_e32 v[78:79], 0
	v_cndmask_b32_e64 v83, 0, 1, vcc
	v_cmp_gt_u32_e32 vcc, s47, v4
	s_mov_b64 s[28:29], 0
	v_mov_b32_e32 v80, 0
	v_mov_b32_e32 v91, 0
	v_mov_b64_e32 v[46:47], v[78:79]
	v_mov_b32_e32 v90, 0
	v_mov_b64_e32 v[34:35], v[78:79]
	;; [unrolled: 2-line block ×8, first 2 shown]
                                        ; implicit-def: $sgpr26_sgpr27
                                        ; implicit-def: $vgpr52_vgpr53
	s_and_saveexec_b64 s[24:25], vcc
	s_cbranch_execz .LBB118_57
; %bb.40:
	v_cmp_ne_u64_e32 vcc, v[72:73], v[66:67]
	v_add_u32_e32 v4, 5, v9
	v_mov_b64_e32 v[78:79], 0
	s_waitcnt lgkmcnt(0)
	v_mov_b32_e32 v10, v24
	v_mov_b32_e32 v11, v25
	v_cndmask_b32_e64 v84, 0, 1, vcc
	v_cmp_gt_u32_e32 vcc, s47, v4
	v_mov_b32_e32 v80, 0
	v_mov_b32_e32 v91, 0
	v_mov_b64_e32 v[46:47], v[78:79]
	v_mov_b32_e32 v90, 0
	v_mov_b64_e32 v[34:35], v[78:79]
	;; [unrolled: 2-line block ×7, first 2 shown]
                                        ; implicit-def: $sgpr30_sgpr31
                                        ; implicit-def: $vgpr52_vgpr53
	s_and_saveexec_b64 s[26:27], vcc
	s_cbranch_execz .LBB118_56
; %bb.41:
	ds_read2_b64 v[30:33], v8 offset0:5 offset1:6
	v_cmp_ne_u64_e32 vcc, v[66:67], v[68:69]
	v_add_u32_e32 v4, 6, v9
	v_mov_b64_e32 v[78:79], 0
	v_cndmask_b32_e64 v85, 0, 1, vcc
	v_cmp_gt_u32_e32 vcc, s47, v4
	s_mov_b64 s[36:37], 0
	v_mov_b32_e32 v80, 0
	v_mov_b32_e32 v91, 0
	v_mov_b64_e32 v[46:47], v[78:79]
	v_mov_b32_e32 v90, 0
	v_mov_b64_e32 v[34:35], v[78:79]
	;; [unrolled: 2-line block ×6, first 2 shown]
                                        ; implicit-def: $sgpr30_sgpr31
                                        ; implicit-def: $vgpr52_vgpr53
	s_and_saveexec_b64 s[28:29], vcc
	s_cbranch_execz .LBB118_55
; %bb.42:
	v_cmp_ne_u64_e32 vcc, v[68:69], v[62:63]
	v_add_u32_e32 v4, 7, v9
	v_mov_b64_e32 v[78:79], 0
	s_waitcnt lgkmcnt(0)
	v_mov_b32_e32 v18, v32
	v_mov_b32_e32 v19, v33
	v_cndmask_b32_e64 v86, 0, 1, vcc
	v_cmp_gt_u32_e32 vcc, s47, v4
	v_mov_b32_e32 v80, 0
	v_mov_b32_e32 v91, 0
	v_mov_b64_e32 v[46:47], v[78:79]
	v_mov_b32_e32 v90, 0
	v_mov_b64_e32 v[34:35], v[78:79]
	;; [unrolled: 2-line block ×5, first 2 shown]
                                        ; implicit-def: $sgpr48_sgpr49
                                        ; implicit-def: $vgpr52_vgpr53
	s_and_saveexec_b64 s[30:31], vcc
	s_cbranch_execz .LBB118_54
; %bb.43:
	ds_read2_b64 v[38:41], v8 offset0:7 offset1:8
	v_cmp_ne_u64_e32 vcc, v[62:63], v[64:65]
	v_add_u32_e32 v4, 8, v9
	v_mov_b64_e32 v[78:79], 0
	v_cndmask_b32_e64 v87, 0, 1, vcc
	v_cmp_gt_u32_e32 vcc, s47, v4
	s_mov_b64 s[58:59], 0
	v_mov_b32_e32 v80, 0
	v_mov_b32_e32 v91, 0
	v_mov_b64_e32 v[46:47], v[78:79]
	v_mov_b32_e32 v90, 0
	v_mov_b64_e32 v[34:35], v[78:79]
	;; [unrolled: 2-line block ×4, first 2 shown]
                                        ; implicit-def: $sgpr48_sgpr49
                                        ; implicit-def: $vgpr52_vgpr53
	s_and_saveexec_b64 s[36:37], vcc
	s_cbranch_execz .LBB118_53
; %bb.44:
	v_cmp_ne_u64_e32 vcc, v[64:65], v[48:49]
	v_add_u32_e32 v4, 9, v9
	v_mov_b64_e32 v[78:79], 0
	s_waitcnt lgkmcnt(0)
	v_mov_b32_e32 v26, v40
	v_mov_b32_e32 v27, v41
	v_cndmask_b32_e64 v88, 0, 1, vcc
	v_cmp_gt_u32_e32 vcc, s47, v4
	v_mov_b32_e32 v80, 0
	v_mov_b32_e32 v91, 0
	v_mov_b64_e32 v[46:47], v[78:79]
	v_mov_b32_e32 v90, 0
	v_mov_b64_e32 v[34:35], v[78:79]
	;; [unrolled: 2-line block ×3, first 2 shown]
                                        ; implicit-def: $sgpr60_sgpr61
                                        ; implicit-def: $vgpr52_vgpr53
	s_and_saveexec_b64 s[48:49], vcc
	s_cbranch_execz .LBB118_52
; %bb.45:
	ds_read2_b64 v[42:45], v8 offset0:9 offset1:10
	v_cmp_ne_u64_e32 vcc, v[48:49], v[50:51]
	v_add_u32_e32 v4, 10, v9
	v_mov_b64_e32 v[78:79], 0
	v_cndmask_b32_e64 v89, 0, 1, vcc
	v_cmp_gt_u32_e32 vcc, s47, v4
	s_mov_b64 s[62:63], 0
	v_mov_b32_e32 v80, 0
	v_mov_b32_e32 v91, 0
	v_mov_b64_e32 v[46:47], v[78:79]
	v_mov_b32_e32 v90, 0
	v_mov_b64_e32 v[34:35], v[78:79]
                                        ; implicit-def: $sgpr60_sgpr61
                                        ; implicit-def: $vgpr52_vgpr53
	s_and_saveexec_b64 s[58:59], vcc
	s_cbranch_execz .LBB118_51
; %bb.46:
	v_cmp_ne_u64_e32 vcc, v[50:51], v[54:55]
	v_add_u32_e32 v4, 11, v9
	v_mov_b64_e32 v[78:79], 0
	s_waitcnt lgkmcnt(0)
	v_mov_b32_e32 v34, v44
	v_mov_b32_e32 v35, v45
	v_cndmask_b32_e64 v90, 0, 1, vcc
	v_cmp_gt_u32_e32 vcc, s47, v4
	v_mov_b32_e32 v80, 0
	v_mov_b32_e32 v91, 0
	v_mov_b64_e32 v[46:47], v[78:79]
                                        ; implicit-def: $sgpr64_sgpr65
                                        ; implicit-def: $vgpr52_vgpr53
	s_and_saveexec_b64 s[60:61], vcc
	s_cbranch_execz .LBB118_50
; %bb.47:
	ds_read2_b64 v[46:49], v8 offset0:11 offset1:12
	v_cmp_ne_u64_e32 vcc, v[54:55], v[56:57]
	v_add_u32_e32 v4, 12, v9
	v_mov_b32_e32 v80, 0
	v_cndmask_b32_e64 v91, 0, 1, vcc
	v_cmp_gt_u32_e32 vcc, s47, v4
	v_mov_b64_e32 v[78:79], 0
                                        ; implicit-def: $sgpr62_sgpr63
                                        ; implicit-def: $vgpr52_vgpr53
	s_and_saveexec_b64 s[64:65], vcc
	s_xor_b64 s[64:65], exec, s[64:65]
	s_cbranch_execz .LBB118_49
; %bb.48:
	ds_read_b64 v[52:53], v8 offset:104
	v_cmp_ne_u64_e64 s[4:5], v[56:57], v[58:59]
	v_add_u32_e32 v4, 13, v9
	v_cmp_ne_u64_e32 vcc, v[58:59], v[60:61]
	v_cndmask_b32_e64 v80, 0, 1, s[4:5]
	v_cmp_gt_u32_e64 s[4:5], s47, v4
	s_and_b64 s[62:63], vcc, exec
	s_and_b64 s[4:5], s[4:5], exec
	s_waitcnt lgkmcnt(1)
	v_mov_b64_e32 v[50:51], v[48:49]
	v_mov_b64_e32 v[78:79], v[48:49]
.LBB118_49:
	s_or_b64 exec, exec, s[64:65]
	s_and_b64 s[64:65], s[62:63], exec
	s_and_b64 s[62:63], s[4:5], exec
.LBB118_50:
	s_or_b64 exec, exec, s[60:61]
	s_and_b64 s[60:61], s[64:65], exec
	s_and_b64 s[4:5], s[62:63], exec
	s_waitcnt lgkmcnt(0)
	v_mov_b64_e32 v[36:37], v[46:47]
	v_mov_b64_e32 v[28:29], v[42:43]
	;; [unrolled: 1-line block ×6, first 2 shown]
.LBB118_51:
	s_or_b64 exec, exec, s[58:59]
	s_and_b64 s[60:61], s[60:61], exec
	s_and_b64 s[58:59], s[4:5], exec
.LBB118_52:
	s_or_b64 exec, exec, s[48:49]
	s_and_b64 s[48:49], s[60:61], exec
	s_and_b64 s[4:5], s[58:59], exec
.LBB118_53:
	s_or_b64 exec, exec, s[36:37]
	s_and_b64 s[48:49], s[48:49], exec
	s_and_b64 s[36:37], s[4:5], exec
.LBB118_54:
	s_or_b64 exec, exec, s[30:31]
	s_and_b64 s[30:31], s[48:49], exec
	s_and_b64 s[4:5], s[36:37], exec
.LBB118_55:
	s_or_b64 exec, exec, s[28:29]
	s_and_b64 s[30:31], s[30:31], exec
	s_and_b64 s[28:29], s[4:5], exec
.LBB118_56:
	s_or_b64 exec, exec, s[26:27]
	s_and_b64 s[26:27], s[30:31], exec
	s_and_b64 s[4:5], s[28:29], exec
.LBB118_57:
	s_or_b64 exec, exec, s[24:25]
	s_and_b64 s[26:27], s[26:27], exec
	s_and_b64 s[24:25], s[4:5], exec
.LBB118_58:
	s_or_b64 exec, exec, s[22:23]
	s_and_b64 s[22:23], s[26:27], exec
	s_and_b64 s[4:5], s[24:25], exec
.LBB118_59:
	s_or_b64 exec, exec, s[20:21]
	s_and_b64 s[22:23], s[22:23], exec
	s_and_b64 s[20:21], s[4:5], exec
.LBB118_60:
	s_or_b64 exec, exec, s[18:19]
	s_and_b64 s[4:5], s[22:23], exec
	s_and_b64 s[18:19], s[20:21], exec
.LBB118_61:
	s_or_b64 exec, exec, s[16:17]
	s_mov_b64 s[16:17], 0
	s_and_b64 vcc, exec, s[14:15]
	s_waitcnt lgkmcnt(0)
	v_lshlrev_b32_e32 v32, 3, v0
	s_cbranch_vccnz .LBB118_63
	s_branch .LBB118_71
.LBB118_62:
                                        ; implicit-def: $sgpr4_sgpr5
                                        ; implicit-def: $vgpr52_vgpr53
                                        ; implicit-def: $vgpr80
                                        ; implicit-def: $vgpr91
                                        ; implicit-def: $vgpr36_vgpr37
                                        ; implicit-def: $vgpr90
                                        ; implicit-def: $vgpr89
                                        ; implicit-def: $vgpr28_vgpr29
                                        ; implicit-def: $vgpr88
                                        ; implicit-def: $vgpr87
                                        ; implicit-def: $vgpr20_vgpr21
                                        ; implicit-def: $vgpr86
                                        ; implicit-def: $vgpr85
                                        ; implicit-def: $vgpr12_vgpr13
                                        ; implicit-def: $vgpr84
                                        ; implicit-def: $vgpr83
                                        ; implicit-def: $vgpr8_vgpr9
                                        ; implicit-def: $vgpr81
                                        ; implicit-def: $vgpr82
                                        ; implicit-def: $vgpr4_vgpr5
                                        ; implicit-def: $vgpr1
                                        ; implicit-def: $sgpr3
                                        ; implicit-def: $sgpr16_sgpr17
                                        ; implicit-def: $vgpr78_vgpr79
                                        ; implicit-def: $vgpr46_vgpr47
                                        ; implicit-def: $vgpr42_vgpr43
                                        ; implicit-def: $vgpr38_vgpr39
                                        ; implicit-def: $vgpr30_vgpr31
                                        ; implicit-def: $vgpr22_vgpr23
                                        ; implicit-def: $vgpr14_vgpr15
	s_and_b64 vcc, exec, s[14:15]
	v_lshlrev_b32_e32 v32, 3, v0
	s_cbranch_vccz .LBB118_71
.LBB118_63:
	v_mov_b32_e32 v33, 0
	v_lshl_add_u64 v[2:3], s[8:9], 0, v[32:33]
	v_add_co_u32_e32 v8, vcc, 0x1000, v2
	global_load_dwordx2 v[4:5], v32, s[8:9]
	global_load_dwordx2 v[6:7], v32, s[8:9] offset:2048
	v_addc_co_u32_e32 v9, vcc, 0, v3, vcc
	v_add_co_u32_e32 v10, vcc, 0x2000, v2
	s_movk_i32 s3, 0x68
	s_nop 0
	v_addc_co_u32_e32 v11, vcc, 0, v3, vcc
	global_load_dwordx2 v[12:13], v[8:9], off
	global_load_dwordx2 v[14:15], v[8:9], off offset:2048
	global_load_dwordx2 v[16:17], v[10:11], off
	global_load_dwordx2 v[18:19], v[10:11], off offset:2048
	v_add_co_u32_e32 v8, vcc, 0x3000, v2
	v_mad_u32_u24 v1, v0, s3, v32
	s_nop 0
	v_addc_co_u32_e32 v9, vcc, 0, v3, vcc
	v_add_co_u32_e32 v10, vcc, 0x4000, v2
	s_cmp_eq_u64 s[12:13], 0
	s_nop 0
	v_addc_co_u32_e32 v11, vcc, 0, v3, vcc
	global_load_dwordx2 v[20:21], v[8:9], off
	global_load_dwordx2 v[22:23], v[8:9], off offset:2048
	global_load_dwordx2 v[24:25], v[10:11], off
	global_load_dwordx2 v[26:27], v[10:11], off offset:2048
	v_add_co_u32_e32 v8, vcc, 0x5000, v2
	s_nop 1
	v_addc_co_u32_e32 v9, vcc, 0, v3, vcc
	v_add_co_u32_e32 v2, vcc, 0x6000, v2
	s_nop 1
	v_addc_co_u32_e32 v3, vcc, 0, v3, vcc
	global_load_dwordx2 v[10:11], v[8:9], off
	global_load_dwordx2 v[28:29], v[8:9], off offset:2048
	global_load_dwordx2 v[30:31], v[2:3], off
	global_load_dwordx2 v[34:35], v[2:3], off offset:2048
	s_waitcnt vmcnt(12)
	ds_write2st64_b64 v32, v[4:5], v[6:7] offset1:4
	s_waitcnt vmcnt(10)
	ds_write2st64_b64 v32, v[12:13], v[14:15] offset0:8 offset1:12
	s_waitcnt vmcnt(8)
	ds_write2st64_b64 v32, v[16:17], v[18:19] offset0:16 offset1:20
	;; [unrolled: 2-line block ×6, first 2 shown]
	s_waitcnt lgkmcnt(0)
	s_barrier
	ds_read_b128 v[14:17], v1
	ds_read_b128 v[2:5], v1 offset:16
	ds_read_b128 v[6:9], v1 offset:32
	;; [unrolled: 1-line block ×6, first 2 shown]
	s_cbranch_scc1 .LBB118_68
; %bb.64:
	s_andn2_b64 vcc, exec, s[10:11]
	s_cbranch_vccnz .LBB118_208
; %bb.65:
	s_lshl_b64 s[4:5], s[12:13], 3
	s_add_u32 s3, s54, s4
	s_addc_u32 s5, s55, s5
	s_add_u32 s4, s3, -8
	s_addc_u32 s5, s5, -1
	s_cbranch_execnz .LBB118_67
.LBB118_66:
	s_add_u32 s4, s8, -8
	s_addc_u32 s5, s9, -1
.LBB118_67:
	s_mov_b64 s[8:9], s[4:5]
.LBB118_68:
	s_load_dwordx2 s[4:5], s[8:9], 0x0
	s_movk_i32 s3, 0xff98
	v_mad_i32_i24 v30, v0, s3, v1
	s_waitcnt lgkmcnt(0)
	ds_write_b64 v30, v[28:29] offset:28672
	v_cmp_ne_u32_e32 vcc, 0, v0
	v_mov_b64_e32 v[30:31], s[4:5]
	s_waitcnt lgkmcnt(0)
	s_barrier
	s_and_saveexec_b64 s[4:5], vcc
	s_cbranch_execz .LBB118_70
; %bb.69:
	v_mul_i32_i24_e32 v30, 0xffffff98, v0
	v_add_u32_e32 v30, v1, v30
	ds_read_b64 v[30:31], v30 offset:28664
.LBB118_70:
	s_or_b64 exec, exec, s[4:5]
	v_cmp_ne_u64_e32 vcc, v[24:25], v[26:27]
	v_cmp_ne_u64_e64 s[4:5], v[26:27], v[28:29]
	s_waitcnt lgkmcnt(0)
	v_cndmask_b32_e64 v80, 0, 1, vcc
	v_cmp_ne_u64_e32 vcc, v[22:23], v[24:25]
	s_barrier
	s_nop 0
	v_cndmask_b32_e64 v91, 0, 1, vcc
	v_cmp_ne_u64_e32 vcc, v[20:21], v[22:23]
	s_mov_b64 s[18:19], -1
                                        ; implicit-def: $sgpr3
                                        ; implicit-def: $sgpr16_sgpr17
                                        ; implicit-def: $vgpr78_vgpr79
                                        ; implicit-def: $vgpr46_vgpr47
                                        ; implicit-def: $vgpr42_vgpr43
                                        ; implicit-def: $vgpr38_vgpr39
                                        ; implicit-def: $vgpr22_vgpr23
	s_nop 0
	v_cndmask_b32_e64 v90, 0, 1, vcc
	v_cmp_ne_u64_e32 vcc, v[18:19], v[20:21]
	s_nop 1
	v_cndmask_b32_e64 v89, 0, 1, vcc
	v_cmp_ne_u64_e32 vcc, v[12:13], v[18:19]
	s_nop 1
	v_cndmask_b32_e64 v88, 0, 1, vcc
	v_cmp_ne_u64_e32 vcc, v[10:11], v[12:13]
	s_nop 1
	v_cndmask_b32_e64 v87, 0, 1, vcc
	v_cmp_ne_u64_e32 vcc, v[8:9], v[10:11]
	s_nop 1
	v_cndmask_b32_e64 v86, 0, 1, vcc
	v_cmp_ne_u64_e32 vcc, v[6:7], v[8:9]
	s_nop 1
	v_cndmask_b32_e64 v85, 0, 1, vcc
	v_cmp_ne_u64_e32 vcc, v[4:5], v[6:7]
	s_nop 1
	v_cndmask_b32_e64 v84, 0, 1, vcc
	v_cmp_ne_u64_e32 vcc, v[2:3], v[4:5]
	s_nop 1
	v_cndmask_b32_e64 v83, 0, 1, vcc
	v_cmp_ne_u64_e32 vcc, v[16:17], v[2:3]
	v_mov_b64_e32 v[2:3], s[6:7]
	ds_write2st64_b64 v32, v[2:3], v[2:3] offset1:4
	ds_write2st64_b64 v32, v[2:3], v[2:3] offset0:8 offset1:12
	ds_write2st64_b64 v32, v[2:3], v[2:3] offset0:16 offset1:20
	;; [unrolled: 1-line block ×6, first 2 shown]
	s_waitcnt lgkmcnt(0)
	s_barrier
	ds_read_b128 v[2:5], v1
	ds_read_b128 v[6:9], v1 offset:16
	ds_read_b128 v[10:13], v1 offset:32
	;; [unrolled: 1-line block ×6, first 2 shown]
	v_cndmask_b32_e64 v81, 0, 1, vcc
	v_cmp_ne_u64_e32 vcc, v[14:15], v[16:17]
	s_nop 1
	v_cndmask_b32_e64 v82, 0, 1, vcc
	v_cmp_ne_u64_e32 vcc, v[30:31], v[14:15]
                                        ; implicit-def: $vgpr30_vgpr31
                                        ; implicit-def: $vgpr14_vgpr15
	s_nop 1
	v_cndmask_b32_e64 v1, 0, 1, vcc
.LBB118_71:
	v_mov_b64_e32 v[16:17], s[16:17]
	v_mov_b32_e32 v33, s3
	s_and_saveexec_b64 s[6:7], s[18:19]
	s_cbranch_execz .LBB118_73
; %bb.72:
	v_cndmask_b32_e64 v33, 0, 1, s[4:5]
	s_waitcnt lgkmcnt(6)
	v_mov_b64_e32 v[14:15], v[4:5]
	s_waitcnt lgkmcnt(5)
	v_mov_b64_e32 v[22:23], v[8:9]
	;; [unrolled: 2-line block ×7, first 2 shown]
	v_mov_b64_e32 v[16:17], v[52:53]
.LBB118_73:
	s_or_b64 exec, exec, s[6:7]
	s_waitcnt lgkmcnt(6)
	v_or_b32_e32 v4, v33, v80
	s_cmp_lg_u32 s2, 0
	s_waitcnt lgkmcnt(2)
	v_or_b32_e32 v29, v4, v91
	v_mbcnt_lo_u32_b32 v28, -1, 0
	s_waitcnt lgkmcnt(0)
	s_barrier
	s_cbranch_scc0 .LBB118_144
; %bb.74:
	v_mov_b32_e32 v8, 0
	v_cmp_eq_u16_sdwa s[4:5], v82, v8 src0_sel:BYTE_0 src1_sel:DWORD
	v_cmp_eq_u16_sdwa s[6:7], v81, v8 src0_sel:BYTE_0 src1_sel:DWORD
	v_cmp_eq_u16_sdwa s[8:9], v83, v8 src0_sel:BYTE_0 src1_sel:DWORD
	v_cndmask_b32_e64 v5, 0, v3, s[4:5]
	v_cndmask_b32_e64 v4, 0, v2, s[4:5]
	v_lshl_add_u64 v[4:5], v[4:5], 0, v[14:15]
	v_cndmask_b32_e64 v5, 0, v5, s[6:7]
	v_cndmask_b32_e64 v4, 0, v4, s[6:7]
	v_lshl_add_u64 v[4:5], v[4:5], 0, v[6:7]
	v_cndmask_b32_e64 v5, 0, v5, s[8:9]
	v_cndmask_b32_e64 v4, 0, v4, s[8:9]
	v_lshl_add_u64 v[4:5], v[4:5], 0, v[22:23]
	v_cmp_eq_u16_sdwa s[10:11], v84, v8 src0_sel:BYTE_0 src1_sel:DWORD
	v_cmp_eq_u16_sdwa s[12:13], v85, v8 src0_sel:BYTE_0 src1_sel:DWORD
	v_cmp_eq_u16_sdwa s[14:15], v86, v8 src0_sel:BYTE_0 src1_sel:DWORD
	v_cndmask_b32_e64 v5, 0, v5, s[10:11]
	v_cndmask_b32_e64 v4, 0, v4, s[10:11]
	v_lshl_add_u64 v[4:5], v[4:5], 0, v[10:11]
	v_cndmask_b32_e64 v5, 0, v5, s[12:13]
	v_cndmask_b32_e64 v4, 0, v4, s[12:13]
	v_lshl_add_u64 v[4:5], v[4:5], 0, v[30:31]
	v_cndmask_b32_e64 v5, 0, v5, s[14:15]
	v_cndmask_b32_e64 v4, 0, v4, s[14:15]
	v_lshl_add_u64 v[4:5], v[4:5], 0, v[18:19]
	;; [unrolled: 12-line block ×4, first 2 shown]
	v_cmp_eq_u16_sdwa s[28:29], v33, v8 src0_sel:BYTE_0 src1_sel:DWORD
	v_and_b32_e32 v12, 0xff, v1
	v_mbcnt_hi_u32_b32 v44, -1, v28
	v_cndmask_b32_e64 v5, 0, v5, s[28:29]
	v_cndmask_b32_e64 v4, 0, v4, s[28:29]
	v_lshl_add_u64 v[8:9], v[4:5], 0, v[16:17]
	v_or_b32_e32 v4, v29, v90
	v_or_b32_e32 v4, v4, v89
	;; [unrolled: 1-line block ×10, first 2 shown]
	v_and_b32_e32 v4, 1, v4
	v_cmp_eq_u32_e32 vcc, 1, v4
	v_and_b32_e32 v4, 15, v44
	v_mov_b32_dpp v13, v8 row_shr:1 row_mask:0xf bank_mask:0xf
	v_cndmask_b32_e64 v12, v12, 1, vcc
	v_mov_b32_dpp v20, v9 row_shr:1 row_mask:0xf bank_mask:0xf
	v_cmp_ne_u32_e32 vcc, 0, v4
	v_mov_b32_dpp v5, v12 row_shr:1 row_mask:0xf bank_mask:0xf
	s_and_saveexec_b64 s[30:31], vcc
; %bb.75:
	v_cmp_eq_u32_e32 vcc, 0, v12
	v_and_or_b32 v12, v5, 1, v12
	s_nop 0
	v_cndmask_b32_e32 v21, 0, v20, vcc
	v_cndmask_b32_e32 v20, 0, v13, vcc
	v_lshl_add_u64 v[8:9], v[20:21], 0, v[8:9]
; %bb.76:
	s_or_b64 exec, exec, s[30:31]
	s_nop 0
	v_mov_b32_dpp v13, v8 row_shr:2 row_mask:0xf bank_mask:0xf
	v_mov_b32_dpp v20, v9 row_shr:2 row_mask:0xf bank_mask:0xf
	v_mov_b32_dpp v5, v12 row_shr:2 row_mask:0xf bank_mask:0xf
	v_cmp_lt_u32_e32 vcc, 1, v4
	s_and_saveexec_b64 s[30:31], vcc
; %bb.77:
	v_cmp_eq_u32_e32 vcc, 0, v12
	v_or_b32_e32 v5, v5, v12
	v_and_b32_e32 v12, 1, v5
	v_cndmask_b32_e32 v21, 0, v20, vcc
	v_cndmask_b32_e32 v20, 0, v13, vcc
	v_lshl_add_u64 v[8:9], v[20:21], 0, v[8:9]
; %bb.78:
	s_or_b64 exec, exec, s[30:31]
	s_nop 0
	v_mov_b32_dpp v13, v8 row_shr:4 row_mask:0xf bank_mask:0xf
	v_mov_b32_dpp v20, v9 row_shr:4 row_mask:0xf bank_mask:0xf
	v_mov_b32_dpp v5, v12 row_shr:4 row_mask:0xf bank_mask:0xf
	v_cmp_lt_u32_e32 vcc, 3, v4
	s_and_saveexec_b64 s[30:31], vcc
; %bb.79:
	v_cmp_eq_u32_e32 vcc, 0, v12
	v_or_b32_e32 v5, v5, v12
	v_and_b32_e32 v12, 1, v5
	v_cndmask_b32_e32 v21, 0, v20, vcc
	v_cndmask_b32_e32 v20, 0, v13, vcc
	v_lshl_add_u64 v[8:9], v[20:21], 0, v[8:9]
; %bb.80:
	s_or_b64 exec, exec, s[30:31]
	s_nop 0
	v_mov_b32_dpp v13, v8 row_shr:8 row_mask:0xf bank_mask:0xf
	v_mov_b32_dpp v20, v9 row_shr:8 row_mask:0xf bank_mask:0xf
	v_mov_b32_dpp v5, v12 row_shr:8 row_mask:0xf bank_mask:0xf
	v_cmp_lt_u32_e32 vcc, 7, v4
	s_and_saveexec_b64 s[30:31], vcc
; %bb.81:
	v_cmp_eq_u32_e32 vcc, 0, v12
	v_or_b32_e32 v4, v5, v12
	v_and_b32_e32 v12, 1, v4
	v_cndmask_b32_e32 v21, 0, v20, vcc
	v_cndmask_b32_e32 v20, 0, v13, vcc
	v_lshl_add_u64 v[8:9], v[20:21], 0, v[8:9]
; %bb.82:
	s_or_b64 exec, exec, s[30:31]
	v_and_b32_e32 v20, 16, v44
	v_mov_b32_dpp v5, v8 row_bcast:15 row_mask:0xf bank_mask:0xf
	v_mov_b32_dpp v13, v9 row_bcast:15 row_mask:0xf bank_mask:0xf
	;; [unrolled: 1-line block ×3, first 2 shown]
	v_cmp_ne_u32_e32 vcc, 0, v20
	s_and_saveexec_b64 s[30:31], vcc
; %bb.83:
	v_cmp_eq_u32_e32 vcc, 0, v12
	v_or_b32_e32 v4, v4, v12
	v_and_b32_e32 v12, 1, v4
	v_cndmask_b32_e32 v21, 0, v13, vcc
	v_cndmask_b32_e32 v20, 0, v5, vcc
	v_lshl_add_u64 v[8:9], v[20:21], 0, v[8:9]
; %bb.84:
	s_or_b64 exec, exec, s[30:31]
	s_nop 0
	v_mov_b32_dpp v13, v8 row_bcast:31 row_mask:0xf bank_mask:0xf
	v_mov_b32_dpp v20, v9 row_bcast:31 row_mask:0xf bank_mask:0xf
	;; [unrolled: 1-line block ×3, first 2 shown]
	v_cmp_lt_u32_e32 vcc, 31, v44
	v_mov_b32_e32 v4, v12
	s_and_saveexec_b64 s[30:31], vcc
; %bb.85:
	v_cmp_eq_u32_e32 vcc, 0, v12
	v_or_b32_e32 v5, v5, v12
	v_and_b32_e32 v4, 1, v5
	v_cndmask_b32_e32 v21, 0, v20, vcc
	v_cndmask_b32_e32 v20, 0, v13, vcc
	v_lshl_add_u64 v[8:9], v[20:21], 0, v[8:9]
	v_and_b32_e32 v12, 1, v5
; %bb.86:
	s_or_b64 exec, exec, s[30:31]
	v_or_b32_e32 v5, 63, v0
	v_lshrrev_b32_e32 v13, 6, v0
	v_cmp_eq_u32_e32 vcc, v5, v0
	s_and_saveexec_b64 s[30:31], vcc
	s_cbranch_execz .LBB118_88
; %bb.87:
	v_lshlrev_b32_e32 v5, 4, v13
	ds_write_b64 v5, v[8:9]
	ds_write_b8 v5, v4 offset:8
.LBB118_88:
	s_or_b64 exec, exec, s[30:31]
	v_cmp_gt_u32_e32 vcc, 4, v0
	s_waitcnt lgkmcnt(0)
	s_barrier
	s_and_saveexec_b64 s[36:37], vcc
	s_cbranch_execz .LBB118_94
; %bb.89:
	v_lshlrev_b32_e32 v20, 4, v0
	ds_read_b64 v[4:5], v20
	ds_read_b32 v21, v20 offset:8
	v_and_b32_e32 v24, 3, v44
	v_cmp_ne_u32_e32 vcc, 0, v24
	s_waitcnt lgkmcnt(1)
	v_mov_b32_dpp v40, v4 row_shr:1 row_mask:0xf bank_mask:0xf
	v_mov_b32_dpp v41, v5 row_shr:1 row_mask:0xf bank_mask:0xf
	s_waitcnt lgkmcnt(0)
	v_mov_b32_dpp v37, v21 row_shr:1 row_mask:0xf bank_mask:0xf
	v_mov_b32_e32 v25, v21
	v_mov_b32_e32 v36, v21
	s_and_saveexec_b64 s[30:31], vcc
; %bb.90:
	v_mov_b32_e32 v25, 0
	v_cmp_eq_u16_sdwa vcc, v21, v25 src0_sel:BYTE_0 src1_sel:DWORD
	v_or_b32_e32 v36, v37, v21
	v_and_b32_e32 v25, 1, v36
	v_cndmask_b32_e32 v41, 0, v41, vcc
	v_cndmask_b32_e32 v40, 0, v40, vcc
	v_and_b32_e32 v36, 1, v36
	s_movk_i32 s3, 0xff00
	v_lshl_add_u64 v[4:5], v[40:41], 0, v[4:5]
	v_and_or_b32 v21, v21, s3, v36
; %bb.91:
	s_or_b64 exec, exec, s[30:31]
	v_mov_b32_dpp v37, v4 row_shr:2 row_mask:0xf bank_mask:0xf
	v_mov_b32_dpp v40, v5 row_shr:2 row_mask:0xf bank_mask:0xf
	;; [unrolled: 1-line block ×3, first 2 shown]
	v_cmp_lt_u32_e32 vcc, 1, v24
	s_and_saveexec_b64 s[48:49], vcc
; %bb.92:
	v_mov_b32_e32 v24, 0
	v_cmp_eq_u16_sdwa vcc, v36, v24 src0_sel:BYTE_0 src1_sel:DWORD
	v_and_b32_e32 v21, 1, v21
	v_cmp_eq_u32_e64 s[30:31], 1, v21
	v_cndmask_b32_e32 v25, 0, v40, vcc
	v_cndmask_b32_e32 v24, 0, v37, vcc
	v_lshl_add_u64 v[4:5], v[24:25], 0, v[4:5]
	v_and_b32_e32 v24, 1, v36
	v_cmp_eq_u32_e32 vcc, 1, v24
	s_or_b64 s[30:31], vcc, s[30:31]
	v_cndmask_b32_e64 v25, 0, 1, s[30:31]
; %bb.93:
	s_or_b64 exec, exec, s[48:49]
	ds_write_b64 v20, v[4:5]
	ds_write_b8 v20, v25 offset:8
.LBB118_94:
	s_or_b64 exec, exec, s[36:37]
	v_cmp_gt_u32_e32 vcc, 64, v0
	v_cmp_lt_u32_e64 s[30:31], 63, v0
	v_mov_b32_e32 v36, 0
	v_mov_b64_e32 v[4:5], 0
	s_waitcnt lgkmcnt(0)
	s_barrier
	s_and_saveexec_b64 s[36:37], s[30:31]
	s_cbranch_execz .LBB118_96
; %bb.95:
	v_lshl_add_u32 v13, v13, 4, -16
	ds_read_b64 v[4:5], v13
	ds_read_u8 v36, v13 offset:8
	v_and_b32_e32 v20, 1, v12
	v_cmp_eq_u32_e64 s[30:31], 0, v12
	s_waitcnt lgkmcnt(1)
	s_nop 0
	v_cndmask_b32_e64 v13, 0, v5, s[30:31]
	v_cndmask_b32_e64 v12, 0, v4, s[30:31]
	v_cmp_eq_u32_e64 s[30:31], 1, v20
	v_lshl_add_u64 v[8:9], v[12:13], 0, v[8:9]
	s_waitcnt lgkmcnt(0)
	v_cndmask_b32_e64 v12, v36, 1, s[30:31]
.LBB118_96:
	s_or_b64 exec, exec, s[36:37]
	v_add_u32_e32 v13, -1, v44
	v_and_b32_e32 v20, 64, v44
	v_cmp_lt_i32_e64 s[30:31], v13, v20
	s_nop 1
	v_cndmask_b32_e64 v13, v13, v44, s[30:31]
	v_lshlrev_b32_e32 v13, 2, v13
	ds_bpermute_b32 v37, v13, v8
	ds_bpermute_b32 v40, v13, v9
	;; [unrolled: 1-line block ×3, first 2 shown]
	v_cmp_eq_u32_e64 s[30:31], 0, v44
	s_and_saveexec_b64 s[48:49], vcc
	s_cbranch_execz .LBB118_143
; %bb.97:
	v_mov_b32_e32 v13, 0
	ds_read2_b64 v[48:51], v13 offset0:6 offset1:7
	s_and_saveexec_b64 s[36:37], s[30:31]
	s_cbranch_execz .LBB118_99
; %bb.98:
	s_add_i32 s54, s2, 64
	s_mov_b32 s55, 0
	s_lshl_b64 s[58:59], s[54:55], 4
	s_add_u32 s58, s40, s58
	s_addc_u32 s59, s41, s59
	v_mov_b32_e32 v8, s54
	v_mov_b32_e32 v9, 1
	s_waitcnt lgkmcnt(0)
	global_store_dword v13, v48, s[58:59] sc1
	global_store_dword v13, v49, s[58:59] offset:4 sc1
	global_store_dword v13, v50, s[58:59] offset:8 sc1
	;; [unrolled: 1-line block ×3, first 2 shown]
	s_waitcnt vmcnt(0)
	global_store_byte v8, v9, s[44:45] sc1
.LBB118_99:
	s_or_b64 exec, exec, s[36:37]
	v_xad_u32 v8, v44, -1, s2
	v_add_u32_e32 v12, 64, v8
	global_load_ubyte v45, v12, s[44:45] sc1
	s_waitcnt vmcnt(0)
	v_cmp_eq_u16_e32 vcc, 0, v45
	s_and_saveexec_b64 s[36:37], vcc
	s_cbranch_execz .LBB118_105
; %bb.100:
	v_lshl_add_u64 v[20:21], s[44:45], 0, v[12:13]
	s_mov_b32 s3, 1
	s_mov_b64 s[54:55], 0
.LBB118_101:                            ; =>This Loop Header: Depth=1
                                        ;     Child Loop BB118_102 Depth 2
	s_max_u32 s47, s3, 1
.LBB118_102:                            ;   Parent Loop BB118_101 Depth=1
                                        ; =>  This Inner Loop Header: Depth=2
	s_add_i32 s47, s47, -1
	s_cmp_eq_u32 s47, 0
	s_sleep 1
	s_cbranch_scc0 .LBB118_102
; %bb.103:                              ;   in Loop: Header=BB118_101 Depth=1
	global_load_ubyte v45, v[20:21], off sc1
	s_cmp_lt_u32 s3, 32
	s_cselect_b64 s[58:59], -1, 0
	s_cmp_lg_u64 s[58:59], 0
	s_addc_u32 s3, s3, 0
	s_waitcnt vmcnt(0)
	v_cmp_ne_u16_e32 vcc, 0, v45
	s_or_b64 s[54:55], vcc, s[54:55]
	s_andn2_b64 exec, exec, s[54:55]
	s_cbranch_execnz .LBB118_101
; %bb.104:
	s_or_b64 exec, exec, s[54:55]
.LBB118_105:
	s_or_b64 exec, exec, s[36:37]
	v_mov_b32_e32 v9, s43
	v_mov_b32_e32 v20, s41
	v_cmp_eq_u16_e32 vcc, 1, v45
	s_waitcnt vmcnt(0) lgkmcnt(0)
	s_nop 0
	v_cndmask_b32_e32 v21, v9, v20, vcc
	v_mov_b32_e32 v9, s42
	v_mov_b32_e32 v20, s40
	v_cndmask_b32_e32 v20, v9, v20, vcc
	v_lshl_add_u64 v[12:13], v[12:13], 4, v[20:21]
	global_load_dword v24, v[12:13], off sc1
	global_load_dword v25, v[12:13], off offset:4 sc1
	global_load_dword v64, v[12:13], off offset:8 sc1
	;; [unrolled: 1-line block ×3, first 2 shown]
	v_cmp_eq_u16_e32 vcc, 2, v45
	v_lshlrev_b64 v[12:13], v44, -1
	v_and_b32_e32 v51, 63, v44
	s_waitcnt vmcnt(0)
	v_and_b32_e32 v9, vcc_hi, v13
	v_and_b32_e32 v55, vcc_lo, v12
	v_cmp_ne_u32_e32 vcc, 63, v51
	v_or_b32_e32 v9, 0x80000000, v9
	v_ffbl_b32_e32 v9, v9
	v_addc_co_u32_e32 v20, vcc, 0, v44, vcc
	v_lshlrev_b32_e32 v52, 2, v20
	v_add_u32_e32 v9, 32, v9
	v_ffbl_b32_e32 v55, v55
	v_min_u32_e32 v9, v55, v9
	v_cmp_lt_u32_e32 vcc, v51, v9
	ds_bpermute_b32 v53, v52, v24
	ds_bpermute_b32 v54, v52, v25
	v_and_b32_e32 v20, 0xff, v64
	ds_bpermute_b32 v21, v52, v20
	s_and_saveexec_b64 s[36:37], vcc
	s_cbranch_execz .LBB118_107
; %bb.106:
	v_mov_b32_e32 v20, 0
	v_cmp_eq_u16_sdwa vcc, v64, v20 src0_sel:BYTE_0 src1_sel:DWORD
	s_waitcnt lgkmcnt(0)
	v_or_b32_e32 v20, v21, v64
	v_and_b32_e32 v64, 1, v20
	v_cndmask_b32_e32 v55, 0, v54, vcc
	v_cndmask_b32_e32 v54, 0, v53, vcc
	v_lshl_add_u64 v[24:25], v[54:55], 0, v[24:25]
	v_and_b32_e32 v20, 1, v20
.LBB118_107:
	s_or_b64 exec, exec, s[36:37]
	v_cmp_gt_u32_e32 vcc, 62, v51
	s_waitcnt lgkmcnt(1)
	v_add_u32_e32 v54, 2, v51
	s_waitcnt lgkmcnt(0)
	v_cndmask_b32_e64 v21, 0, 1, vcc
	v_lshlrev_b32_e32 v21, 1, v21
	v_add_lshl_u32 v53, v21, v44, 2
	ds_bpermute_b32 v55, v53, v24
	ds_bpermute_b32 v56, v53, v25
	ds_bpermute_b32 v21, v53, v20
	v_cmp_le_u32_e32 vcc, v54, v9
	s_and_saveexec_b64 s[54:55], vcc
	s_cbranch_execz .LBB118_109
; %bb.108:
	v_mov_b32_e32 v20, 0
	v_cmp_eq_u16_sdwa vcc, v64, v20 src0_sel:BYTE_0 src1_sel:DWORD
	v_and_b32_e32 v20, 1, v64
	s_waitcnt lgkmcnt(1)
	v_cndmask_b32_e32 v57, 0, v56, vcc
	v_cndmask_b32_e32 v56, 0, v55, vcc
	v_cmp_eq_u32_e32 vcc, 1, v20
	s_waitcnt lgkmcnt(0)
	v_and_b32_e32 v20, 1, v21
	v_cmp_eq_u32_e64 s[36:37], 1, v20
	s_or_b64 s[36:37], vcc, s[36:37]
	v_lshl_add_u64 v[24:25], v[56:57], 0, v[24:25]
	v_cndmask_b32_e64 v64, 0, 1, s[36:37]
	v_cndmask_b32_e64 v20, 0, 1, s[36:37]
.LBB118_109:
	s_or_b64 exec, exec, s[54:55]
	v_cmp_gt_u32_e32 vcc, 60, v51
	s_waitcnt lgkmcnt(1)
	v_add_u32_e32 v56, 4, v51
	s_waitcnt lgkmcnt(0)
	v_cndmask_b32_e64 v21, 0, 1, vcc
	v_lshlrev_b32_e32 v21, 2, v21
	v_add_lshl_u32 v55, v21, v44, 2
	ds_bpermute_b32 v57, v55, v24
	ds_bpermute_b32 v58, v55, v25
	ds_bpermute_b32 v21, v55, v20
	v_cmp_le_u32_e32 vcc, v56, v9
	s_and_saveexec_b64 s[54:55], vcc
	s_cbranch_execz .LBB118_111
; %bb.110:
	v_mov_b32_e32 v20, 0
	v_cmp_eq_u16_sdwa vcc, v64, v20 src0_sel:BYTE_0 src1_sel:DWORD
	v_and_b32_e32 v20, 1, v64
	s_waitcnt lgkmcnt(1)
	v_cndmask_b32_e32 v59, 0, v58, vcc
	v_cndmask_b32_e32 v58, 0, v57, vcc
	v_cmp_eq_u32_e32 vcc, 1, v20
	s_waitcnt lgkmcnt(0)
	v_and_b32_e32 v20, 1, v21
	v_cmp_eq_u32_e64 s[36:37], 1, v20
	s_or_b64 s[36:37], vcc, s[36:37]
	v_lshl_add_u64 v[24:25], v[58:59], 0, v[24:25]
	v_cndmask_b32_e64 v64, 0, 1, s[36:37]
	v_cndmask_b32_e64 v20, 0, 1, s[36:37]
.LBB118_111:
	s_or_b64 exec, exec, s[54:55]
	v_cmp_gt_u32_e32 vcc, 56, v51
	s_waitcnt lgkmcnt(1)
	v_add_u32_e32 v58, 8, v51
	s_waitcnt lgkmcnt(0)
	v_cndmask_b32_e64 v21, 0, 1, vcc
	v_lshlrev_b32_e32 v21, 3, v21
	v_add_lshl_u32 v57, v21, v44, 2
	ds_bpermute_b32 v59, v57, v24
	ds_bpermute_b32 v60, v57, v25
	ds_bpermute_b32 v21, v57, v20
	v_cmp_le_u32_e32 vcc, v58, v9
	s_and_saveexec_b64 s[54:55], vcc
	s_cbranch_execz .LBB118_113
; %bb.112:
	v_mov_b32_e32 v20, 0
	v_cmp_eq_u16_sdwa vcc, v64, v20 src0_sel:BYTE_0 src1_sel:DWORD
	v_and_b32_e32 v20, 1, v64
	s_waitcnt lgkmcnt(1)
	v_cndmask_b32_e32 v61, 0, v60, vcc
	v_cndmask_b32_e32 v60, 0, v59, vcc
	v_cmp_eq_u32_e32 vcc, 1, v20
	s_waitcnt lgkmcnt(0)
	v_and_b32_e32 v20, 1, v21
	v_cmp_eq_u32_e64 s[36:37], 1, v20
	s_or_b64 s[36:37], vcc, s[36:37]
	v_lshl_add_u64 v[24:25], v[60:61], 0, v[24:25]
	v_cndmask_b32_e64 v64, 0, 1, s[36:37]
	v_cndmask_b32_e64 v20, 0, 1, s[36:37]
.LBB118_113:
	s_or_b64 exec, exec, s[54:55]
	v_cmp_gt_u32_e32 vcc, 48, v51
	s_waitcnt lgkmcnt(1)
	v_add_u32_e32 v60, 16, v51
	s_waitcnt lgkmcnt(0)
	v_cndmask_b32_e64 v21, 0, 1, vcc
	v_lshlrev_b32_e32 v21, 4, v21
	v_add_lshl_u32 v59, v21, v44, 2
	ds_bpermute_b32 v61, v59, v24
	ds_bpermute_b32 v62, v59, v25
	ds_bpermute_b32 v21, v59, v20
	v_cmp_le_u32_e32 vcc, v60, v9
	s_and_saveexec_b64 s[54:55], vcc
	s_cbranch_execz .LBB118_115
; %bb.114:
	v_mov_b32_e32 v20, 0
	v_cmp_eq_u16_sdwa vcc, v64, v20 src0_sel:BYTE_0 src1_sel:DWORD
	v_and_b32_e32 v20, 1, v64
	s_waitcnt lgkmcnt(1)
	v_cndmask_b32_e32 v63, 0, v62, vcc
	v_cndmask_b32_e32 v62, 0, v61, vcc
	v_cmp_eq_u32_e32 vcc, 1, v20
	s_waitcnt lgkmcnt(0)
	v_and_b32_e32 v20, 1, v21
	v_cmp_eq_u32_e64 s[36:37], 1, v20
	s_or_b64 s[36:37], vcc, s[36:37]
	v_lshl_add_u64 v[24:25], v[62:63], 0, v[24:25]
	v_cndmask_b32_e64 v64, 0, 1, s[36:37]
	v_cndmask_b32_e64 v20, 0, 1, s[36:37]
.LBB118_115:
	s_or_b64 exec, exec, s[54:55]
	v_cmp_gt_u32_e32 vcc, 32, v51
	s_waitcnt lgkmcnt(1)
	v_add_u32_e32 v62, 32, v51
	s_waitcnt lgkmcnt(0)
	v_cndmask_b32_e64 v21, 0, 1, vcc
	v_lshlrev_b32_e32 v21, 5, v21
	v_add_lshl_u32 v61, v21, v44, 2
	ds_bpermute_b32 v21, v61, v24
	ds_bpermute_b32 v44, v61, v25
	;; [unrolled: 1-line block ×3, first 2 shown]
	v_cmp_le_u32_e32 vcc, v62, v9
	s_and_saveexec_b64 s[54:55], vcc
	s_cbranch_execz .LBB118_117
; %bb.116:
	v_mov_b32_e32 v9, 0
	v_cmp_eq_u16_sdwa vcc, v64, v9 src0_sel:BYTE_0 src1_sel:DWORD
	v_and_b32_e32 v9, 1, v64
	s_waitcnt lgkmcnt(1)
	v_cndmask_b32_e32 v67, 0, v44, vcc
	v_cndmask_b32_e32 v66, 0, v21, vcc
	v_cmp_eq_u32_e32 vcc, 1, v9
	s_waitcnt lgkmcnt(0)
	v_and_b32_e32 v9, 1, v20
	v_cmp_eq_u32_e64 s[36:37], 1, v9
	s_or_b64 s[36:37], vcc, s[36:37]
	v_lshl_add_u64 v[24:25], v[66:67], 0, v[24:25]
	v_cndmask_b32_e64 v64, 0, 1, s[36:37]
.LBB118_117:
	s_or_b64 exec, exec, s[54:55]
	v_mov_b32_e32 v9, 0
	v_mov_b32_e32 v63, 2
	s_branch .LBB118_119
.LBB118_118:                            ;   in Loop: Header=BB118_119 Depth=1
	s_or_b64 exec, exec, s[58:59]
	v_cmp_eq_u16_sdwa vcc, v44, v9 src0_sel:BYTE_0 src1_sel:DWORD
	v_and_b32_e32 v64, 1, v44
	v_subrev_u32_e32 v8, 64, v8
	v_cndmask_b32_e32 v25, 0, v25, vcc
	v_cndmask_b32_e32 v24, 0, v24, vcc
	v_cmp_eq_u32_e32 vcc, 1, v64
	s_or_b64 s[36:37], vcc, s[54:55]
	v_lshl_add_u64 v[24:25], v[24:25], 0, v[20:21]
	v_cndmask_b32_e64 v64, 0, 1, s[36:37]
.LBB118_119:                            ; =>This Loop Header: Depth=1
                                        ;     Child Loop BB118_122 Depth 2
                                        ;       Child Loop BB118_123 Depth 3
	v_cmp_ne_u16_sdwa s[36:37], v45, v63 src0_sel:BYTE_0 src1_sel:DWORD
	s_waitcnt lgkmcnt(1)
	v_mov_b32_e32 v44, v64
	s_waitcnt lgkmcnt(0)
	v_cndmask_b32_e64 v20, 0, 1, s[36:37]
	;;#ASMSTART
	;;#ASMEND
	s_nop 0
	v_cmp_ne_u32_e32 vcc, 0, v20
	s_cmp_lg_u64 vcc, exec
	v_mov_b64_e32 v[20:21], v[24:25]
	s_cbranch_scc1 .LBB118_138
; %bb.120:                              ;   in Loop: Header=BB118_119 Depth=1
	global_load_ubyte v45, v8, s[44:45] sc1
	s_waitcnt vmcnt(0)
	v_cmp_eq_u16_e32 vcc, 0, v45
	s_and_saveexec_b64 s[36:37], vcc
	s_cbranch_execz .LBB118_126
; %bb.121:                              ;   in Loop: Header=BB118_119 Depth=1
	v_lshl_add_u64 v[24:25], s[44:45], 0, v[8:9]
	s_mov_b32 s3, 1
	s_mov_b64 s[54:55], 0
.LBB118_122:                            ;   Parent Loop BB118_119 Depth=1
                                        ; =>  This Loop Header: Depth=2
                                        ;       Child Loop BB118_123 Depth 3
	s_max_u32 s47, s3, 1
.LBB118_123:                            ;   Parent Loop BB118_119 Depth=1
                                        ;     Parent Loop BB118_122 Depth=2
                                        ; =>    This Inner Loop Header: Depth=3
	s_add_i32 s47, s47, -1
	s_cmp_eq_u32 s47, 0
	s_sleep 1
	s_cbranch_scc0 .LBB118_123
; %bb.124:                              ;   in Loop: Header=BB118_122 Depth=2
	global_load_ubyte v45, v[24:25], off sc1
	s_cmp_lt_u32 s3, 32
	s_cselect_b64 s[58:59], -1, 0
	s_cmp_lg_u64 s[58:59], 0
	s_addc_u32 s3, s3, 0
	s_waitcnt vmcnt(0)
	v_cmp_ne_u16_e32 vcc, 0, v45
	s_or_b64 s[54:55], vcc, s[54:55]
	s_andn2_b64 exec, exec, s[54:55]
	s_cbranch_execnz .LBB118_122
; %bb.125:                              ;   in Loop: Header=BB118_119 Depth=1
	s_or_b64 exec, exec, s[54:55]
.LBB118_126:                            ;   in Loop: Header=BB118_119 Depth=1
	s_or_b64 exec, exec, s[36:37]
	v_mov_b32_e32 v24, s43
	v_mov_b32_e32 v25, s41
	v_cmp_eq_u16_e32 vcc, 1, v45
	v_mov_b32_e32 v64, s40
	s_waitcnt vmcnt(0)
	v_cndmask_b32_e32 v25, v24, v25, vcc
	v_mov_b32_e32 v24, s42
	v_cndmask_b32_e32 v24, v24, v64, vcc
	v_lshl_add_u64 v[66:67], v[8:9], 4, v[24:25]
	global_load_dword v24, v[66:67], off sc1
	global_load_dword v25, v[66:67], off offset:4 sc1
	global_load_dword v64, v[66:67], off offset:8 sc1
	;; [unrolled: 1-line block ×3, first 2 shown]
	v_cmp_eq_u16_e32 vcc, 2, v45
	s_waitcnt vmcnt(3)
	ds_bpermute_b32 v68, v52, v24
	s_waitcnt vmcnt(0)
	v_and_b32_e32 v65, vcc_hi, v13
	v_and_b32_e32 v66, 0xff, v64
	v_or_b32_e32 v65, 0x80000000, v65
	ds_bpermute_b32 v69, v52, v25
	ds_bpermute_b32 v67, v52, v66
	v_and_b32_e32 v70, vcc_lo, v12
	v_ffbl_b32_e32 v65, v65
	v_add_u32_e32 v65, 32, v65
	v_ffbl_b32_e32 v70, v70
	v_min_u32_e32 v65, v70, v65
	v_cmp_lt_u32_e32 vcc, v51, v65
	s_and_saveexec_b64 s[36:37], vcc
	s_cbranch_execz .LBB118_128
; %bb.127:                              ;   in Loop: Header=BB118_119 Depth=1
	v_cmp_eq_u16_sdwa vcc, v64, v9 src0_sel:BYTE_0 src1_sel:DWORD
	s_waitcnt lgkmcnt(0)
	v_or_b32_e32 v66, v67, v64
	v_and_b32_e32 v64, 1, v66
	v_cndmask_b32_e32 v69, 0, v69, vcc
	v_cndmask_b32_e32 v68, 0, v68, vcc
	v_lshl_add_u64 v[24:25], v[68:69], 0, v[24:25]
	v_and_b32_e32 v66, 1, v66
.LBB118_128:                            ;   in Loop: Header=BB118_119 Depth=1
	s_or_b64 exec, exec, s[36:37]
	s_waitcnt lgkmcnt(2)
	ds_bpermute_b32 v68, v53, v24
	s_waitcnt lgkmcnt(2)
	ds_bpermute_b32 v69, v53, v25
	;; [unrolled: 2-line block ×3, first 2 shown]
	v_and_b32_e32 v70, 1, v64
	v_cmp_le_u32_e32 vcc, v54, v65
	v_cmp_eq_u32_e64 s[54:55], 1, v70
	s_and_saveexec_b64 s[36:37], vcc
	s_cbranch_execz .LBB118_130
; %bb.129:                              ;   in Loop: Header=BB118_119 Depth=1
	v_cmp_eq_u16_sdwa vcc, v64, v9 src0_sel:BYTE_0 src1_sel:DWORD
	s_waitcnt lgkmcnt(0)
	v_and_b32_e32 v64, 1, v67
	v_cndmask_b32_e32 v69, 0, v69, vcc
	v_cndmask_b32_e32 v68, 0, v68, vcc
	v_cmp_eq_u32_e32 vcc, 1, v64
	s_or_b64 s[58:59], s[54:55], vcc
	v_cndmask_b32_e64 v64, 0, 1, s[58:59]
	v_cndmask_b32_e64 v66, 0, 1, s[58:59]
	s_andn2_b64 s[54:55], s[54:55], exec
	s_and_b64 s[58:59], s[58:59], exec
	v_lshl_add_u64 v[24:25], v[68:69], 0, v[24:25]
	s_or_b64 s[54:55], s[54:55], s[58:59]
.LBB118_130:                            ;   in Loop: Header=BB118_119 Depth=1
	s_or_b64 exec, exec, s[36:37]
	s_waitcnt lgkmcnt(2)
	ds_bpermute_b32 v68, v55, v24
	s_waitcnt lgkmcnt(2)
	ds_bpermute_b32 v69, v55, v25
	s_waitcnt lgkmcnt(2)
	ds_bpermute_b32 v67, v55, v66
	v_cmp_le_u32_e32 vcc, v56, v65
	s_and_saveexec_b64 s[58:59], vcc
	s_cbranch_execz .LBB118_132
; %bb.131:                              ;   in Loop: Header=BB118_119 Depth=1
	v_cmp_eq_u16_sdwa vcc, v64, v9 src0_sel:BYTE_0 src1_sel:DWORD
	v_and_b32_e32 v64, 1, v64
	s_andn2_b64 s[54:55], s[54:55], exec
	s_waitcnt lgkmcnt(1)
	v_cndmask_b32_e32 v69, 0, v69, vcc
	v_cndmask_b32_e32 v68, 0, v68, vcc
	v_cmp_eq_u32_e32 vcc, 1, v64
	s_waitcnt lgkmcnt(0)
	v_and_b32_e32 v64, 1, v67
	v_cmp_eq_u32_e64 s[36:37], 1, v64
	s_or_b64 s[36:37], vcc, s[36:37]
	v_lshl_add_u64 v[24:25], v[68:69], 0, v[24:25]
	v_cndmask_b32_e64 v64, 0, 1, s[36:37]
	v_cndmask_b32_e64 v66, 0, 1, s[36:37]
	s_and_b64 s[36:37], s[36:37], exec
	s_or_b64 s[54:55], s[54:55], s[36:37]
.LBB118_132:                            ;   in Loop: Header=BB118_119 Depth=1
	s_or_b64 exec, exec, s[58:59]
	s_waitcnt lgkmcnt(2)
	ds_bpermute_b32 v68, v57, v24
	s_waitcnt lgkmcnt(2)
	ds_bpermute_b32 v69, v57, v25
	s_waitcnt lgkmcnt(2)
	ds_bpermute_b32 v67, v57, v66
	v_cmp_le_u32_e32 vcc, v58, v65
	s_and_saveexec_b64 s[58:59], vcc
	s_cbranch_execz .LBB118_134
; %bb.133:                              ;   in Loop: Header=BB118_119 Depth=1
	v_cmp_eq_u16_sdwa vcc, v64, v9 src0_sel:BYTE_0 src1_sel:DWORD
	v_and_b32_e32 v64, 1, v64
	s_andn2_b64 s[54:55], s[54:55], exec
	s_waitcnt lgkmcnt(1)
	v_cndmask_b32_e32 v69, 0, v69, vcc
	v_cndmask_b32_e32 v68, 0, v68, vcc
	v_cmp_eq_u32_e32 vcc, 1, v64
	s_waitcnt lgkmcnt(0)
	v_and_b32_e32 v64, 1, v67
	v_cmp_eq_u32_e64 s[36:37], 1, v64
	s_or_b64 s[36:37], vcc, s[36:37]
	v_lshl_add_u64 v[24:25], v[68:69], 0, v[24:25]
	v_cndmask_b32_e64 v64, 0, 1, s[36:37]
	v_cndmask_b32_e64 v66, 0, 1, s[36:37]
	s_and_b64 s[36:37], s[36:37], exec
	s_or_b64 s[54:55], s[54:55], s[36:37]
.LBB118_134:                            ;   in Loop: Header=BB118_119 Depth=1
	;; [unrolled: 28-line block ×3, first 2 shown]
	s_or_b64 exec, exec, s[58:59]
	s_waitcnt lgkmcnt(0)
	ds_bpermute_b32 v67, v61, v24
	ds_bpermute_b32 v68, v61, v25
	;; [unrolled: 1-line block ×3, first 2 shown]
	v_cmp_le_u32_e32 vcc, v62, v65
	s_and_saveexec_b64 s[58:59], vcc
	s_cbranch_execz .LBB118_118
; %bb.137:                              ;   in Loop: Header=BB118_119 Depth=1
	v_cmp_eq_u16_sdwa vcc, v64, v9 src0_sel:BYTE_0 src1_sel:DWORD
	v_and_b32_e32 v64, 1, v64
	s_andn2_b64 s[54:55], s[54:55], exec
	s_waitcnt lgkmcnt(1)
	v_cndmask_b32_e32 v69, 0, v68, vcc
	v_cndmask_b32_e32 v68, 0, v67, vcc
	v_cmp_eq_u32_e32 vcc, 1, v64
	s_waitcnt lgkmcnt(0)
	v_and_b32_e32 v64, 1, v66
	v_cmp_eq_u32_e64 s[36:37], 1, v64
	s_or_b64 s[36:37], vcc, s[36:37]
	s_and_b64 s[36:37], s[36:37], exec
	v_lshl_add_u64 v[24:25], v[68:69], 0, v[24:25]
	s_or_b64 s[54:55], s[54:55], s[36:37]
	s_branch .LBB118_118
.LBB118_138:                            ;   in Loop: Header=BB118_119 Depth=1
                                        ; implicit-def: $vgpr64
                                        ; implicit-def: $vgpr24_vgpr25
                                        ; implicit-def: $vgpr45
	s_cbranch_execz .LBB118_119
; %bb.139:
	s_and_saveexec_b64 s[36:37], s[30:31]
	s_cbranch_execz .LBB118_141
; %bb.140:
	s_mov_b32 s3, 0
	v_mov_b32_e32 v12, 0
	s_add_i32 s2, s2, 64
	v_cmp_eq_u32_sdwa vcc, v50, v12 src0_sel:BYTE_0 src1_sel:DWORD
	s_lshl_b64 s[40:41], s[2:3], 4
	v_and_b32_e32 v13, 1, v50
	v_cndmask_b32_e32 v9, 0, v21, vcc
	v_cndmask_b32_e32 v8, 0, v20, vcc
	s_add_u32 s40, s42, s40
	v_lshl_add_u64 v[8:9], v[8:9], 0, v[48:49]
	v_and_b32_e32 v24, 1, v44
	v_cmp_eq_u32_e32 vcc, 1, v13
	s_addc_u32 s41, s43, s41
	s_nop 0
	v_cndmask_b32_e64 v13, v24, 1, vcc
	global_store_dword v12, v8, s[40:41] sc1
	global_store_dword v12, v9, s[40:41] offset:4 sc1
	global_store_dword v12, v13, s[40:41] offset:8 sc1
	;; [unrolled: 1-line block ×3, first 2 shown]
	v_mov_b32_e32 v8, s2
	v_mov_b32_e32 v9, 2
	s_waitcnt vmcnt(0) lgkmcnt(0)
	global_store_byte v8, v9, s[44:45] sc1
.LBB118_141:
	s_or_b64 exec, exec, s[36:37]
	v_cmp_eq_u32_e32 vcc, 0, v0
	s_and_b64 exec, exec, vcc
	s_cbranch_execz .LBB118_143
; %bb.142:
	v_mov_b32_e32 v8, 0
	ds_write_b64 v8, v[20:21] offset:48
	ds_write_b8 v8, v44 offset:56
.LBB118_143:
	s_or_b64 exec, exec, s[48:49]
	s_waitcnt lgkmcnt(0)
	v_cndmask_b32_e64 v8, v41, v36, s[30:31]
	v_mov_b32_e32 v13, 0
	v_cndmask_b32_e64 v9, v40, v5, s[30:31]
	v_cndmask_b32_e64 v12, v37, v4, s[30:31]
	v_cmp_eq_u16_sdwa vcc, v1, v13 src0_sel:BYTE_0 src1_sel:DWORD
	v_and_b32_e32 v20, 1, v1
	v_and_b32_e32 v8, 1, v8
	s_barrier
	ds_read_b64 v[4:5], v13 offset:48
	v_cndmask_b32_e32 v12, 0, v12, vcc
	v_cndmask_b32_e32 v9, 0, v9, vcc
	v_cmp_eq_u32_e32 vcc, 1, v20
	v_cmp_eq_u32_e64 s[2:3], 1, v8
	s_or_b64 s[2:3], vcc, s[2:3]
	v_cmp_eq_u32_e32 vcc, 0, v0
	v_cndmask_b32_e64 v8, 0, 1, s[2:3]
	s_nop 0
	v_cndmask_b32_e32 v20, v8, v1, vcc
	v_cndmask_b32_e64 v9, v9, 0, vcc
	v_cndmask_b32_e64 v8, v12, 0, vcc
	v_cmp_eq_u16_sdwa vcc, v20, v13 src0_sel:BYTE_0 src1_sel:DWORD
	v_lshl_add_u64 v[8:9], v[8:9], 0, v[2:3]
	s_waitcnt lgkmcnt(0)
	v_cndmask_b32_e32 v5, 0, v5, vcc
	v_cndmask_b32_e32 v4, 0, v4, vcc
	v_lshl_add_u64 v[48:49], v[8:9], 0, v[4:5]
	v_cndmask_b32_e64 v5, 0, v49, s[4:5]
	v_cndmask_b32_e64 v4, 0, v48, s[4:5]
	v_lshl_add_u64 v[50:51], v[4:5], 0, v[14:15]
	v_cndmask_b32_e64 v5, 0, v51, s[6:7]
	v_cndmask_b32_e64 v4, 0, v50, s[6:7]
	;; [unrolled: 3-line block ×13, first 2 shown]
	v_lshl_add_u64 v[74:75], v[4:5], 0, v[16:17]
	s_load_dwordx2 s[36:37], s[0:1], 0x20
	s_branch .LBB118_174
.LBB118_144:
                                        ; implicit-def: $vgpr74_vgpr75
                                        ; implicit-def: $vgpr70_vgpr71
                                        ; implicit-def: $vgpr66_vgpr67
                                        ; implicit-def: $vgpr62_vgpr63
                                        ; implicit-def: $vgpr58_vgpr59
                                        ; implicit-def: $vgpr54_vgpr55
                                        ; implicit-def: $vgpr50_vgpr51
	s_load_dwordx2 s[36:37], s[0:1], 0x20
	s_cbranch_execz .LBB118_174
; %bb.145:
	s_cmp_lg_u64 s[56:57], 0
	s_cselect_b32 s3, s51, 0
	s_cselect_b32 s2, s50, 0
	s_cmp_lg_u64 s[2:3], 0
	s_cselect_b64 s[4:5], -1, 0
	v_cmp_eq_u32_e32 vcc, 0, v0
	v_cmp_ne_u32_e64 s[0:1], 0, v0
	s_and_b64 s[6:7], vcc, s[4:5]
	s_and_saveexec_b64 s[4:5], s[6:7]
	s_cbranch_execz .LBB118_147
; %bb.146:
	v_mov_b32_e32 v8, 0
	global_load_dwordx2 v[4:5], v8, s[2:3]
	global_load_ubyte v9, v8, s[2:3] offset:8
	v_cmp_eq_u16_sdwa s[2:3], v1, v8 src0_sel:BYTE_0 src1_sel:DWORD
	s_waitcnt vmcnt(0)
	v_or_b32_e32 v1, v1, v9
	v_cndmask_b32_e64 v5, 0, v5, s[2:3]
	v_cndmask_b32_e64 v4, 0, v4, s[2:3]
	v_lshl_add_u64 v[2:3], v[4:5], 0, v[2:3]
	v_and_b32_e32 v1, 1, v1
.LBB118_147:
	s_or_b64 exec, exec, s[4:5]
	v_mov_b32_e32 v9, 0
	v_cmp_eq_u16_sdwa s[4:5], v82, v9 src0_sel:BYTE_0 src1_sel:DWORD
	v_cmp_eq_u16_sdwa s[6:7], v81, v9 src0_sel:BYTE_0 src1_sel:DWORD
	v_cmp_eq_u16_sdwa s[8:9], v83, v9 src0_sel:BYTE_0 src1_sel:DWORD
	v_cndmask_b32_e64 v5, 0, v3, s[4:5]
	v_cndmask_b32_e64 v4, 0, v2, s[4:5]
	v_lshl_add_u64 v[50:51], v[4:5], 0, v[14:15]
	v_cndmask_b32_e64 v5, 0, v51, s[6:7]
	v_cndmask_b32_e64 v4, 0, v50, s[6:7]
	v_lshl_add_u64 v[52:53], v[4:5], 0, v[6:7]
	v_cndmask_b32_e64 v5, 0, v53, s[8:9]
	v_cndmask_b32_e64 v4, 0, v52, s[8:9]
	v_lshl_add_u64 v[54:55], v[4:5], 0, v[22:23]
	v_cmp_eq_u16_sdwa s[10:11], v84, v9 src0_sel:BYTE_0 src1_sel:DWORD
	v_cmp_eq_u16_sdwa s[12:13], v85, v9 src0_sel:BYTE_0 src1_sel:DWORD
	v_cmp_eq_u16_sdwa s[14:15], v86, v9 src0_sel:BYTE_0 src1_sel:DWORD
	v_cndmask_b32_e64 v5, 0, v55, s[10:11]
	v_cndmask_b32_e64 v4, 0, v54, s[10:11]
	v_lshl_add_u64 v[56:57], v[4:5], 0, v[10:11]
	v_cndmask_b32_e64 v5, 0, v57, s[12:13]
	v_cndmask_b32_e64 v4, 0, v56, s[12:13]
	v_lshl_add_u64 v[58:59], v[4:5], 0, v[30:31]
	v_cndmask_b32_e64 v5, 0, v59, s[14:15]
	v_cndmask_b32_e64 v4, 0, v58, s[14:15]
	v_lshl_add_u64 v[60:61], v[4:5], 0, v[18:19]
	;; [unrolled: 12-line block ×4, first 2 shown]
	v_cmp_eq_u16_sdwa s[28:29], v33, v9 src0_sel:BYTE_0 src1_sel:DWORD
	v_and_b32_e32 v8, 0xff, v1
	v_mbcnt_hi_u32_b32 v12, -1, v28
	v_cndmask_b32_e64 v5, 0, v73, s[28:29]
	v_cndmask_b32_e64 v4, 0, v72, s[28:29]
	v_lshl_add_u64 v[74:75], v[4:5], 0, v[16:17]
	v_or_b32_e32 v4, v29, v90
	v_or_b32_e32 v4, v4, v89
	v_or_b32_e32 v4, v4, v88
	v_or_b32_e32 v4, v4, v87
	v_or_b32_e32 v4, v4, v86
	v_or_b32_e32 v4, v4, v85
	v_or_b32_e32 v4, v4, v84
	v_or_b32_e32 v4, v4, v83
	v_or_b32_e32 v4, v4, v81
	v_or_b32_e32 v4, v4, v82
	v_and_b32_e32 v4, 1, v4
	v_cmp_eq_u32_e64 s[2:3], 1, v4
	v_and_b32_e32 v20, 15, v12
	v_mov_b32_dpp v24, v74 row_shr:1 row_mask:0xf bank_mask:0xf
	v_cndmask_b32_e64 v13, v8, 1, s[2:3]
	v_mov_b32_dpp v25, v75 row_shr:1 row_mask:0xf bank_mask:0xf
	v_cmp_ne_u32_e64 s[2:3], 0, v20
	v_mov_b32_dpp v21, v13 row_shr:1 row_mask:0xf bank_mask:0xf
	v_mov_b64_e32 v[4:5], v[74:75]
	v_mov_b32_e32 v9, v75
	v_mov_b32_e32 v8, v74
	s_and_saveexec_b64 s[30:31], s[2:3]
; %bb.148:
	v_cmp_eq_u32_e64 s[2:3], 0, v13
	v_and_or_b32 v13, v21, 1, v13
	s_nop 0
	v_cndmask_b32_e64 v5, 0, v25, s[2:3]
	v_cndmask_b32_e64 v4, 0, v24, s[2:3]
	v_lshl_add_u64 v[4:5], v[74:75], 0, v[4:5]
	v_mov_b32_e32 v9, v5
	v_mov_b32_e32 v8, v4
; %bb.149:
	s_or_b64 exec, exec, s[30:31]
	s_nop 0
	v_mov_b32_dpp v24, v8 row_shr:2 row_mask:0xf bank_mask:0xf
	v_mov_b32_dpp v25, v9 row_shr:2 row_mask:0xf bank_mask:0xf
	v_mov_b32_dpp v21, v13 row_shr:2 row_mask:0xf bank_mask:0xf
	v_cmp_lt_u32_e64 s[2:3], 1, v20
	s_and_saveexec_b64 s[30:31], s[2:3]
; %bb.150:
	v_cmp_eq_u32_e64 s[2:3], 0, v13
	s_nop 1
	v_cndmask_b32_e64 v9, 0, v25, s[2:3]
	v_cndmask_b32_e64 v8, 0, v24, s[2:3]
	v_lshl_add_u64 v[8:9], v[8:9], 0, v[4:5]
	v_or_b32_e32 v4, v21, v13
	v_and_b32_e32 v13, 1, v4
	v_mov_b64_e32 v[4:5], v[8:9]
; %bb.151:
	s_or_b64 exec, exec, s[30:31]
	v_mov_b32_dpp v24, v8 row_shr:4 row_mask:0xf bank_mask:0xf
	v_mov_b32_dpp v25, v9 row_shr:4 row_mask:0xf bank_mask:0xf
	v_mov_b32_dpp v21, v13 row_shr:4 row_mask:0xf bank_mask:0xf
	v_cmp_lt_u32_e64 s[2:3], 3, v20
	s_and_saveexec_b64 s[30:31], s[2:3]
; %bb.152:
	v_cmp_eq_u32_e64 s[2:3], 0, v13
	s_nop 1
	v_cndmask_b32_e64 v9, 0, v25, s[2:3]
	v_cndmask_b32_e64 v8, 0, v24, s[2:3]
	v_lshl_add_u64 v[8:9], v[8:9], 0, v[4:5]
	v_or_b32_e32 v4, v21, v13
	v_and_b32_e32 v13, 1, v4
	v_mov_b64_e32 v[4:5], v[8:9]
; %bb.153:
	s_or_b64 exec, exec, s[30:31]
	;; [unrolled: 16-line block ×3, first 2 shown]
	v_and_b32_e32 v25, 16, v12
	v_mov_b32_dpp v21, v8 row_bcast:15 row_mask:0xf bank_mask:0xf
	v_mov_b32_dpp v24, v9 row_bcast:15 row_mask:0xf bank_mask:0xf
	;; [unrolled: 1-line block ×3, first 2 shown]
	v_cmp_ne_u32_e64 s[2:3], 0, v25
	s_and_saveexec_b64 s[30:31], s[2:3]
; %bb.156:
	v_cmp_eq_u32_e64 s[2:3], 0, v13
	s_nop 1
	v_cndmask_b32_e64 v9, 0, v24, s[2:3]
	v_cndmask_b32_e64 v8, 0, v21, s[2:3]
	v_lshl_add_u64 v[4:5], v[8:9], 0, v[4:5]
	v_or_b32_e32 v8, v20, v13
	v_and_b32_e32 v13, 1, v8
	v_mov_b32_e32 v9, v5
	v_mov_b32_e32 v8, v4
; %bb.157:
	s_or_b64 exec, exec, s[30:31]
	s_nop 0
	v_mov_b32_dpp v20, v8 row_bcast:31 row_mask:0xf bank_mask:0xf
	v_mov_b32_dpp v21, v9 row_bcast:31 row_mask:0xf bank_mask:0xf
	;; [unrolled: 1-line block ×3, first 2 shown]
	v_cmp_lt_u32_e64 s[2:3], 31, v12
	v_mov_b32_e32 v8, v13
	s_and_saveexec_b64 s[30:31], s[2:3]
; %bb.158:
	v_cmp_eq_u32_e64 s[2:3], 0, v13
	v_or_b32_e32 v9, v9, v13
	v_and_b32_e32 v8, 1, v9
	v_cndmask_b32_e64 v21, 0, v21, s[2:3]
	v_cndmask_b32_e64 v20, 0, v20, s[2:3]
	v_lshl_add_u64 v[4:5], v[20:21], 0, v[4:5]
	v_and_b32_e32 v13, 1, v9
; %bb.159:
	s_or_b64 exec, exec, s[30:31]
	v_or_b32_e32 v9, 63, v0
	v_lshrrev_b32_e32 v20, 6, v0
	v_cmp_eq_u32_e64 s[2:3], v9, v0
	s_and_saveexec_b64 s[30:31], s[2:3]
	s_cbranch_execz .LBB118_161
; %bb.160:
	v_lshlrev_b32_e32 v9, 4, v20
	ds_write_b64 v9, v[4:5]
	ds_write_b8 v9, v8 offset:8
.LBB118_161:
	s_or_b64 exec, exec, s[30:31]
	v_cmp_gt_u32_e64 s[2:3], 4, v0
	s_waitcnt lgkmcnt(0)
	s_barrier
	s_and_saveexec_b64 s[40:41], s[2:3]
	s_cbranch_execz .LBB118_167
; %bb.162:
	v_lshlrev_b32_e32 v21, 4, v0
	ds_read_b64 v[8:9], v21
	ds_read_b32 v24, v21 offset:8
	v_and_b32_e32 v25, 3, v12
	v_cmp_ne_u32_e64 s[2:3], 0, v25
	s_waitcnt lgkmcnt(1)
	v_mov_b32_dpp v36, v8 row_shr:1 row_mask:0xf bank_mask:0xf
	v_mov_b32_dpp v37, v9 row_shr:1 row_mask:0xf bank_mask:0xf
	s_waitcnt lgkmcnt(0)
	v_mov_b32_dpp v33, v24 row_shr:1 row_mask:0xf bank_mask:0xf
	v_mov_b32_e32 v28, v24
	v_mov_b32_e32 v29, v24
	s_and_saveexec_b64 s[30:31], s[2:3]
; %bb.163:
	v_mov_b32_e32 v28, 0
	v_cmp_eq_u16_sdwa s[2:3], v24, v28 src0_sel:BYTE_0 src1_sel:DWORD
	s_nop 1
	v_cndmask_b32_e64 v29, 0, v37, s[2:3]
	v_cndmask_b32_e64 v28, 0, v36, s[2:3]
	v_lshl_add_u64 v[8:9], v[28:29], 0, v[8:9]
	v_or_b32_e32 v29, v33, v24
	v_and_b32_e32 v28, 1, v29
	v_and_b32_e32 v29, 1, v29
	s_movk_i32 s2, 0xff00
	v_and_or_b32 v24, v24, s2, v29
; %bb.164:
	s_or_b64 exec, exec, s[30:31]
	v_mov_b32_dpp v33, v8 row_shr:2 row_mask:0xf bank_mask:0xf
	v_mov_b32_dpp v36, v9 row_shr:2 row_mask:0xf bank_mask:0xf
	;; [unrolled: 1-line block ×3, first 2 shown]
	v_cmp_lt_u32_e64 s[2:3], 1, v25
	s_and_saveexec_b64 s[48:49], s[2:3]
; %bb.165:
	v_mov_b32_e32 v25, 0
	v_cmp_eq_u16_sdwa s[2:3], v29, v25 src0_sel:BYTE_0 src1_sel:DWORD
	v_and_b32_e32 v25, 1, v29
	v_and_b32_e32 v24, 1, v24
	v_cndmask_b32_e64 v37, 0, v36, s[2:3]
	v_cndmask_b32_e64 v36, 0, v33, s[2:3]
	v_cmp_eq_u32_e64 s[2:3], 1, v25
	v_cmp_eq_u32_e64 s[30:31], 1, v24
	s_or_b64 s[2:3], s[2:3], s[30:31]
	v_lshl_add_u64 v[8:9], v[36:37], 0, v[8:9]
	v_cndmask_b32_e64 v28, 0, 1, s[2:3]
; %bb.166:
	s_or_b64 exec, exec, s[48:49]
	ds_write_b64 v21, v[8:9]
	ds_write_b8 v21, v28 offset:8
.LBB118_167:
	s_or_b64 exec, exec, s[40:41]
	v_cmp_lt_u32_e64 s[2:3], 63, v0
	v_mov_b64_e32 v[8:9], 0
	s_waitcnt lgkmcnt(0)
	s_barrier
	s_and_saveexec_b64 s[30:31], s[2:3]
	s_cbranch_execz .LBB118_169
; %bb.168:
	v_lshl_add_u32 v8, v20, 4, -16
	ds_read_b64 v[8:9], v8
	v_cmp_eq_u32_e64 s[2:3], 0, v13
	s_waitcnt lgkmcnt(0)
	s_nop 0
	v_cndmask_b32_e64 v21, 0, v9, s[2:3]
	v_cndmask_b32_e64 v20, 0, v8, s[2:3]
	v_lshl_add_u64 v[4:5], v[20:21], 0, v[4:5]
.LBB118_169:
	s_or_b64 exec, exec, s[30:31]
	v_add_u32_e32 v13, -1, v12
	v_and_b32_e32 v20, 64, v12
	v_cmp_lt_i32_e64 s[2:3], v13, v20
	s_nop 1
	v_cndmask_b32_e64 v13, v13, v12, s[2:3]
	v_lshlrev_b32_e32 v13, 2, v13
	ds_bpermute_b32 v4, v13, v4
	ds_bpermute_b32 v5, v13, v5
	s_and_saveexec_b64 s[2:3], s[0:1]
	s_cbranch_execz .LBB118_171
; %bb.170:
	v_cmp_eq_u32_e64 s[0:1], 0, v12
	;;#ASMSTART
	;;#ASMEND
	s_waitcnt lgkmcnt(1)
	s_nop 0
	v_cndmask_b32_e64 v4, v4, v8, s[0:1]
	v_mov_b32_e32 v8, 0
	s_waitcnt lgkmcnt(0)
	v_cndmask_b32_e64 v5, v5, v9, s[0:1]
	v_cmp_eq_u16_sdwa s[0:1], v1, v8 src0_sel:BYTE_0 src1_sel:DWORD
	s_nop 1
	v_cndmask_b32_e64 v5, 0, v5, s[0:1]
	v_cndmask_b32_e64 v4, 0, v4, s[0:1]
	v_lshl_add_u64 v[2:3], v[4:5], 0, v[2:3]
	v_cndmask_b32_e64 v5, 0, v3, s[4:5]
	v_cndmask_b32_e64 v4, 0, v2, s[4:5]
	v_lshl_add_u64 v[50:51], v[4:5], 0, v[14:15]
	;; [unrolled: 3-line block ×14, first 2 shown]
.LBB118_171:
	s_or_b64 exec, exec, s[2:3]
	s_and_saveexec_b64 s[0:1], vcc
	s_cbranch_execz .LBB118_173
; %bb.172:
	v_mov_b32_e32 v1, 0
	s_waitcnt lgkmcnt(0)
	ds_read_b64 v[4:5], v1 offset:48
	ds_read_u8 v6, v1 offset:56
	s_waitcnt lgkmcnt(1)
	global_store_dword v1, v4, s[42:43] offset:1024 sc1
	global_store_dword v1, v5, s[42:43] offset:1028 sc1
	s_waitcnt lgkmcnt(0)
	global_store_dword v1, v6, s[42:43] offset:1032 sc1
	global_store_dword v1, v1, s[42:43] offset:1036 sc1
	v_mov_b32_e32 v4, 2
	s_waitcnt vmcnt(0)
	global_store_byte v1, v4, s[44:45] offset:64 sc1
.LBB118_173:
	s_or_b64 exec, exec, s[0:1]
	v_mov_b64_e32 v[48:49], v[2:3]
.LBB118_174:
	s_waitcnt lgkmcnt(0)
	s_add_u32 s0, s36, s38
	s_addc_u32 s1, s37, s39
	s_add_u32 s0, s0, s52
	v_mul_u32_u24_e32 v1, 14, v0
	s_addc_u32 s1, s1, s53
	s_and_b64 vcc, exec, s[34:35]
	v_lshlrev_b32_e32 v30, 3, v1
	s_cbranch_vccz .LBB118_202
; %bb.175:
	s_movk_i32 s2, 0xff98
	v_mad_i32_i24 v1, v0, s2, v30
	s_barrier
	ds_write_b128 v30, v[48:51]
	ds_write_b128 v30, v[52:55] offset:16
	ds_write_b128 v30, v[56:59] offset:32
	;; [unrolled: 1-line block ×6, first 2 shown]
	s_waitcnt lgkmcnt(0)
	s_barrier
	ds_read2st64_b64 v[26:29], v1 offset0:4 offset1:8
	ds_read2st64_b64 v[22:25], v1 offset0:12 offset1:16
	;; [unrolled: 1-line block ×6, first 2 shown]
	ds_read_b64 v[4:5], v1 offset:26624
	s_add_i32 s33, s33, s46
	v_mov_b32_e32 v33, 0
	v_lshl_add_u64 v[2:3], s[0:1], 0, v[32:33]
	v_cmp_gt_u32_e32 vcc, s33, v0
	s_and_saveexec_b64 s[2:3], vcc
	s_cbranch_execz .LBB118_177
; %bb.176:
	v_mul_i32_i24_e32 v1, 0xffffff98, v0
	v_add_u32_e32 v1, v30, v1
	ds_read_b64 v[34:35], v1
	s_waitcnt lgkmcnt(0)
	global_store_dwordx2 v[2:3], v[34:35], off
.LBB118_177:
	s_or_b64 exec, exec, s[2:3]
	v_or_b32_e32 v1, 0x100, v0
	v_cmp_gt_u32_e32 vcc, s33, v1
	s_and_saveexec_b64 s[2:3], vcc
	s_cbranch_execz .LBB118_179
; %bb.178:
	s_waitcnt lgkmcnt(6)
	global_store_dwordx2 v[2:3], v[26:27], off offset:2048
.LBB118_179:
	s_or_b64 exec, exec, s[2:3]
	v_or_b32_e32 v1, 0x200, v0
	v_cmp_gt_u32_e32 vcc, s33, v1
	s_and_saveexec_b64 s[2:3], vcc
	s_cbranch_execz .LBB118_181
; %bb.180:
	s_waitcnt lgkmcnt(6)
	v_add_co_u32_e32 v26, vcc, 0x1000, v2
	s_nop 1
	v_addc_co_u32_e32 v27, vcc, 0, v3, vcc
	global_store_dwordx2 v[26:27], v[28:29], off
.LBB118_181:
	s_or_b64 exec, exec, s[2:3]
	v_or_b32_e32 v1, 0x300, v0
	v_cmp_gt_u32_e32 vcc, s33, v1
	s_and_saveexec_b64 s[2:3], vcc
	s_cbranch_execz .LBB118_183
; %bb.182:
	s_waitcnt lgkmcnt(6)
	v_add_co_u32_e32 v26, vcc, 0x1000, v2
	s_nop 1
	v_addc_co_u32_e32 v27, vcc, 0, v3, vcc
	s_waitcnt lgkmcnt(5)
	global_store_dwordx2 v[26:27], v[22:23], off offset:2048
.LBB118_183:
	s_or_b64 exec, exec, s[2:3]
	v_or_b32_e32 v1, 0x400, v0
	v_cmp_gt_u32_e32 vcc, s33, v1
	s_and_saveexec_b64 s[2:3], vcc
	s_cbranch_execz .LBB118_185
; %bb.184:
	s_waitcnt lgkmcnt(5)
	v_add_co_u32_e32 v22, vcc, 0x2000, v2
	s_nop 1
	v_addc_co_u32_e32 v23, vcc, 0, v3, vcc
	global_store_dwordx2 v[22:23], v[24:25], off
.LBB118_185:
	s_or_b64 exec, exec, s[2:3]
	v_or_b32_e32 v1, 0x500, v0
	v_cmp_gt_u32_e32 vcc, s33, v1
	s_and_saveexec_b64 s[2:3], vcc
	s_cbranch_execz .LBB118_187
; %bb.186:
	s_waitcnt lgkmcnt(5)
	v_add_co_u32_e32 v22, vcc, 0x2000, v2
	s_nop 1
	v_addc_co_u32_e32 v23, vcc, 0, v3, vcc
	s_waitcnt lgkmcnt(4)
	global_store_dwordx2 v[22:23], v[18:19], off offset:2048
.LBB118_187:
	;; [unrolled: 25-line block ×5, first 2 shown]
	s_or_b64 exec, exec, s[2:3]
	v_or_b32_e32 v1, 0xc00, v0
	v_cmp_gt_u32_e32 vcc, s33, v1
	s_and_saveexec_b64 s[2:3], vcc
	s_cbranch_execz .LBB118_201
; %bb.200:
	v_add_co_u32_e32 v2, vcc, 0x6000, v2
	s_nop 1
	v_addc_co_u32_e32 v3, vcc, 0, v3, vcc
	s_waitcnt lgkmcnt(1)
	global_store_dwordx2 v[2:3], v[8:9], off
.LBB118_201:
	s_or_b64 exec, exec, s[2:3]
	v_or_b32_e32 v2, 0xd00, v0
	v_mov_b32_e32 v1, v33
	v_cmp_gt_u32_e64 s[2:3], s33, v2
	s_branch .LBB118_204
.LBB118_202:
	s_mov_b64 s[2:3], 0
                                        ; implicit-def: $vgpr4_vgpr5
	s_cbranch_execz .LBB118_204
; %bb.203:
	v_mov_b32_e32 v1, 0
	s_movk_i32 s4, 0xff98
	v_mad_i32_i24 v2, v0, s4, v30
	v_mov_b32_e32 v33, v1
	s_waitcnt lgkmcnt(0)
	s_barrier
	ds_write_b128 v30, v[48:51]
	ds_write_b128 v30, v[52:55] offset:16
	ds_write_b128 v30, v[56:59] offset:32
	;; [unrolled: 1-line block ×6, first 2 shown]
	s_waitcnt lgkmcnt(0)
	s_barrier
	ds_read2st64_b64 v[6:9], v2 offset1:4
	ds_read2st64_b64 v[10:13], v2 offset0:8 offset1:12
	ds_read2st64_b64 v[14:17], v2 offset0:16 offset1:20
	;; [unrolled: 1-line block ×6, first 2 shown]
	v_lshl_add_u64 v[30:31], s[0:1], 0, v[32:33]
	s_movk_i32 s4, 0x1000
	s_waitcnt lgkmcnt(6)
	global_store_dwordx2 v32, v[6:7], s[0:1]
	global_store_dwordx2 v32, v[8:9], s[0:1] offset:2048
	v_add_co_u32_e32 v6, vcc, s4, v30
	s_movk_i32 s4, 0x2000
	s_nop 0
	v_addc_co_u32_e32 v7, vcc, 0, v31, vcc
	v_add_co_u32_e32 v8, vcc, s4, v30
	s_movk_i32 s4, 0x3000
	s_nop 0
	v_addc_co_u32_e32 v9, vcc, 0, v31, vcc
	s_waitcnt lgkmcnt(5)
	global_store_dwordx2 v[8:9], v[10:11], off offset:-4096
	global_store_dwordx2 v[6:7], v[12:13], off offset:2048
	s_waitcnt lgkmcnt(4)
	global_store_dwordx2 v[8:9], v[14:15], off
	global_store_dwordx2 v[8:9], v[16:17], off offset:2048
	v_add_co_u32_e32 v6, vcc, s4, v30
	s_movk_i32 s4, 0x4000
	s_nop 0
	v_addc_co_u32_e32 v7, vcc, 0, v31, vcc
	v_add_co_u32_e32 v8, vcc, s4, v30
	s_or_b64 s[2:3], s[2:3], exec
	s_nop 0
	v_addc_co_u32_e32 v9, vcc, 0, v31, vcc
	s_waitcnt lgkmcnt(3)
	global_store_dwordx2 v[8:9], v[18:19], off offset:-4096
	global_store_dwordx2 v[6:7], v[20:21], off offset:2048
	s_waitcnt lgkmcnt(2)
	global_store_dwordx2 v[8:9], v[22:23], off
	global_store_dwordx2 v[8:9], v[24:25], off offset:2048
	v_add_co_u32_e32 v6, vcc, 0x5000, v30
	s_nop 1
	v_addc_co_u32_e32 v7, vcc, 0, v31, vcc
	s_waitcnt lgkmcnt(1)
	global_store_dwordx2 v[6:7], v[26:27], off
	global_store_dwordx2 v[6:7], v[28:29], off offset:2048
	v_add_co_u32_e32 v6, vcc, 0x6000, v30
	s_nop 1
	v_addc_co_u32_e32 v7, vcc, 0, v31, vcc
	s_waitcnt lgkmcnt(0)
	global_store_dwordx2 v[6:7], v[2:3], off
.LBB118_204:
	s_and_saveexec_b64 s[4:5], s[2:3]
	s_cbranch_execnz .LBB118_206
; %bb.205:
	s_endpgm
.LBB118_206:
	v_lshl_add_u64 v[0:1], v[0:1], 3, s[0:1]
	v_add_co_u32_e32 v0, vcc, 0x6000, v0
	s_nop 1
	v_addc_co_u32_e32 v1, vcc, 0, v1, vcc
	s_waitcnt lgkmcnt(0)
	global_store_dwordx2 v[0:1], v[4:5], off offset:2048
	s_endpgm
.LBB118_207:
                                        ; implicit-def: $sgpr4_sgpr5
	s_branch .LBB118_32
.LBB118_208:
                                        ; implicit-def: $sgpr4_sgpr5
	s_branch .LBB118_66
	.section	.rodata,"a",@progbits
	.p2align	6, 0x0
	.amdhsa_kernel _ZN7rocprim17ROCPRIM_400000_NS6detail17trampoline_kernelINS0_14default_configENS1_27scan_by_key_config_selectorIllEEZZNS1_16scan_by_key_implILNS1_25lookback_scan_determinismE0ELb0ES3_PKlN6hipcub16HIPCUB_304000_NS21ConstantInputIteratorIllEEPllNSB_3SumENSB_8EqualityElEE10hipError_tPvRmT2_T3_T4_T5_mT6_T7_P12ihipStream_tbENKUlT_T0_E_clISt17integral_constantIbLb1EESW_IbLb0EEEEDaSS_ST_EUlSS_E_NS1_11comp_targetILNS1_3genE5ELNS1_11target_archE942ELNS1_3gpuE9ELNS1_3repE0EEENS1_30default_config_static_selectorELNS0_4arch9wavefront6targetE1EEEvT1_
		.amdhsa_group_segment_fixed_size 32768
		.amdhsa_private_segment_fixed_size 0
		.amdhsa_kernarg_size 144
		.amdhsa_user_sgpr_count 2
		.amdhsa_user_sgpr_dispatch_ptr 0
		.amdhsa_user_sgpr_queue_ptr 0
		.amdhsa_user_sgpr_kernarg_segment_ptr 1
		.amdhsa_user_sgpr_dispatch_id 0
		.amdhsa_user_sgpr_kernarg_preload_length 0
		.amdhsa_user_sgpr_kernarg_preload_offset 0
		.amdhsa_user_sgpr_private_segment_size 0
		.amdhsa_uses_dynamic_stack 0
		.amdhsa_enable_private_segment 0
		.amdhsa_system_sgpr_workgroup_id_x 1
		.amdhsa_system_sgpr_workgroup_id_y 0
		.amdhsa_system_sgpr_workgroup_id_z 0
		.amdhsa_system_sgpr_workgroup_info 0
		.amdhsa_system_vgpr_workitem_id 0
		.amdhsa_next_free_vgpr 92
		.amdhsa_next_free_sgpr 66
		.amdhsa_accum_offset 92
		.amdhsa_reserve_vcc 1
		.amdhsa_float_round_mode_32 0
		.amdhsa_float_round_mode_16_64 0
		.amdhsa_float_denorm_mode_32 3
		.amdhsa_float_denorm_mode_16_64 3
		.amdhsa_dx10_clamp 1
		.amdhsa_ieee_mode 1
		.amdhsa_fp16_overflow 0
		.amdhsa_tg_split 0
		.amdhsa_exception_fp_ieee_invalid_op 0
		.amdhsa_exception_fp_denorm_src 0
		.amdhsa_exception_fp_ieee_div_zero 0
		.amdhsa_exception_fp_ieee_overflow 0
		.amdhsa_exception_fp_ieee_underflow 0
		.amdhsa_exception_fp_ieee_inexact 0
		.amdhsa_exception_int_div_zero 0
	.end_amdhsa_kernel
	.section	.text._ZN7rocprim17ROCPRIM_400000_NS6detail17trampoline_kernelINS0_14default_configENS1_27scan_by_key_config_selectorIllEEZZNS1_16scan_by_key_implILNS1_25lookback_scan_determinismE0ELb0ES3_PKlN6hipcub16HIPCUB_304000_NS21ConstantInputIteratorIllEEPllNSB_3SumENSB_8EqualityElEE10hipError_tPvRmT2_T3_T4_T5_mT6_T7_P12ihipStream_tbENKUlT_T0_E_clISt17integral_constantIbLb1EESW_IbLb0EEEEDaSS_ST_EUlSS_E_NS1_11comp_targetILNS1_3genE5ELNS1_11target_archE942ELNS1_3gpuE9ELNS1_3repE0EEENS1_30default_config_static_selectorELNS0_4arch9wavefront6targetE1EEEvT1_,"axG",@progbits,_ZN7rocprim17ROCPRIM_400000_NS6detail17trampoline_kernelINS0_14default_configENS1_27scan_by_key_config_selectorIllEEZZNS1_16scan_by_key_implILNS1_25lookback_scan_determinismE0ELb0ES3_PKlN6hipcub16HIPCUB_304000_NS21ConstantInputIteratorIllEEPllNSB_3SumENSB_8EqualityElEE10hipError_tPvRmT2_T3_T4_T5_mT6_T7_P12ihipStream_tbENKUlT_T0_E_clISt17integral_constantIbLb1EESW_IbLb0EEEEDaSS_ST_EUlSS_E_NS1_11comp_targetILNS1_3genE5ELNS1_11target_archE942ELNS1_3gpuE9ELNS1_3repE0EEENS1_30default_config_static_selectorELNS0_4arch9wavefront6targetE1EEEvT1_,comdat
.Lfunc_end118:
	.size	_ZN7rocprim17ROCPRIM_400000_NS6detail17trampoline_kernelINS0_14default_configENS1_27scan_by_key_config_selectorIllEEZZNS1_16scan_by_key_implILNS1_25lookback_scan_determinismE0ELb0ES3_PKlN6hipcub16HIPCUB_304000_NS21ConstantInputIteratorIllEEPllNSB_3SumENSB_8EqualityElEE10hipError_tPvRmT2_T3_T4_T5_mT6_T7_P12ihipStream_tbENKUlT_T0_E_clISt17integral_constantIbLb1EESW_IbLb0EEEEDaSS_ST_EUlSS_E_NS1_11comp_targetILNS1_3genE5ELNS1_11target_archE942ELNS1_3gpuE9ELNS1_3repE0EEENS1_30default_config_static_selectorELNS0_4arch9wavefront6targetE1EEEvT1_, .Lfunc_end118-_ZN7rocprim17ROCPRIM_400000_NS6detail17trampoline_kernelINS0_14default_configENS1_27scan_by_key_config_selectorIllEEZZNS1_16scan_by_key_implILNS1_25lookback_scan_determinismE0ELb0ES3_PKlN6hipcub16HIPCUB_304000_NS21ConstantInputIteratorIllEEPllNSB_3SumENSB_8EqualityElEE10hipError_tPvRmT2_T3_T4_T5_mT6_T7_P12ihipStream_tbENKUlT_T0_E_clISt17integral_constantIbLb1EESW_IbLb0EEEEDaSS_ST_EUlSS_E_NS1_11comp_targetILNS1_3genE5ELNS1_11target_archE942ELNS1_3gpuE9ELNS1_3repE0EEENS1_30default_config_static_selectorELNS0_4arch9wavefront6targetE1EEEvT1_
                                        ; -- End function
	.section	.AMDGPU.csdata,"",@progbits
; Kernel info:
; codeLenInByte = 11448
; NumSgprs: 72
; NumVgprs: 92
; NumAgprs: 0
; TotalNumVgprs: 92
; ScratchSize: 0
; MemoryBound: 0
; FloatMode: 240
; IeeeMode: 1
; LDSByteSize: 32768 bytes/workgroup (compile time only)
; SGPRBlocks: 8
; VGPRBlocks: 11
; NumSGPRsForWavesPerEU: 72
; NumVGPRsForWavesPerEU: 92
; AccumOffset: 92
; Occupancy: 2
; WaveLimiterHint : 1
; COMPUTE_PGM_RSRC2:SCRATCH_EN: 0
; COMPUTE_PGM_RSRC2:USER_SGPR: 2
; COMPUTE_PGM_RSRC2:TRAP_HANDLER: 0
; COMPUTE_PGM_RSRC2:TGID_X_EN: 1
; COMPUTE_PGM_RSRC2:TGID_Y_EN: 0
; COMPUTE_PGM_RSRC2:TGID_Z_EN: 0
; COMPUTE_PGM_RSRC2:TIDIG_COMP_CNT: 0
; COMPUTE_PGM_RSRC3_GFX90A:ACCUM_OFFSET: 22
; COMPUTE_PGM_RSRC3_GFX90A:TG_SPLIT: 0
	.section	.text._ZN7rocprim17ROCPRIM_400000_NS6detail17trampoline_kernelINS0_14default_configENS1_27scan_by_key_config_selectorIllEEZZNS1_16scan_by_key_implILNS1_25lookback_scan_determinismE0ELb0ES3_PKlN6hipcub16HIPCUB_304000_NS21ConstantInputIteratorIllEEPllNSB_3SumENSB_8EqualityElEE10hipError_tPvRmT2_T3_T4_T5_mT6_T7_P12ihipStream_tbENKUlT_T0_E_clISt17integral_constantIbLb1EESW_IbLb0EEEEDaSS_ST_EUlSS_E_NS1_11comp_targetILNS1_3genE4ELNS1_11target_archE910ELNS1_3gpuE8ELNS1_3repE0EEENS1_30default_config_static_selectorELNS0_4arch9wavefront6targetE1EEEvT1_,"axG",@progbits,_ZN7rocprim17ROCPRIM_400000_NS6detail17trampoline_kernelINS0_14default_configENS1_27scan_by_key_config_selectorIllEEZZNS1_16scan_by_key_implILNS1_25lookback_scan_determinismE0ELb0ES3_PKlN6hipcub16HIPCUB_304000_NS21ConstantInputIteratorIllEEPllNSB_3SumENSB_8EqualityElEE10hipError_tPvRmT2_T3_T4_T5_mT6_T7_P12ihipStream_tbENKUlT_T0_E_clISt17integral_constantIbLb1EESW_IbLb0EEEEDaSS_ST_EUlSS_E_NS1_11comp_targetILNS1_3genE4ELNS1_11target_archE910ELNS1_3gpuE8ELNS1_3repE0EEENS1_30default_config_static_selectorELNS0_4arch9wavefront6targetE1EEEvT1_,comdat
	.protected	_ZN7rocprim17ROCPRIM_400000_NS6detail17trampoline_kernelINS0_14default_configENS1_27scan_by_key_config_selectorIllEEZZNS1_16scan_by_key_implILNS1_25lookback_scan_determinismE0ELb0ES3_PKlN6hipcub16HIPCUB_304000_NS21ConstantInputIteratorIllEEPllNSB_3SumENSB_8EqualityElEE10hipError_tPvRmT2_T3_T4_T5_mT6_T7_P12ihipStream_tbENKUlT_T0_E_clISt17integral_constantIbLb1EESW_IbLb0EEEEDaSS_ST_EUlSS_E_NS1_11comp_targetILNS1_3genE4ELNS1_11target_archE910ELNS1_3gpuE8ELNS1_3repE0EEENS1_30default_config_static_selectorELNS0_4arch9wavefront6targetE1EEEvT1_ ; -- Begin function _ZN7rocprim17ROCPRIM_400000_NS6detail17trampoline_kernelINS0_14default_configENS1_27scan_by_key_config_selectorIllEEZZNS1_16scan_by_key_implILNS1_25lookback_scan_determinismE0ELb0ES3_PKlN6hipcub16HIPCUB_304000_NS21ConstantInputIteratorIllEEPllNSB_3SumENSB_8EqualityElEE10hipError_tPvRmT2_T3_T4_T5_mT6_T7_P12ihipStream_tbENKUlT_T0_E_clISt17integral_constantIbLb1EESW_IbLb0EEEEDaSS_ST_EUlSS_E_NS1_11comp_targetILNS1_3genE4ELNS1_11target_archE910ELNS1_3gpuE8ELNS1_3repE0EEENS1_30default_config_static_selectorELNS0_4arch9wavefront6targetE1EEEvT1_
	.globl	_ZN7rocprim17ROCPRIM_400000_NS6detail17trampoline_kernelINS0_14default_configENS1_27scan_by_key_config_selectorIllEEZZNS1_16scan_by_key_implILNS1_25lookback_scan_determinismE0ELb0ES3_PKlN6hipcub16HIPCUB_304000_NS21ConstantInputIteratorIllEEPllNSB_3SumENSB_8EqualityElEE10hipError_tPvRmT2_T3_T4_T5_mT6_T7_P12ihipStream_tbENKUlT_T0_E_clISt17integral_constantIbLb1EESW_IbLb0EEEEDaSS_ST_EUlSS_E_NS1_11comp_targetILNS1_3genE4ELNS1_11target_archE910ELNS1_3gpuE8ELNS1_3repE0EEENS1_30default_config_static_selectorELNS0_4arch9wavefront6targetE1EEEvT1_
	.p2align	8
	.type	_ZN7rocprim17ROCPRIM_400000_NS6detail17trampoline_kernelINS0_14default_configENS1_27scan_by_key_config_selectorIllEEZZNS1_16scan_by_key_implILNS1_25lookback_scan_determinismE0ELb0ES3_PKlN6hipcub16HIPCUB_304000_NS21ConstantInputIteratorIllEEPllNSB_3SumENSB_8EqualityElEE10hipError_tPvRmT2_T3_T4_T5_mT6_T7_P12ihipStream_tbENKUlT_T0_E_clISt17integral_constantIbLb1EESW_IbLb0EEEEDaSS_ST_EUlSS_E_NS1_11comp_targetILNS1_3genE4ELNS1_11target_archE910ELNS1_3gpuE8ELNS1_3repE0EEENS1_30default_config_static_selectorELNS0_4arch9wavefront6targetE1EEEvT1_,@function
_ZN7rocprim17ROCPRIM_400000_NS6detail17trampoline_kernelINS0_14default_configENS1_27scan_by_key_config_selectorIllEEZZNS1_16scan_by_key_implILNS1_25lookback_scan_determinismE0ELb0ES3_PKlN6hipcub16HIPCUB_304000_NS21ConstantInputIteratorIllEEPllNSB_3SumENSB_8EqualityElEE10hipError_tPvRmT2_T3_T4_T5_mT6_T7_P12ihipStream_tbENKUlT_T0_E_clISt17integral_constantIbLb1EESW_IbLb0EEEEDaSS_ST_EUlSS_E_NS1_11comp_targetILNS1_3genE4ELNS1_11target_archE910ELNS1_3gpuE8ELNS1_3repE0EEENS1_30default_config_static_selectorELNS0_4arch9wavefront6targetE1EEEvT1_: ; @_ZN7rocprim17ROCPRIM_400000_NS6detail17trampoline_kernelINS0_14default_configENS1_27scan_by_key_config_selectorIllEEZZNS1_16scan_by_key_implILNS1_25lookback_scan_determinismE0ELb0ES3_PKlN6hipcub16HIPCUB_304000_NS21ConstantInputIteratorIllEEPllNSB_3SumENSB_8EqualityElEE10hipError_tPvRmT2_T3_T4_T5_mT6_T7_P12ihipStream_tbENKUlT_T0_E_clISt17integral_constantIbLb1EESW_IbLb0EEEEDaSS_ST_EUlSS_E_NS1_11comp_targetILNS1_3genE4ELNS1_11target_archE910ELNS1_3gpuE8ELNS1_3repE0EEENS1_30default_config_static_selectorELNS0_4arch9wavefront6targetE1EEEvT1_
; %bb.0:
	.section	.rodata,"a",@progbits
	.p2align	6, 0x0
	.amdhsa_kernel _ZN7rocprim17ROCPRIM_400000_NS6detail17trampoline_kernelINS0_14default_configENS1_27scan_by_key_config_selectorIllEEZZNS1_16scan_by_key_implILNS1_25lookback_scan_determinismE0ELb0ES3_PKlN6hipcub16HIPCUB_304000_NS21ConstantInputIteratorIllEEPllNSB_3SumENSB_8EqualityElEE10hipError_tPvRmT2_T3_T4_T5_mT6_T7_P12ihipStream_tbENKUlT_T0_E_clISt17integral_constantIbLb1EESW_IbLb0EEEEDaSS_ST_EUlSS_E_NS1_11comp_targetILNS1_3genE4ELNS1_11target_archE910ELNS1_3gpuE8ELNS1_3repE0EEENS1_30default_config_static_selectorELNS0_4arch9wavefront6targetE1EEEvT1_
		.amdhsa_group_segment_fixed_size 0
		.amdhsa_private_segment_fixed_size 0
		.amdhsa_kernarg_size 144
		.amdhsa_user_sgpr_count 2
		.amdhsa_user_sgpr_dispatch_ptr 0
		.amdhsa_user_sgpr_queue_ptr 0
		.amdhsa_user_sgpr_kernarg_segment_ptr 1
		.amdhsa_user_sgpr_dispatch_id 0
		.amdhsa_user_sgpr_kernarg_preload_length 0
		.amdhsa_user_sgpr_kernarg_preload_offset 0
		.amdhsa_user_sgpr_private_segment_size 0
		.amdhsa_uses_dynamic_stack 0
		.amdhsa_enable_private_segment 0
		.amdhsa_system_sgpr_workgroup_id_x 1
		.amdhsa_system_sgpr_workgroup_id_y 0
		.amdhsa_system_sgpr_workgroup_id_z 0
		.amdhsa_system_sgpr_workgroup_info 0
		.amdhsa_system_vgpr_workitem_id 0
		.amdhsa_next_free_vgpr 1
		.amdhsa_next_free_sgpr 0
		.amdhsa_accum_offset 4
		.amdhsa_reserve_vcc 0
		.amdhsa_float_round_mode_32 0
		.amdhsa_float_round_mode_16_64 0
		.amdhsa_float_denorm_mode_32 3
		.amdhsa_float_denorm_mode_16_64 3
		.amdhsa_dx10_clamp 1
		.amdhsa_ieee_mode 1
		.amdhsa_fp16_overflow 0
		.amdhsa_tg_split 0
		.amdhsa_exception_fp_ieee_invalid_op 0
		.amdhsa_exception_fp_denorm_src 0
		.amdhsa_exception_fp_ieee_div_zero 0
		.amdhsa_exception_fp_ieee_overflow 0
		.amdhsa_exception_fp_ieee_underflow 0
		.amdhsa_exception_fp_ieee_inexact 0
		.amdhsa_exception_int_div_zero 0
	.end_amdhsa_kernel
	.section	.text._ZN7rocprim17ROCPRIM_400000_NS6detail17trampoline_kernelINS0_14default_configENS1_27scan_by_key_config_selectorIllEEZZNS1_16scan_by_key_implILNS1_25lookback_scan_determinismE0ELb0ES3_PKlN6hipcub16HIPCUB_304000_NS21ConstantInputIteratorIllEEPllNSB_3SumENSB_8EqualityElEE10hipError_tPvRmT2_T3_T4_T5_mT6_T7_P12ihipStream_tbENKUlT_T0_E_clISt17integral_constantIbLb1EESW_IbLb0EEEEDaSS_ST_EUlSS_E_NS1_11comp_targetILNS1_3genE4ELNS1_11target_archE910ELNS1_3gpuE8ELNS1_3repE0EEENS1_30default_config_static_selectorELNS0_4arch9wavefront6targetE1EEEvT1_,"axG",@progbits,_ZN7rocprim17ROCPRIM_400000_NS6detail17trampoline_kernelINS0_14default_configENS1_27scan_by_key_config_selectorIllEEZZNS1_16scan_by_key_implILNS1_25lookback_scan_determinismE0ELb0ES3_PKlN6hipcub16HIPCUB_304000_NS21ConstantInputIteratorIllEEPllNSB_3SumENSB_8EqualityElEE10hipError_tPvRmT2_T3_T4_T5_mT6_T7_P12ihipStream_tbENKUlT_T0_E_clISt17integral_constantIbLb1EESW_IbLb0EEEEDaSS_ST_EUlSS_E_NS1_11comp_targetILNS1_3genE4ELNS1_11target_archE910ELNS1_3gpuE8ELNS1_3repE0EEENS1_30default_config_static_selectorELNS0_4arch9wavefront6targetE1EEEvT1_,comdat
.Lfunc_end119:
	.size	_ZN7rocprim17ROCPRIM_400000_NS6detail17trampoline_kernelINS0_14default_configENS1_27scan_by_key_config_selectorIllEEZZNS1_16scan_by_key_implILNS1_25lookback_scan_determinismE0ELb0ES3_PKlN6hipcub16HIPCUB_304000_NS21ConstantInputIteratorIllEEPllNSB_3SumENSB_8EqualityElEE10hipError_tPvRmT2_T3_T4_T5_mT6_T7_P12ihipStream_tbENKUlT_T0_E_clISt17integral_constantIbLb1EESW_IbLb0EEEEDaSS_ST_EUlSS_E_NS1_11comp_targetILNS1_3genE4ELNS1_11target_archE910ELNS1_3gpuE8ELNS1_3repE0EEENS1_30default_config_static_selectorELNS0_4arch9wavefront6targetE1EEEvT1_, .Lfunc_end119-_ZN7rocprim17ROCPRIM_400000_NS6detail17trampoline_kernelINS0_14default_configENS1_27scan_by_key_config_selectorIllEEZZNS1_16scan_by_key_implILNS1_25lookback_scan_determinismE0ELb0ES3_PKlN6hipcub16HIPCUB_304000_NS21ConstantInputIteratorIllEEPllNSB_3SumENSB_8EqualityElEE10hipError_tPvRmT2_T3_T4_T5_mT6_T7_P12ihipStream_tbENKUlT_T0_E_clISt17integral_constantIbLb1EESW_IbLb0EEEEDaSS_ST_EUlSS_E_NS1_11comp_targetILNS1_3genE4ELNS1_11target_archE910ELNS1_3gpuE8ELNS1_3repE0EEENS1_30default_config_static_selectorELNS0_4arch9wavefront6targetE1EEEvT1_
                                        ; -- End function
	.section	.AMDGPU.csdata,"",@progbits
; Kernel info:
; codeLenInByte = 0
; NumSgprs: 6
; NumVgprs: 0
; NumAgprs: 0
; TotalNumVgprs: 0
; ScratchSize: 0
; MemoryBound: 0
; FloatMode: 240
; IeeeMode: 1
; LDSByteSize: 0 bytes/workgroup (compile time only)
; SGPRBlocks: 0
; VGPRBlocks: 0
; NumSGPRsForWavesPerEU: 6
; NumVGPRsForWavesPerEU: 1
; AccumOffset: 4
; Occupancy: 8
; WaveLimiterHint : 0
; COMPUTE_PGM_RSRC2:SCRATCH_EN: 0
; COMPUTE_PGM_RSRC2:USER_SGPR: 2
; COMPUTE_PGM_RSRC2:TRAP_HANDLER: 0
; COMPUTE_PGM_RSRC2:TGID_X_EN: 1
; COMPUTE_PGM_RSRC2:TGID_Y_EN: 0
; COMPUTE_PGM_RSRC2:TGID_Z_EN: 0
; COMPUTE_PGM_RSRC2:TIDIG_COMP_CNT: 0
; COMPUTE_PGM_RSRC3_GFX90A:ACCUM_OFFSET: 0
; COMPUTE_PGM_RSRC3_GFX90A:TG_SPLIT: 0
	.section	.text._ZN7rocprim17ROCPRIM_400000_NS6detail17trampoline_kernelINS0_14default_configENS1_27scan_by_key_config_selectorIllEEZZNS1_16scan_by_key_implILNS1_25lookback_scan_determinismE0ELb0ES3_PKlN6hipcub16HIPCUB_304000_NS21ConstantInputIteratorIllEEPllNSB_3SumENSB_8EqualityElEE10hipError_tPvRmT2_T3_T4_T5_mT6_T7_P12ihipStream_tbENKUlT_T0_E_clISt17integral_constantIbLb1EESW_IbLb0EEEEDaSS_ST_EUlSS_E_NS1_11comp_targetILNS1_3genE3ELNS1_11target_archE908ELNS1_3gpuE7ELNS1_3repE0EEENS1_30default_config_static_selectorELNS0_4arch9wavefront6targetE1EEEvT1_,"axG",@progbits,_ZN7rocprim17ROCPRIM_400000_NS6detail17trampoline_kernelINS0_14default_configENS1_27scan_by_key_config_selectorIllEEZZNS1_16scan_by_key_implILNS1_25lookback_scan_determinismE0ELb0ES3_PKlN6hipcub16HIPCUB_304000_NS21ConstantInputIteratorIllEEPllNSB_3SumENSB_8EqualityElEE10hipError_tPvRmT2_T3_T4_T5_mT6_T7_P12ihipStream_tbENKUlT_T0_E_clISt17integral_constantIbLb1EESW_IbLb0EEEEDaSS_ST_EUlSS_E_NS1_11comp_targetILNS1_3genE3ELNS1_11target_archE908ELNS1_3gpuE7ELNS1_3repE0EEENS1_30default_config_static_selectorELNS0_4arch9wavefront6targetE1EEEvT1_,comdat
	.protected	_ZN7rocprim17ROCPRIM_400000_NS6detail17trampoline_kernelINS0_14default_configENS1_27scan_by_key_config_selectorIllEEZZNS1_16scan_by_key_implILNS1_25lookback_scan_determinismE0ELb0ES3_PKlN6hipcub16HIPCUB_304000_NS21ConstantInputIteratorIllEEPllNSB_3SumENSB_8EqualityElEE10hipError_tPvRmT2_T3_T4_T5_mT6_T7_P12ihipStream_tbENKUlT_T0_E_clISt17integral_constantIbLb1EESW_IbLb0EEEEDaSS_ST_EUlSS_E_NS1_11comp_targetILNS1_3genE3ELNS1_11target_archE908ELNS1_3gpuE7ELNS1_3repE0EEENS1_30default_config_static_selectorELNS0_4arch9wavefront6targetE1EEEvT1_ ; -- Begin function _ZN7rocprim17ROCPRIM_400000_NS6detail17trampoline_kernelINS0_14default_configENS1_27scan_by_key_config_selectorIllEEZZNS1_16scan_by_key_implILNS1_25lookback_scan_determinismE0ELb0ES3_PKlN6hipcub16HIPCUB_304000_NS21ConstantInputIteratorIllEEPllNSB_3SumENSB_8EqualityElEE10hipError_tPvRmT2_T3_T4_T5_mT6_T7_P12ihipStream_tbENKUlT_T0_E_clISt17integral_constantIbLb1EESW_IbLb0EEEEDaSS_ST_EUlSS_E_NS1_11comp_targetILNS1_3genE3ELNS1_11target_archE908ELNS1_3gpuE7ELNS1_3repE0EEENS1_30default_config_static_selectorELNS0_4arch9wavefront6targetE1EEEvT1_
	.globl	_ZN7rocprim17ROCPRIM_400000_NS6detail17trampoline_kernelINS0_14default_configENS1_27scan_by_key_config_selectorIllEEZZNS1_16scan_by_key_implILNS1_25lookback_scan_determinismE0ELb0ES3_PKlN6hipcub16HIPCUB_304000_NS21ConstantInputIteratorIllEEPllNSB_3SumENSB_8EqualityElEE10hipError_tPvRmT2_T3_T4_T5_mT6_T7_P12ihipStream_tbENKUlT_T0_E_clISt17integral_constantIbLb1EESW_IbLb0EEEEDaSS_ST_EUlSS_E_NS1_11comp_targetILNS1_3genE3ELNS1_11target_archE908ELNS1_3gpuE7ELNS1_3repE0EEENS1_30default_config_static_selectorELNS0_4arch9wavefront6targetE1EEEvT1_
	.p2align	8
	.type	_ZN7rocprim17ROCPRIM_400000_NS6detail17trampoline_kernelINS0_14default_configENS1_27scan_by_key_config_selectorIllEEZZNS1_16scan_by_key_implILNS1_25lookback_scan_determinismE0ELb0ES3_PKlN6hipcub16HIPCUB_304000_NS21ConstantInputIteratorIllEEPllNSB_3SumENSB_8EqualityElEE10hipError_tPvRmT2_T3_T4_T5_mT6_T7_P12ihipStream_tbENKUlT_T0_E_clISt17integral_constantIbLb1EESW_IbLb0EEEEDaSS_ST_EUlSS_E_NS1_11comp_targetILNS1_3genE3ELNS1_11target_archE908ELNS1_3gpuE7ELNS1_3repE0EEENS1_30default_config_static_selectorELNS0_4arch9wavefront6targetE1EEEvT1_,@function
_ZN7rocprim17ROCPRIM_400000_NS6detail17trampoline_kernelINS0_14default_configENS1_27scan_by_key_config_selectorIllEEZZNS1_16scan_by_key_implILNS1_25lookback_scan_determinismE0ELb0ES3_PKlN6hipcub16HIPCUB_304000_NS21ConstantInputIteratorIllEEPllNSB_3SumENSB_8EqualityElEE10hipError_tPvRmT2_T3_T4_T5_mT6_T7_P12ihipStream_tbENKUlT_T0_E_clISt17integral_constantIbLb1EESW_IbLb0EEEEDaSS_ST_EUlSS_E_NS1_11comp_targetILNS1_3genE3ELNS1_11target_archE908ELNS1_3gpuE7ELNS1_3repE0EEENS1_30default_config_static_selectorELNS0_4arch9wavefront6targetE1EEEvT1_: ; @_ZN7rocprim17ROCPRIM_400000_NS6detail17trampoline_kernelINS0_14default_configENS1_27scan_by_key_config_selectorIllEEZZNS1_16scan_by_key_implILNS1_25lookback_scan_determinismE0ELb0ES3_PKlN6hipcub16HIPCUB_304000_NS21ConstantInputIteratorIllEEPllNSB_3SumENSB_8EqualityElEE10hipError_tPvRmT2_T3_T4_T5_mT6_T7_P12ihipStream_tbENKUlT_T0_E_clISt17integral_constantIbLb1EESW_IbLb0EEEEDaSS_ST_EUlSS_E_NS1_11comp_targetILNS1_3genE3ELNS1_11target_archE908ELNS1_3gpuE7ELNS1_3repE0EEENS1_30default_config_static_selectorELNS0_4arch9wavefront6targetE1EEEvT1_
; %bb.0:
	.section	.rodata,"a",@progbits
	.p2align	6, 0x0
	.amdhsa_kernel _ZN7rocprim17ROCPRIM_400000_NS6detail17trampoline_kernelINS0_14default_configENS1_27scan_by_key_config_selectorIllEEZZNS1_16scan_by_key_implILNS1_25lookback_scan_determinismE0ELb0ES3_PKlN6hipcub16HIPCUB_304000_NS21ConstantInputIteratorIllEEPllNSB_3SumENSB_8EqualityElEE10hipError_tPvRmT2_T3_T4_T5_mT6_T7_P12ihipStream_tbENKUlT_T0_E_clISt17integral_constantIbLb1EESW_IbLb0EEEEDaSS_ST_EUlSS_E_NS1_11comp_targetILNS1_3genE3ELNS1_11target_archE908ELNS1_3gpuE7ELNS1_3repE0EEENS1_30default_config_static_selectorELNS0_4arch9wavefront6targetE1EEEvT1_
		.amdhsa_group_segment_fixed_size 0
		.amdhsa_private_segment_fixed_size 0
		.amdhsa_kernarg_size 144
		.amdhsa_user_sgpr_count 2
		.amdhsa_user_sgpr_dispatch_ptr 0
		.amdhsa_user_sgpr_queue_ptr 0
		.amdhsa_user_sgpr_kernarg_segment_ptr 1
		.amdhsa_user_sgpr_dispatch_id 0
		.amdhsa_user_sgpr_kernarg_preload_length 0
		.amdhsa_user_sgpr_kernarg_preload_offset 0
		.amdhsa_user_sgpr_private_segment_size 0
		.amdhsa_uses_dynamic_stack 0
		.amdhsa_enable_private_segment 0
		.amdhsa_system_sgpr_workgroup_id_x 1
		.amdhsa_system_sgpr_workgroup_id_y 0
		.amdhsa_system_sgpr_workgroup_id_z 0
		.amdhsa_system_sgpr_workgroup_info 0
		.amdhsa_system_vgpr_workitem_id 0
		.amdhsa_next_free_vgpr 1
		.amdhsa_next_free_sgpr 0
		.amdhsa_accum_offset 4
		.amdhsa_reserve_vcc 0
		.amdhsa_float_round_mode_32 0
		.amdhsa_float_round_mode_16_64 0
		.amdhsa_float_denorm_mode_32 3
		.amdhsa_float_denorm_mode_16_64 3
		.amdhsa_dx10_clamp 1
		.amdhsa_ieee_mode 1
		.amdhsa_fp16_overflow 0
		.amdhsa_tg_split 0
		.amdhsa_exception_fp_ieee_invalid_op 0
		.amdhsa_exception_fp_denorm_src 0
		.amdhsa_exception_fp_ieee_div_zero 0
		.amdhsa_exception_fp_ieee_overflow 0
		.amdhsa_exception_fp_ieee_underflow 0
		.amdhsa_exception_fp_ieee_inexact 0
		.amdhsa_exception_int_div_zero 0
	.end_amdhsa_kernel
	.section	.text._ZN7rocprim17ROCPRIM_400000_NS6detail17trampoline_kernelINS0_14default_configENS1_27scan_by_key_config_selectorIllEEZZNS1_16scan_by_key_implILNS1_25lookback_scan_determinismE0ELb0ES3_PKlN6hipcub16HIPCUB_304000_NS21ConstantInputIteratorIllEEPllNSB_3SumENSB_8EqualityElEE10hipError_tPvRmT2_T3_T4_T5_mT6_T7_P12ihipStream_tbENKUlT_T0_E_clISt17integral_constantIbLb1EESW_IbLb0EEEEDaSS_ST_EUlSS_E_NS1_11comp_targetILNS1_3genE3ELNS1_11target_archE908ELNS1_3gpuE7ELNS1_3repE0EEENS1_30default_config_static_selectorELNS0_4arch9wavefront6targetE1EEEvT1_,"axG",@progbits,_ZN7rocprim17ROCPRIM_400000_NS6detail17trampoline_kernelINS0_14default_configENS1_27scan_by_key_config_selectorIllEEZZNS1_16scan_by_key_implILNS1_25lookback_scan_determinismE0ELb0ES3_PKlN6hipcub16HIPCUB_304000_NS21ConstantInputIteratorIllEEPllNSB_3SumENSB_8EqualityElEE10hipError_tPvRmT2_T3_T4_T5_mT6_T7_P12ihipStream_tbENKUlT_T0_E_clISt17integral_constantIbLb1EESW_IbLb0EEEEDaSS_ST_EUlSS_E_NS1_11comp_targetILNS1_3genE3ELNS1_11target_archE908ELNS1_3gpuE7ELNS1_3repE0EEENS1_30default_config_static_selectorELNS0_4arch9wavefront6targetE1EEEvT1_,comdat
.Lfunc_end120:
	.size	_ZN7rocprim17ROCPRIM_400000_NS6detail17trampoline_kernelINS0_14default_configENS1_27scan_by_key_config_selectorIllEEZZNS1_16scan_by_key_implILNS1_25lookback_scan_determinismE0ELb0ES3_PKlN6hipcub16HIPCUB_304000_NS21ConstantInputIteratorIllEEPllNSB_3SumENSB_8EqualityElEE10hipError_tPvRmT2_T3_T4_T5_mT6_T7_P12ihipStream_tbENKUlT_T0_E_clISt17integral_constantIbLb1EESW_IbLb0EEEEDaSS_ST_EUlSS_E_NS1_11comp_targetILNS1_3genE3ELNS1_11target_archE908ELNS1_3gpuE7ELNS1_3repE0EEENS1_30default_config_static_selectorELNS0_4arch9wavefront6targetE1EEEvT1_, .Lfunc_end120-_ZN7rocprim17ROCPRIM_400000_NS6detail17trampoline_kernelINS0_14default_configENS1_27scan_by_key_config_selectorIllEEZZNS1_16scan_by_key_implILNS1_25lookback_scan_determinismE0ELb0ES3_PKlN6hipcub16HIPCUB_304000_NS21ConstantInputIteratorIllEEPllNSB_3SumENSB_8EqualityElEE10hipError_tPvRmT2_T3_T4_T5_mT6_T7_P12ihipStream_tbENKUlT_T0_E_clISt17integral_constantIbLb1EESW_IbLb0EEEEDaSS_ST_EUlSS_E_NS1_11comp_targetILNS1_3genE3ELNS1_11target_archE908ELNS1_3gpuE7ELNS1_3repE0EEENS1_30default_config_static_selectorELNS0_4arch9wavefront6targetE1EEEvT1_
                                        ; -- End function
	.section	.AMDGPU.csdata,"",@progbits
; Kernel info:
; codeLenInByte = 0
; NumSgprs: 6
; NumVgprs: 0
; NumAgprs: 0
; TotalNumVgprs: 0
; ScratchSize: 0
; MemoryBound: 0
; FloatMode: 240
; IeeeMode: 1
; LDSByteSize: 0 bytes/workgroup (compile time only)
; SGPRBlocks: 0
; VGPRBlocks: 0
; NumSGPRsForWavesPerEU: 6
; NumVGPRsForWavesPerEU: 1
; AccumOffset: 4
; Occupancy: 8
; WaveLimiterHint : 0
; COMPUTE_PGM_RSRC2:SCRATCH_EN: 0
; COMPUTE_PGM_RSRC2:USER_SGPR: 2
; COMPUTE_PGM_RSRC2:TRAP_HANDLER: 0
; COMPUTE_PGM_RSRC2:TGID_X_EN: 1
; COMPUTE_PGM_RSRC2:TGID_Y_EN: 0
; COMPUTE_PGM_RSRC2:TGID_Z_EN: 0
; COMPUTE_PGM_RSRC2:TIDIG_COMP_CNT: 0
; COMPUTE_PGM_RSRC3_GFX90A:ACCUM_OFFSET: 0
; COMPUTE_PGM_RSRC3_GFX90A:TG_SPLIT: 0
	.section	.text._ZN7rocprim17ROCPRIM_400000_NS6detail17trampoline_kernelINS0_14default_configENS1_27scan_by_key_config_selectorIllEEZZNS1_16scan_by_key_implILNS1_25lookback_scan_determinismE0ELb0ES3_PKlN6hipcub16HIPCUB_304000_NS21ConstantInputIteratorIllEEPllNSB_3SumENSB_8EqualityElEE10hipError_tPvRmT2_T3_T4_T5_mT6_T7_P12ihipStream_tbENKUlT_T0_E_clISt17integral_constantIbLb1EESW_IbLb0EEEEDaSS_ST_EUlSS_E_NS1_11comp_targetILNS1_3genE2ELNS1_11target_archE906ELNS1_3gpuE6ELNS1_3repE0EEENS1_30default_config_static_selectorELNS0_4arch9wavefront6targetE1EEEvT1_,"axG",@progbits,_ZN7rocprim17ROCPRIM_400000_NS6detail17trampoline_kernelINS0_14default_configENS1_27scan_by_key_config_selectorIllEEZZNS1_16scan_by_key_implILNS1_25lookback_scan_determinismE0ELb0ES3_PKlN6hipcub16HIPCUB_304000_NS21ConstantInputIteratorIllEEPllNSB_3SumENSB_8EqualityElEE10hipError_tPvRmT2_T3_T4_T5_mT6_T7_P12ihipStream_tbENKUlT_T0_E_clISt17integral_constantIbLb1EESW_IbLb0EEEEDaSS_ST_EUlSS_E_NS1_11comp_targetILNS1_3genE2ELNS1_11target_archE906ELNS1_3gpuE6ELNS1_3repE0EEENS1_30default_config_static_selectorELNS0_4arch9wavefront6targetE1EEEvT1_,comdat
	.protected	_ZN7rocprim17ROCPRIM_400000_NS6detail17trampoline_kernelINS0_14default_configENS1_27scan_by_key_config_selectorIllEEZZNS1_16scan_by_key_implILNS1_25lookback_scan_determinismE0ELb0ES3_PKlN6hipcub16HIPCUB_304000_NS21ConstantInputIteratorIllEEPllNSB_3SumENSB_8EqualityElEE10hipError_tPvRmT2_T3_T4_T5_mT6_T7_P12ihipStream_tbENKUlT_T0_E_clISt17integral_constantIbLb1EESW_IbLb0EEEEDaSS_ST_EUlSS_E_NS1_11comp_targetILNS1_3genE2ELNS1_11target_archE906ELNS1_3gpuE6ELNS1_3repE0EEENS1_30default_config_static_selectorELNS0_4arch9wavefront6targetE1EEEvT1_ ; -- Begin function _ZN7rocprim17ROCPRIM_400000_NS6detail17trampoline_kernelINS0_14default_configENS1_27scan_by_key_config_selectorIllEEZZNS1_16scan_by_key_implILNS1_25lookback_scan_determinismE0ELb0ES3_PKlN6hipcub16HIPCUB_304000_NS21ConstantInputIteratorIllEEPllNSB_3SumENSB_8EqualityElEE10hipError_tPvRmT2_T3_T4_T5_mT6_T7_P12ihipStream_tbENKUlT_T0_E_clISt17integral_constantIbLb1EESW_IbLb0EEEEDaSS_ST_EUlSS_E_NS1_11comp_targetILNS1_3genE2ELNS1_11target_archE906ELNS1_3gpuE6ELNS1_3repE0EEENS1_30default_config_static_selectorELNS0_4arch9wavefront6targetE1EEEvT1_
	.globl	_ZN7rocprim17ROCPRIM_400000_NS6detail17trampoline_kernelINS0_14default_configENS1_27scan_by_key_config_selectorIllEEZZNS1_16scan_by_key_implILNS1_25lookback_scan_determinismE0ELb0ES3_PKlN6hipcub16HIPCUB_304000_NS21ConstantInputIteratorIllEEPllNSB_3SumENSB_8EqualityElEE10hipError_tPvRmT2_T3_T4_T5_mT6_T7_P12ihipStream_tbENKUlT_T0_E_clISt17integral_constantIbLb1EESW_IbLb0EEEEDaSS_ST_EUlSS_E_NS1_11comp_targetILNS1_3genE2ELNS1_11target_archE906ELNS1_3gpuE6ELNS1_3repE0EEENS1_30default_config_static_selectorELNS0_4arch9wavefront6targetE1EEEvT1_
	.p2align	8
	.type	_ZN7rocprim17ROCPRIM_400000_NS6detail17trampoline_kernelINS0_14default_configENS1_27scan_by_key_config_selectorIllEEZZNS1_16scan_by_key_implILNS1_25lookback_scan_determinismE0ELb0ES3_PKlN6hipcub16HIPCUB_304000_NS21ConstantInputIteratorIllEEPllNSB_3SumENSB_8EqualityElEE10hipError_tPvRmT2_T3_T4_T5_mT6_T7_P12ihipStream_tbENKUlT_T0_E_clISt17integral_constantIbLb1EESW_IbLb0EEEEDaSS_ST_EUlSS_E_NS1_11comp_targetILNS1_3genE2ELNS1_11target_archE906ELNS1_3gpuE6ELNS1_3repE0EEENS1_30default_config_static_selectorELNS0_4arch9wavefront6targetE1EEEvT1_,@function
_ZN7rocprim17ROCPRIM_400000_NS6detail17trampoline_kernelINS0_14default_configENS1_27scan_by_key_config_selectorIllEEZZNS1_16scan_by_key_implILNS1_25lookback_scan_determinismE0ELb0ES3_PKlN6hipcub16HIPCUB_304000_NS21ConstantInputIteratorIllEEPllNSB_3SumENSB_8EqualityElEE10hipError_tPvRmT2_T3_T4_T5_mT6_T7_P12ihipStream_tbENKUlT_T0_E_clISt17integral_constantIbLb1EESW_IbLb0EEEEDaSS_ST_EUlSS_E_NS1_11comp_targetILNS1_3genE2ELNS1_11target_archE906ELNS1_3gpuE6ELNS1_3repE0EEENS1_30default_config_static_selectorELNS0_4arch9wavefront6targetE1EEEvT1_: ; @_ZN7rocprim17ROCPRIM_400000_NS6detail17trampoline_kernelINS0_14default_configENS1_27scan_by_key_config_selectorIllEEZZNS1_16scan_by_key_implILNS1_25lookback_scan_determinismE0ELb0ES3_PKlN6hipcub16HIPCUB_304000_NS21ConstantInputIteratorIllEEPllNSB_3SumENSB_8EqualityElEE10hipError_tPvRmT2_T3_T4_T5_mT6_T7_P12ihipStream_tbENKUlT_T0_E_clISt17integral_constantIbLb1EESW_IbLb0EEEEDaSS_ST_EUlSS_E_NS1_11comp_targetILNS1_3genE2ELNS1_11target_archE906ELNS1_3gpuE6ELNS1_3repE0EEENS1_30default_config_static_selectorELNS0_4arch9wavefront6targetE1EEEvT1_
; %bb.0:
	.section	.rodata,"a",@progbits
	.p2align	6, 0x0
	.amdhsa_kernel _ZN7rocprim17ROCPRIM_400000_NS6detail17trampoline_kernelINS0_14default_configENS1_27scan_by_key_config_selectorIllEEZZNS1_16scan_by_key_implILNS1_25lookback_scan_determinismE0ELb0ES3_PKlN6hipcub16HIPCUB_304000_NS21ConstantInputIteratorIllEEPllNSB_3SumENSB_8EqualityElEE10hipError_tPvRmT2_T3_T4_T5_mT6_T7_P12ihipStream_tbENKUlT_T0_E_clISt17integral_constantIbLb1EESW_IbLb0EEEEDaSS_ST_EUlSS_E_NS1_11comp_targetILNS1_3genE2ELNS1_11target_archE906ELNS1_3gpuE6ELNS1_3repE0EEENS1_30default_config_static_selectorELNS0_4arch9wavefront6targetE1EEEvT1_
		.amdhsa_group_segment_fixed_size 0
		.amdhsa_private_segment_fixed_size 0
		.amdhsa_kernarg_size 144
		.amdhsa_user_sgpr_count 2
		.amdhsa_user_sgpr_dispatch_ptr 0
		.amdhsa_user_sgpr_queue_ptr 0
		.amdhsa_user_sgpr_kernarg_segment_ptr 1
		.amdhsa_user_sgpr_dispatch_id 0
		.amdhsa_user_sgpr_kernarg_preload_length 0
		.amdhsa_user_sgpr_kernarg_preload_offset 0
		.amdhsa_user_sgpr_private_segment_size 0
		.amdhsa_uses_dynamic_stack 0
		.amdhsa_enable_private_segment 0
		.amdhsa_system_sgpr_workgroup_id_x 1
		.amdhsa_system_sgpr_workgroup_id_y 0
		.amdhsa_system_sgpr_workgroup_id_z 0
		.amdhsa_system_sgpr_workgroup_info 0
		.amdhsa_system_vgpr_workitem_id 0
		.amdhsa_next_free_vgpr 1
		.amdhsa_next_free_sgpr 0
		.amdhsa_accum_offset 4
		.amdhsa_reserve_vcc 0
		.amdhsa_float_round_mode_32 0
		.amdhsa_float_round_mode_16_64 0
		.amdhsa_float_denorm_mode_32 3
		.amdhsa_float_denorm_mode_16_64 3
		.amdhsa_dx10_clamp 1
		.amdhsa_ieee_mode 1
		.amdhsa_fp16_overflow 0
		.amdhsa_tg_split 0
		.amdhsa_exception_fp_ieee_invalid_op 0
		.amdhsa_exception_fp_denorm_src 0
		.amdhsa_exception_fp_ieee_div_zero 0
		.amdhsa_exception_fp_ieee_overflow 0
		.amdhsa_exception_fp_ieee_underflow 0
		.amdhsa_exception_fp_ieee_inexact 0
		.amdhsa_exception_int_div_zero 0
	.end_amdhsa_kernel
	.section	.text._ZN7rocprim17ROCPRIM_400000_NS6detail17trampoline_kernelINS0_14default_configENS1_27scan_by_key_config_selectorIllEEZZNS1_16scan_by_key_implILNS1_25lookback_scan_determinismE0ELb0ES3_PKlN6hipcub16HIPCUB_304000_NS21ConstantInputIteratorIllEEPllNSB_3SumENSB_8EqualityElEE10hipError_tPvRmT2_T3_T4_T5_mT6_T7_P12ihipStream_tbENKUlT_T0_E_clISt17integral_constantIbLb1EESW_IbLb0EEEEDaSS_ST_EUlSS_E_NS1_11comp_targetILNS1_3genE2ELNS1_11target_archE906ELNS1_3gpuE6ELNS1_3repE0EEENS1_30default_config_static_selectorELNS0_4arch9wavefront6targetE1EEEvT1_,"axG",@progbits,_ZN7rocprim17ROCPRIM_400000_NS6detail17trampoline_kernelINS0_14default_configENS1_27scan_by_key_config_selectorIllEEZZNS1_16scan_by_key_implILNS1_25lookback_scan_determinismE0ELb0ES3_PKlN6hipcub16HIPCUB_304000_NS21ConstantInputIteratorIllEEPllNSB_3SumENSB_8EqualityElEE10hipError_tPvRmT2_T3_T4_T5_mT6_T7_P12ihipStream_tbENKUlT_T0_E_clISt17integral_constantIbLb1EESW_IbLb0EEEEDaSS_ST_EUlSS_E_NS1_11comp_targetILNS1_3genE2ELNS1_11target_archE906ELNS1_3gpuE6ELNS1_3repE0EEENS1_30default_config_static_selectorELNS0_4arch9wavefront6targetE1EEEvT1_,comdat
.Lfunc_end121:
	.size	_ZN7rocprim17ROCPRIM_400000_NS6detail17trampoline_kernelINS0_14default_configENS1_27scan_by_key_config_selectorIllEEZZNS1_16scan_by_key_implILNS1_25lookback_scan_determinismE0ELb0ES3_PKlN6hipcub16HIPCUB_304000_NS21ConstantInputIteratorIllEEPllNSB_3SumENSB_8EqualityElEE10hipError_tPvRmT2_T3_T4_T5_mT6_T7_P12ihipStream_tbENKUlT_T0_E_clISt17integral_constantIbLb1EESW_IbLb0EEEEDaSS_ST_EUlSS_E_NS1_11comp_targetILNS1_3genE2ELNS1_11target_archE906ELNS1_3gpuE6ELNS1_3repE0EEENS1_30default_config_static_selectorELNS0_4arch9wavefront6targetE1EEEvT1_, .Lfunc_end121-_ZN7rocprim17ROCPRIM_400000_NS6detail17trampoline_kernelINS0_14default_configENS1_27scan_by_key_config_selectorIllEEZZNS1_16scan_by_key_implILNS1_25lookback_scan_determinismE0ELb0ES3_PKlN6hipcub16HIPCUB_304000_NS21ConstantInputIteratorIllEEPllNSB_3SumENSB_8EqualityElEE10hipError_tPvRmT2_T3_T4_T5_mT6_T7_P12ihipStream_tbENKUlT_T0_E_clISt17integral_constantIbLb1EESW_IbLb0EEEEDaSS_ST_EUlSS_E_NS1_11comp_targetILNS1_3genE2ELNS1_11target_archE906ELNS1_3gpuE6ELNS1_3repE0EEENS1_30default_config_static_selectorELNS0_4arch9wavefront6targetE1EEEvT1_
                                        ; -- End function
	.section	.AMDGPU.csdata,"",@progbits
; Kernel info:
; codeLenInByte = 0
; NumSgprs: 6
; NumVgprs: 0
; NumAgprs: 0
; TotalNumVgprs: 0
; ScratchSize: 0
; MemoryBound: 0
; FloatMode: 240
; IeeeMode: 1
; LDSByteSize: 0 bytes/workgroup (compile time only)
; SGPRBlocks: 0
; VGPRBlocks: 0
; NumSGPRsForWavesPerEU: 6
; NumVGPRsForWavesPerEU: 1
; AccumOffset: 4
; Occupancy: 8
; WaveLimiterHint : 0
; COMPUTE_PGM_RSRC2:SCRATCH_EN: 0
; COMPUTE_PGM_RSRC2:USER_SGPR: 2
; COMPUTE_PGM_RSRC2:TRAP_HANDLER: 0
; COMPUTE_PGM_RSRC2:TGID_X_EN: 1
; COMPUTE_PGM_RSRC2:TGID_Y_EN: 0
; COMPUTE_PGM_RSRC2:TGID_Z_EN: 0
; COMPUTE_PGM_RSRC2:TIDIG_COMP_CNT: 0
; COMPUTE_PGM_RSRC3_GFX90A:ACCUM_OFFSET: 0
; COMPUTE_PGM_RSRC3_GFX90A:TG_SPLIT: 0
	.section	.text._ZN7rocprim17ROCPRIM_400000_NS6detail17trampoline_kernelINS0_14default_configENS1_27scan_by_key_config_selectorIllEEZZNS1_16scan_by_key_implILNS1_25lookback_scan_determinismE0ELb0ES3_PKlN6hipcub16HIPCUB_304000_NS21ConstantInputIteratorIllEEPllNSB_3SumENSB_8EqualityElEE10hipError_tPvRmT2_T3_T4_T5_mT6_T7_P12ihipStream_tbENKUlT_T0_E_clISt17integral_constantIbLb1EESW_IbLb0EEEEDaSS_ST_EUlSS_E_NS1_11comp_targetILNS1_3genE10ELNS1_11target_archE1200ELNS1_3gpuE4ELNS1_3repE0EEENS1_30default_config_static_selectorELNS0_4arch9wavefront6targetE1EEEvT1_,"axG",@progbits,_ZN7rocprim17ROCPRIM_400000_NS6detail17trampoline_kernelINS0_14default_configENS1_27scan_by_key_config_selectorIllEEZZNS1_16scan_by_key_implILNS1_25lookback_scan_determinismE0ELb0ES3_PKlN6hipcub16HIPCUB_304000_NS21ConstantInputIteratorIllEEPllNSB_3SumENSB_8EqualityElEE10hipError_tPvRmT2_T3_T4_T5_mT6_T7_P12ihipStream_tbENKUlT_T0_E_clISt17integral_constantIbLb1EESW_IbLb0EEEEDaSS_ST_EUlSS_E_NS1_11comp_targetILNS1_3genE10ELNS1_11target_archE1200ELNS1_3gpuE4ELNS1_3repE0EEENS1_30default_config_static_selectorELNS0_4arch9wavefront6targetE1EEEvT1_,comdat
	.protected	_ZN7rocprim17ROCPRIM_400000_NS6detail17trampoline_kernelINS0_14default_configENS1_27scan_by_key_config_selectorIllEEZZNS1_16scan_by_key_implILNS1_25lookback_scan_determinismE0ELb0ES3_PKlN6hipcub16HIPCUB_304000_NS21ConstantInputIteratorIllEEPllNSB_3SumENSB_8EqualityElEE10hipError_tPvRmT2_T3_T4_T5_mT6_T7_P12ihipStream_tbENKUlT_T0_E_clISt17integral_constantIbLb1EESW_IbLb0EEEEDaSS_ST_EUlSS_E_NS1_11comp_targetILNS1_3genE10ELNS1_11target_archE1200ELNS1_3gpuE4ELNS1_3repE0EEENS1_30default_config_static_selectorELNS0_4arch9wavefront6targetE1EEEvT1_ ; -- Begin function _ZN7rocprim17ROCPRIM_400000_NS6detail17trampoline_kernelINS0_14default_configENS1_27scan_by_key_config_selectorIllEEZZNS1_16scan_by_key_implILNS1_25lookback_scan_determinismE0ELb0ES3_PKlN6hipcub16HIPCUB_304000_NS21ConstantInputIteratorIllEEPllNSB_3SumENSB_8EqualityElEE10hipError_tPvRmT2_T3_T4_T5_mT6_T7_P12ihipStream_tbENKUlT_T0_E_clISt17integral_constantIbLb1EESW_IbLb0EEEEDaSS_ST_EUlSS_E_NS1_11comp_targetILNS1_3genE10ELNS1_11target_archE1200ELNS1_3gpuE4ELNS1_3repE0EEENS1_30default_config_static_selectorELNS0_4arch9wavefront6targetE1EEEvT1_
	.globl	_ZN7rocprim17ROCPRIM_400000_NS6detail17trampoline_kernelINS0_14default_configENS1_27scan_by_key_config_selectorIllEEZZNS1_16scan_by_key_implILNS1_25lookback_scan_determinismE0ELb0ES3_PKlN6hipcub16HIPCUB_304000_NS21ConstantInputIteratorIllEEPllNSB_3SumENSB_8EqualityElEE10hipError_tPvRmT2_T3_T4_T5_mT6_T7_P12ihipStream_tbENKUlT_T0_E_clISt17integral_constantIbLb1EESW_IbLb0EEEEDaSS_ST_EUlSS_E_NS1_11comp_targetILNS1_3genE10ELNS1_11target_archE1200ELNS1_3gpuE4ELNS1_3repE0EEENS1_30default_config_static_selectorELNS0_4arch9wavefront6targetE1EEEvT1_
	.p2align	8
	.type	_ZN7rocprim17ROCPRIM_400000_NS6detail17trampoline_kernelINS0_14default_configENS1_27scan_by_key_config_selectorIllEEZZNS1_16scan_by_key_implILNS1_25lookback_scan_determinismE0ELb0ES3_PKlN6hipcub16HIPCUB_304000_NS21ConstantInputIteratorIllEEPllNSB_3SumENSB_8EqualityElEE10hipError_tPvRmT2_T3_T4_T5_mT6_T7_P12ihipStream_tbENKUlT_T0_E_clISt17integral_constantIbLb1EESW_IbLb0EEEEDaSS_ST_EUlSS_E_NS1_11comp_targetILNS1_3genE10ELNS1_11target_archE1200ELNS1_3gpuE4ELNS1_3repE0EEENS1_30default_config_static_selectorELNS0_4arch9wavefront6targetE1EEEvT1_,@function
_ZN7rocprim17ROCPRIM_400000_NS6detail17trampoline_kernelINS0_14default_configENS1_27scan_by_key_config_selectorIllEEZZNS1_16scan_by_key_implILNS1_25lookback_scan_determinismE0ELb0ES3_PKlN6hipcub16HIPCUB_304000_NS21ConstantInputIteratorIllEEPllNSB_3SumENSB_8EqualityElEE10hipError_tPvRmT2_T3_T4_T5_mT6_T7_P12ihipStream_tbENKUlT_T0_E_clISt17integral_constantIbLb1EESW_IbLb0EEEEDaSS_ST_EUlSS_E_NS1_11comp_targetILNS1_3genE10ELNS1_11target_archE1200ELNS1_3gpuE4ELNS1_3repE0EEENS1_30default_config_static_selectorELNS0_4arch9wavefront6targetE1EEEvT1_: ; @_ZN7rocprim17ROCPRIM_400000_NS6detail17trampoline_kernelINS0_14default_configENS1_27scan_by_key_config_selectorIllEEZZNS1_16scan_by_key_implILNS1_25lookback_scan_determinismE0ELb0ES3_PKlN6hipcub16HIPCUB_304000_NS21ConstantInputIteratorIllEEPllNSB_3SumENSB_8EqualityElEE10hipError_tPvRmT2_T3_T4_T5_mT6_T7_P12ihipStream_tbENKUlT_T0_E_clISt17integral_constantIbLb1EESW_IbLb0EEEEDaSS_ST_EUlSS_E_NS1_11comp_targetILNS1_3genE10ELNS1_11target_archE1200ELNS1_3gpuE4ELNS1_3repE0EEENS1_30default_config_static_selectorELNS0_4arch9wavefront6targetE1EEEvT1_
; %bb.0:
	.section	.rodata,"a",@progbits
	.p2align	6, 0x0
	.amdhsa_kernel _ZN7rocprim17ROCPRIM_400000_NS6detail17trampoline_kernelINS0_14default_configENS1_27scan_by_key_config_selectorIllEEZZNS1_16scan_by_key_implILNS1_25lookback_scan_determinismE0ELb0ES3_PKlN6hipcub16HIPCUB_304000_NS21ConstantInputIteratorIllEEPllNSB_3SumENSB_8EqualityElEE10hipError_tPvRmT2_T3_T4_T5_mT6_T7_P12ihipStream_tbENKUlT_T0_E_clISt17integral_constantIbLb1EESW_IbLb0EEEEDaSS_ST_EUlSS_E_NS1_11comp_targetILNS1_3genE10ELNS1_11target_archE1200ELNS1_3gpuE4ELNS1_3repE0EEENS1_30default_config_static_selectorELNS0_4arch9wavefront6targetE1EEEvT1_
		.amdhsa_group_segment_fixed_size 0
		.amdhsa_private_segment_fixed_size 0
		.amdhsa_kernarg_size 144
		.amdhsa_user_sgpr_count 2
		.amdhsa_user_sgpr_dispatch_ptr 0
		.amdhsa_user_sgpr_queue_ptr 0
		.amdhsa_user_sgpr_kernarg_segment_ptr 1
		.amdhsa_user_sgpr_dispatch_id 0
		.amdhsa_user_sgpr_kernarg_preload_length 0
		.amdhsa_user_sgpr_kernarg_preload_offset 0
		.amdhsa_user_sgpr_private_segment_size 0
		.amdhsa_uses_dynamic_stack 0
		.amdhsa_enable_private_segment 0
		.amdhsa_system_sgpr_workgroup_id_x 1
		.amdhsa_system_sgpr_workgroup_id_y 0
		.amdhsa_system_sgpr_workgroup_id_z 0
		.amdhsa_system_sgpr_workgroup_info 0
		.amdhsa_system_vgpr_workitem_id 0
		.amdhsa_next_free_vgpr 1
		.amdhsa_next_free_sgpr 0
		.amdhsa_accum_offset 4
		.amdhsa_reserve_vcc 0
		.amdhsa_float_round_mode_32 0
		.amdhsa_float_round_mode_16_64 0
		.amdhsa_float_denorm_mode_32 3
		.amdhsa_float_denorm_mode_16_64 3
		.amdhsa_dx10_clamp 1
		.amdhsa_ieee_mode 1
		.amdhsa_fp16_overflow 0
		.amdhsa_tg_split 0
		.amdhsa_exception_fp_ieee_invalid_op 0
		.amdhsa_exception_fp_denorm_src 0
		.amdhsa_exception_fp_ieee_div_zero 0
		.amdhsa_exception_fp_ieee_overflow 0
		.amdhsa_exception_fp_ieee_underflow 0
		.amdhsa_exception_fp_ieee_inexact 0
		.amdhsa_exception_int_div_zero 0
	.end_amdhsa_kernel
	.section	.text._ZN7rocprim17ROCPRIM_400000_NS6detail17trampoline_kernelINS0_14default_configENS1_27scan_by_key_config_selectorIllEEZZNS1_16scan_by_key_implILNS1_25lookback_scan_determinismE0ELb0ES3_PKlN6hipcub16HIPCUB_304000_NS21ConstantInputIteratorIllEEPllNSB_3SumENSB_8EqualityElEE10hipError_tPvRmT2_T3_T4_T5_mT6_T7_P12ihipStream_tbENKUlT_T0_E_clISt17integral_constantIbLb1EESW_IbLb0EEEEDaSS_ST_EUlSS_E_NS1_11comp_targetILNS1_3genE10ELNS1_11target_archE1200ELNS1_3gpuE4ELNS1_3repE0EEENS1_30default_config_static_selectorELNS0_4arch9wavefront6targetE1EEEvT1_,"axG",@progbits,_ZN7rocprim17ROCPRIM_400000_NS6detail17trampoline_kernelINS0_14default_configENS1_27scan_by_key_config_selectorIllEEZZNS1_16scan_by_key_implILNS1_25lookback_scan_determinismE0ELb0ES3_PKlN6hipcub16HIPCUB_304000_NS21ConstantInputIteratorIllEEPllNSB_3SumENSB_8EqualityElEE10hipError_tPvRmT2_T3_T4_T5_mT6_T7_P12ihipStream_tbENKUlT_T0_E_clISt17integral_constantIbLb1EESW_IbLb0EEEEDaSS_ST_EUlSS_E_NS1_11comp_targetILNS1_3genE10ELNS1_11target_archE1200ELNS1_3gpuE4ELNS1_3repE0EEENS1_30default_config_static_selectorELNS0_4arch9wavefront6targetE1EEEvT1_,comdat
.Lfunc_end122:
	.size	_ZN7rocprim17ROCPRIM_400000_NS6detail17trampoline_kernelINS0_14default_configENS1_27scan_by_key_config_selectorIllEEZZNS1_16scan_by_key_implILNS1_25lookback_scan_determinismE0ELb0ES3_PKlN6hipcub16HIPCUB_304000_NS21ConstantInputIteratorIllEEPllNSB_3SumENSB_8EqualityElEE10hipError_tPvRmT2_T3_T4_T5_mT6_T7_P12ihipStream_tbENKUlT_T0_E_clISt17integral_constantIbLb1EESW_IbLb0EEEEDaSS_ST_EUlSS_E_NS1_11comp_targetILNS1_3genE10ELNS1_11target_archE1200ELNS1_3gpuE4ELNS1_3repE0EEENS1_30default_config_static_selectorELNS0_4arch9wavefront6targetE1EEEvT1_, .Lfunc_end122-_ZN7rocprim17ROCPRIM_400000_NS6detail17trampoline_kernelINS0_14default_configENS1_27scan_by_key_config_selectorIllEEZZNS1_16scan_by_key_implILNS1_25lookback_scan_determinismE0ELb0ES3_PKlN6hipcub16HIPCUB_304000_NS21ConstantInputIteratorIllEEPllNSB_3SumENSB_8EqualityElEE10hipError_tPvRmT2_T3_T4_T5_mT6_T7_P12ihipStream_tbENKUlT_T0_E_clISt17integral_constantIbLb1EESW_IbLb0EEEEDaSS_ST_EUlSS_E_NS1_11comp_targetILNS1_3genE10ELNS1_11target_archE1200ELNS1_3gpuE4ELNS1_3repE0EEENS1_30default_config_static_selectorELNS0_4arch9wavefront6targetE1EEEvT1_
                                        ; -- End function
	.section	.AMDGPU.csdata,"",@progbits
; Kernel info:
; codeLenInByte = 0
; NumSgprs: 6
; NumVgprs: 0
; NumAgprs: 0
; TotalNumVgprs: 0
; ScratchSize: 0
; MemoryBound: 0
; FloatMode: 240
; IeeeMode: 1
; LDSByteSize: 0 bytes/workgroup (compile time only)
; SGPRBlocks: 0
; VGPRBlocks: 0
; NumSGPRsForWavesPerEU: 6
; NumVGPRsForWavesPerEU: 1
; AccumOffset: 4
; Occupancy: 8
; WaveLimiterHint : 0
; COMPUTE_PGM_RSRC2:SCRATCH_EN: 0
; COMPUTE_PGM_RSRC2:USER_SGPR: 2
; COMPUTE_PGM_RSRC2:TRAP_HANDLER: 0
; COMPUTE_PGM_RSRC2:TGID_X_EN: 1
; COMPUTE_PGM_RSRC2:TGID_Y_EN: 0
; COMPUTE_PGM_RSRC2:TGID_Z_EN: 0
; COMPUTE_PGM_RSRC2:TIDIG_COMP_CNT: 0
; COMPUTE_PGM_RSRC3_GFX90A:ACCUM_OFFSET: 0
; COMPUTE_PGM_RSRC3_GFX90A:TG_SPLIT: 0
	.section	.text._ZN7rocprim17ROCPRIM_400000_NS6detail17trampoline_kernelINS0_14default_configENS1_27scan_by_key_config_selectorIllEEZZNS1_16scan_by_key_implILNS1_25lookback_scan_determinismE0ELb0ES3_PKlN6hipcub16HIPCUB_304000_NS21ConstantInputIteratorIllEEPllNSB_3SumENSB_8EqualityElEE10hipError_tPvRmT2_T3_T4_T5_mT6_T7_P12ihipStream_tbENKUlT_T0_E_clISt17integral_constantIbLb1EESW_IbLb0EEEEDaSS_ST_EUlSS_E_NS1_11comp_targetILNS1_3genE9ELNS1_11target_archE1100ELNS1_3gpuE3ELNS1_3repE0EEENS1_30default_config_static_selectorELNS0_4arch9wavefront6targetE1EEEvT1_,"axG",@progbits,_ZN7rocprim17ROCPRIM_400000_NS6detail17trampoline_kernelINS0_14default_configENS1_27scan_by_key_config_selectorIllEEZZNS1_16scan_by_key_implILNS1_25lookback_scan_determinismE0ELb0ES3_PKlN6hipcub16HIPCUB_304000_NS21ConstantInputIteratorIllEEPllNSB_3SumENSB_8EqualityElEE10hipError_tPvRmT2_T3_T4_T5_mT6_T7_P12ihipStream_tbENKUlT_T0_E_clISt17integral_constantIbLb1EESW_IbLb0EEEEDaSS_ST_EUlSS_E_NS1_11comp_targetILNS1_3genE9ELNS1_11target_archE1100ELNS1_3gpuE3ELNS1_3repE0EEENS1_30default_config_static_selectorELNS0_4arch9wavefront6targetE1EEEvT1_,comdat
	.protected	_ZN7rocprim17ROCPRIM_400000_NS6detail17trampoline_kernelINS0_14default_configENS1_27scan_by_key_config_selectorIllEEZZNS1_16scan_by_key_implILNS1_25lookback_scan_determinismE0ELb0ES3_PKlN6hipcub16HIPCUB_304000_NS21ConstantInputIteratorIllEEPllNSB_3SumENSB_8EqualityElEE10hipError_tPvRmT2_T3_T4_T5_mT6_T7_P12ihipStream_tbENKUlT_T0_E_clISt17integral_constantIbLb1EESW_IbLb0EEEEDaSS_ST_EUlSS_E_NS1_11comp_targetILNS1_3genE9ELNS1_11target_archE1100ELNS1_3gpuE3ELNS1_3repE0EEENS1_30default_config_static_selectorELNS0_4arch9wavefront6targetE1EEEvT1_ ; -- Begin function _ZN7rocprim17ROCPRIM_400000_NS6detail17trampoline_kernelINS0_14default_configENS1_27scan_by_key_config_selectorIllEEZZNS1_16scan_by_key_implILNS1_25lookback_scan_determinismE0ELb0ES3_PKlN6hipcub16HIPCUB_304000_NS21ConstantInputIteratorIllEEPllNSB_3SumENSB_8EqualityElEE10hipError_tPvRmT2_T3_T4_T5_mT6_T7_P12ihipStream_tbENKUlT_T0_E_clISt17integral_constantIbLb1EESW_IbLb0EEEEDaSS_ST_EUlSS_E_NS1_11comp_targetILNS1_3genE9ELNS1_11target_archE1100ELNS1_3gpuE3ELNS1_3repE0EEENS1_30default_config_static_selectorELNS0_4arch9wavefront6targetE1EEEvT1_
	.globl	_ZN7rocprim17ROCPRIM_400000_NS6detail17trampoline_kernelINS0_14default_configENS1_27scan_by_key_config_selectorIllEEZZNS1_16scan_by_key_implILNS1_25lookback_scan_determinismE0ELb0ES3_PKlN6hipcub16HIPCUB_304000_NS21ConstantInputIteratorIllEEPllNSB_3SumENSB_8EqualityElEE10hipError_tPvRmT2_T3_T4_T5_mT6_T7_P12ihipStream_tbENKUlT_T0_E_clISt17integral_constantIbLb1EESW_IbLb0EEEEDaSS_ST_EUlSS_E_NS1_11comp_targetILNS1_3genE9ELNS1_11target_archE1100ELNS1_3gpuE3ELNS1_3repE0EEENS1_30default_config_static_selectorELNS0_4arch9wavefront6targetE1EEEvT1_
	.p2align	8
	.type	_ZN7rocprim17ROCPRIM_400000_NS6detail17trampoline_kernelINS0_14default_configENS1_27scan_by_key_config_selectorIllEEZZNS1_16scan_by_key_implILNS1_25lookback_scan_determinismE0ELb0ES3_PKlN6hipcub16HIPCUB_304000_NS21ConstantInputIteratorIllEEPllNSB_3SumENSB_8EqualityElEE10hipError_tPvRmT2_T3_T4_T5_mT6_T7_P12ihipStream_tbENKUlT_T0_E_clISt17integral_constantIbLb1EESW_IbLb0EEEEDaSS_ST_EUlSS_E_NS1_11comp_targetILNS1_3genE9ELNS1_11target_archE1100ELNS1_3gpuE3ELNS1_3repE0EEENS1_30default_config_static_selectorELNS0_4arch9wavefront6targetE1EEEvT1_,@function
_ZN7rocprim17ROCPRIM_400000_NS6detail17trampoline_kernelINS0_14default_configENS1_27scan_by_key_config_selectorIllEEZZNS1_16scan_by_key_implILNS1_25lookback_scan_determinismE0ELb0ES3_PKlN6hipcub16HIPCUB_304000_NS21ConstantInputIteratorIllEEPllNSB_3SumENSB_8EqualityElEE10hipError_tPvRmT2_T3_T4_T5_mT6_T7_P12ihipStream_tbENKUlT_T0_E_clISt17integral_constantIbLb1EESW_IbLb0EEEEDaSS_ST_EUlSS_E_NS1_11comp_targetILNS1_3genE9ELNS1_11target_archE1100ELNS1_3gpuE3ELNS1_3repE0EEENS1_30default_config_static_selectorELNS0_4arch9wavefront6targetE1EEEvT1_: ; @_ZN7rocprim17ROCPRIM_400000_NS6detail17trampoline_kernelINS0_14default_configENS1_27scan_by_key_config_selectorIllEEZZNS1_16scan_by_key_implILNS1_25lookback_scan_determinismE0ELb0ES3_PKlN6hipcub16HIPCUB_304000_NS21ConstantInputIteratorIllEEPllNSB_3SumENSB_8EqualityElEE10hipError_tPvRmT2_T3_T4_T5_mT6_T7_P12ihipStream_tbENKUlT_T0_E_clISt17integral_constantIbLb1EESW_IbLb0EEEEDaSS_ST_EUlSS_E_NS1_11comp_targetILNS1_3genE9ELNS1_11target_archE1100ELNS1_3gpuE3ELNS1_3repE0EEENS1_30default_config_static_selectorELNS0_4arch9wavefront6targetE1EEEvT1_
; %bb.0:
	.section	.rodata,"a",@progbits
	.p2align	6, 0x0
	.amdhsa_kernel _ZN7rocprim17ROCPRIM_400000_NS6detail17trampoline_kernelINS0_14default_configENS1_27scan_by_key_config_selectorIllEEZZNS1_16scan_by_key_implILNS1_25lookback_scan_determinismE0ELb0ES3_PKlN6hipcub16HIPCUB_304000_NS21ConstantInputIteratorIllEEPllNSB_3SumENSB_8EqualityElEE10hipError_tPvRmT2_T3_T4_T5_mT6_T7_P12ihipStream_tbENKUlT_T0_E_clISt17integral_constantIbLb1EESW_IbLb0EEEEDaSS_ST_EUlSS_E_NS1_11comp_targetILNS1_3genE9ELNS1_11target_archE1100ELNS1_3gpuE3ELNS1_3repE0EEENS1_30default_config_static_selectorELNS0_4arch9wavefront6targetE1EEEvT1_
		.amdhsa_group_segment_fixed_size 0
		.amdhsa_private_segment_fixed_size 0
		.amdhsa_kernarg_size 144
		.amdhsa_user_sgpr_count 2
		.amdhsa_user_sgpr_dispatch_ptr 0
		.amdhsa_user_sgpr_queue_ptr 0
		.amdhsa_user_sgpr_kernarg_segment_ptr 1
		.amdhsa_user_sgpr_dispatch_id 0
		.amdhsa_user_sgpr_kernarg_preload_length 0
		.amdhsa_user_sgpr_kernarg_preload_offset 0
		.amdhsa_user_sgpr_private_segment_size 0
		.amdhsa_uses_dynamic_stack 0
		.amdhsa_enable_private_segment 0
		.amdhsa_system_sgpr_workgroup_id_x 1
		.amdhsa_system_sgpr_workgroup_id_y 0
		.amdhsa_system_sgpr_workgroup_id_z 0
		.amdhsa_system_sgpr_workgroup_info 0
		.amdhsa_system_vgpr_workitem_id 0
		.amdhsa_next_free_vgpr 1
		.amdhsa_next_free_sgpr 0
		.amdhsa_accum_offset 4
		.amdhsa_reserve_vcc 0
		.amdhsa_float_round_mode_32 0
		.amdhsa_float_round_mode_16_64 0
		.amdhsa_float_denorm_mode_32 3
		.amdhsa_float_denorm_mode_16_64 3
		.amdhsa_dx10_clamp 1
		.amdhsa_ieee_mode 1
		.amdhsa_fp16_overflow 0
		.amdhsa_tg_split 0
		.amdhsa_exception_fp_ieee_invalid_op 0
		.amdhsa_exception_fp_denorm_src 0
		.amdhsa_exception_fp_ieee_div_zero 0
		.amdhsa_exception_fp_ieee_overflow 0
		.amdhsa_exception_fp_ieee_underflow 0
		.amdhsa_exception_fp_ieee_inexact 0
		.amdhsa_exception_int_div_zero 0
	.end_amdhsa_kernel
	.section	.text._ZN7rocprim17ROCPRIM_400000_NS6detail17trampoline_kernelINS0_14default_configENS1_27scan_by_key_config_selectorIllEEZZNS1_16scan_by_key_implILNS1_25lookback_scan_determinismE0ELb0ES3_PKlN6hipcub16HIPCUB_304000_NS21ConstantInputIteratorIllEEPllNSB_3SumENSB_8EqualityElEE10hipError_tPvRmT2_T3_T4_T5_mT6_T7_P12ihipStream_tbENKUlT_T0_E_clISt17integral_constantIbLb1EESW_IbLb0EEEEDaSS_ST_EUlSS_E_NS1_11comp_targetILNS1_3genE9ELNS1_11target_archE1100ELNS1_3gpuE3ELNS1_3repE0EEENS1_30default_config_static_selectorELNS0_4arch9wavefront6targetE1EEEvT1_,"axG",@progbits,_ZN7rocprim17ROCPRIM_400000_NS6detail17trampoline_kernelINS0_14default_configENS1_27scan_by_key_config_selectorIllEEZZNS1_16scan_by_key_implILNS1_25lookback_scan_determinismE0ELb0ES3_PKlN6hipcub16HIPCUB_304000_NS21ConstantInputIteratorIllEEPllNSB_3SumENSB_8EqualityElEE10hipError_tPvRmT2_T3_T4_T5_mT6_T7_P12ihipStream_tbENKUlT_T0_E_clISt17integral_constantIbLb1EESW_IbLb0EEEEDaSS_ST_EUlSS_E_NS1_11comp_targetILNS1_3genE9ELNS1_11target_archE1100ELNS1_3gpuE3ELNS1_3repE0EEENS1_30default_config_static_selectorELNS0_4arch9wavefront6targetE1EEEvT1_,comdat
.Lfunc_end123:
	.size	_ZN7rocprim17ROCPRIM_400000_NS6detail17trampoline_kernelINS0_14default_configENS1_27scan_by_key_config_selectorIllEEZZNS1_16scan_by_key_implILNS1_25lookback_scan_determinismE0ELb0ES3_PKlN6hipcub16HIPCUB_304000_NS21ConstantInputIteratorIllEEPllNSB_3SumENSB_8EqualityElEE10hipError_tPvRmT2_T3_T4_T5_mT6_T7_P12ihipStream_tbENKUlT_T0_E_clISt17integral_constantIbLb1EESW_IbLb0EEEEDaSS_ST_EUlSS_E_NS1_11comp_targetILNS1_3genE9ELNS1_11target_archE1100ELNS1_3gpuE3ELNS1_3repE0EEENS1_30default_config_static_selectorELNS0_4arch9wavefront6targetE1EEEvT1_, .Lfunc_end123-_ZN7rocprim17ROCPRIM_400000_NS6detail17trampoline_kernelINS0_14default_configENS1_27scan_by_key_config_selectorIllEEZZNS1_16scan_by_key_implILNS1_25lookback_scan_determinismE0ELb0ES3_PKlN6hipcub16HIPCUB_304000_NS21ConstantInputIteratorIllEEPllNSB_3SumENSB_8EqualityElEE10hipError_tPvRmT2_T3_T4_T5_mT6_T7_P12ihipStream_tbENKUlT_T0_E_clISt17integral_constantIbLb1EESW_IbLb0EEEEDaSS_ST_EUlSS_E_NS1_11comp_targetILNS1_3genE9ELNS1_11target_archE1100ELNS1_3gpuE3ELNS1_3repE0EEENS1_30default_config_static_selectorELNS0_4arch9wavefront6targetE1EEEvT1_
                                        ; -- End function
	.section	.AMDGPU.csdata,"",@progbits
; Kernel info:
; codeLenInByte = 0
; NumSgprs: 6
; NumVgprs: 0
; NumAgprs: 0
; TotalNumVgprs: 0
; ScratchSize: 0
; MemoryBound: 0
; FloatMode: 240
; IeeeMode: 1
; LDSByteSize: 0 bytes/workgroup (compile time only)
; SGPRBlocks: 0
; VGPRBlocks: 0
; NumSGPRsForWavesPerEU: 6
; NumVGPRsForWavesPerEU: 1
; AccumOffset: 4
; Occupancy: 8
; WaveLimiterHint : 0
; COMPUTE_PGM_RSRC2:SCRATCH_EN: 0
; COMPUTE_PGM_RSRC2:USER_SGPR: 2
; COMPUTE_PGM_RSRC2:TRAP_HANDLER: 0
; COMPUTE_PGM_RSRC2:TGID_X_EN: 1
; COMPUTE_PGM_RSRC2:TGID_Y_EN: 0
; COMPUTE_PGM_RSRC2:TGID_Z_EN: 0
; COMPUTE_PGM_RSRC2:TIDIG_COMP_CNT: 0
; COMPUTE_PGM_RSRC3_GFX90A:ACCUM_OFFSET: 0
; COMPUTE_PGM_RSRC3_GFX90A:TG_SPLIT: 0
	.section	.text._ZN7rocprim17ROCPRIM_400000_NS6detail17trampoline_kernelINS0_14default_configENS1_27scan_by_key_config_selectorIllEEZZNS1_16scan_by_key_implILNS1_25lookback_scan_determinismE0ELb0ES3_PKlN6hipcub16HIPCUB_304000_NS21ConstantInputIteratorIllEEPllNSB_3SumENSB_8EqualityElEE10hipError_tPvRmT2_T3_T4_T5_mT6_T7_P12ihipStream_tbENKUlT_T0_E_clISt17integral_constantIbLb1EESW_IbLb0EEEEDaSS_ST_EUlSS_E_NS1_11comp_targetILNS1_3genE8ELNS1_11target_archE1030ELNS1_3gpuE2ELNS1_3repE0EEENS1_30default_config_static_selectorELNS0_4arch9wavefront6targetE1EEEvT1_,"axG",@progbits,_ZN7rocprim17ROCPRIM_400000_NS6detail17trampoline_kernelINS0_14default_configENS1_27scan_by_key_config_selectorIllEEZZNS1_16scan_by_key_implILNS1_25lookback_scan_determinismE0ELb0ES3_PKlN6hipcub16HIPCUB_304000_NS21ConstantInputIteratorIllEEPllNSB_3SumENSB_8EqualityElEE10hipError_tPvRmT2_T3_T4_T5_mT6_T7_P12ihipStream_tbENKUlT_T0_E_clISt17integral_constantIbLb1EESW_IbLb0EEEEDaSS_ST_EUlSS_E_NS1_11comp_targetILNS1_3genE8ELNS1_11target_archE1030ELNS1_3gpuE2ELNS1_3repE0EEENS1_30default_config_static_selectorELNS0_4arch9wavefront6targetE1EEEvT1_,comdat
	.protected	_ZN7rocprim17ROCPRIM_400000_NS6detail17trampoline_kernelINS0_14default_configENS1_27scan_by_key_config_selectorIllEEZZNS1_16scan_by_key_implILNS1_25lookback_scan_determinismE0ELb0ES3_PKlN6hipcub16HIPCUB_304000_NS21ConstantInputIteratorIllEEPllNSB_3SumENSB_8EqualityElEE10hipError_tPvRmT2_T3_T4_T5_mT6_T7_P12ihipStream_tbENKUlT_T0_E_clISt17integral_constantIbLb1EESW_IbLb0EEEEDaSS_ST_EUlSS_E_NS1_11comp_targetILNS1_3genE8ELNS1_11target_archE1030ELNS1_3gpuE2ELNS1_3repE0EEENS1_30default_config_static_selectorELNS0_4arch9wavefront6targetE1EEEvT1_ ; -- Begin function _ZN7rocprim17ROCPRIM_400000_NS6detail17trampoline_kernelINS0_14default_configENS1_27scan_by_key_config_selectorIllEEZZNS1_16scan_by_key_implILNS1_25lookback_scan_determinismE0ELb0ES3_PKlN6hipcub16HIPCUB_304000_NS21ConstantInputIteratorIllEEPllNSB_3SumENSB_8EqualityElEE10hipError_tPvRmT2_T3_T4_T5_mT6_T7_P12ihipStream_tbENKUlT_T0_E_clISt17integral_constantIbLb1EESW_IbLb0EEEEDaSS_ST_EUlSS_E_NS1_11comp_targetILNS1_3genE8ELNS1_11target_archE1030ELNS1_3gpuE2ELNS1_3repE0EEENS1_30default_config_static_selectorELNS0_4arch9wavefront6targetE1EEEvT1_
	.globl	_ZN7rocprim17ROCPRIM_400000_NS6detail17trampoline_kernelINS0_14default_configENS1_27scan_by_key_config_selectorIllEEZZNS1_16scan_by_key_implILNS1_25lookback_scan_determinismE0ELb0ES3_PKlN6hipcub16HIPCUB_304000_NS21ConstantInputIteratorIllEEPllNSB_3SumENSB_8EqualityElEE10hipError_tPvRmT2_T3_T4_T5_mT6_T7_P12ihipStream_tbENKUlT_T0_E_clISt17integral_constantIbLb1EESW_IbLb0EEEEDaSS_ST_EUlSS_E_NS1_11comp_targetILNS1_3genE8ELNS1_11target_archE1030ELNS1_3gpuE2ELNS1_3repE0EEENS1_30default_config_static_selectorELNS0_4arch9wavefront6targetE1EEEvT1_
	.p2align	8
	.type	_ZN7rocprim17ROCPRIM_400000_NS6detail17trampoline_kernelINS0_14default_configENS1_27scan_by_key_config_selectorIllEEZZNS1_16scan_by_key_implILNS1_25lookback_scan_determinismE0ELb0ES3_PKlN6hipcub16HIPCUB_304000_NS21ConstantInputIteratorIllEEPllNSB_3SumENSB_8EqualityElEE10hipError_tPvRmT2_T3_T4_T5_mT6_T7_P12ihipStream_tbENKUlT_T0_E_clISt17integral_constantIbLb1EESW_IbLb0EEEEDaSS_ST_EUlSS_E_NS1_11comp_targetILNS1_3genE8ELNS1_11target_archE1030ELNS1_3gpuE2ELNS1_3repE0EEENS1_30default_config_static_selectorELNS0_4arch9wavefront6targetE1EEEvT1_,@function
_ZN7rocprim17ROCPRIM_400000_NS6detail17trampoline_kernelINS0_14default_configENS1_27scan_by_key_config_selectorIllEEZZNS1_16scan_by_key_implILNS1_25lookback_scan_determinismE0ELb0ES3_PKlN6hipcub16HIPCUB_304000_NS21ConstantInputIteratorIllEEPllNSB_3SumENSB_8EqualityElEE10hipError_tPvRmT2_T3_T4_T5_mT6_T7_P12ihipStream_tbENKUlT_T0_E_clISt17integral_constantIbLb1EESW_IbLb0EEEEDaSS_ST_EUlSS_E_NS1_11comp_targetILNS1_3genE8ELNS1_11target_archE1030ELNS1_3gpuE2ELNS1_3repE0EEENS1_30default_config_static_selectorELNS0_4arch9wavefront6targetE1EEEvT1_: ; @_ZN7rocprim17ROCPRIM_400000_NS6detail17trampoline_kernelINS0_14default_configENS1_27scan_by_key_config_selectorIllEEZZNS1_16scan_by_key_implILNS1_25lookback_scan_determinismE0ELb0ES3_PKlN6hipcub16HIPCUB_304000_NS21ConstantInputIteratorIllEEPllNSB_3SumENSB_8EqualityElEE10hipError_tPvRmT2_T3_T4_T5_mT6_T7_P12ihipStream_tbENKUlT_T0_E_clISt17integral_constantIbLb1EESW_IbLb0EEEEDaSS_ST_EUlSS_E_NS1_11comp_targetILNS1_3genE8ELNS1_11target_archE1030ELNS1_3gpuE2ELNS1_3repE0EEENS1_30default_config_static_selectorELNS0_4arch9wavefront6targetE1EEEvT1_
; %bb.0:
	.section	.rodata,"a",@progbits
	.p2align	6, 0x0
	.amdhsa_kernel _ZN7rocprim17ROCPRIM_400000_NS6detail17trampoline_kernelINS0_14default_configENS1_27scan_by_key_config_selectorIllEEZZNS1_16scan_by_key_implILNS1_25lookback_scan_determinismE0ELb0ES3_PKlN6hipcub16HIPCUB_304000_NS21ConstantInputIteratorIllEEPllNSB_3SumENSB_8EqualityElEE10hipError_tPvRmT2_T3_T4_T5_mT6_T7_P12ihipStream_tbENKUlT_T0_E_clISt17integral_constantIbLb1EESW_IbLb0EEEEDaSS_ST_EUlSS_E_NS1_11comp_targetILNS1_3genE8ELNS1_11target_archE1030ELNS1_3gpuE2ELNS1_3repE0EEENS1_30default_config_static_selectorELNS0_4arch9wavefront6targetE1EEEvT1_
		.amdhsa_group_segment_fixed_size 0
		.amdhsa_private_segment_fixed_size 0
		.amdhsa_kernarg_size 144
		.amdhsa_user_sgpr_count 2
		.amdhsa_user_sgpr_dispatch_ptr 0
		.amdhsa_user_sgpr_queue_ptr 0
		.amdhsa_user_sgpr_kernarg_segment_ptr 1
		.amdhsa_user_sgpr_dispatch_id 0
		.amdhsa_user_sgpr_kernarg_preload_length 0
		.amdhsa_user_sgpr_kernarg_preload_offset 0
		.amdhsa_user_sgpr_private_segment_size 0
		.amdhsa_uses_dynamic_stack 0
		.amdhsa_enable_private_segment 0
		.amdhsa_system_sgpr_workgroup_id_x 1
		.amdhsa_system_sgpr_workgroup_id_y 0
		.amdhsa_system_sgpr_workgroup_id_z 0
		.amdhsa_system_sgpr_workgroup_info 0
		.amdhsa_system_vgpr_workitem_id 0
		.amdhsa_next_free_vgpr 1
		.amdhsa_next_free_sgpr 0
		.amdhsa_accum_offset 4
		.amdhsa_reserve_vcc 0
		.amdhsa_float_round_mode_32 0
		.amdhsa_float_round_mode_16_64 0
		.amdhsa_float_denorm_mode_32 3
		.amdhsa_float_denorm_mode_16_64 3
		.amdhsa_dx10_clamp 1
		.amdhsa_ieee_mode 1
		.amdhsa_fp16_overflow 0
		.amdhsa_tg_split 0
		.amdhsa_exception_fp_ieee_invalid_op 0
		.amdhsa_exception_fp_denorm_src 0
		.amdhsa_exception_fp_ieee_div_zero 0
		.amdhsa_exception_fp_ieee_overflow 0
		.amdhsa_exception_fp_ieee_underflow 0
		.amdhsa_exception_fp_ieee_inexact 0
		.amdhsa_exception_int_div_zero 0
	.end_amdhsa_kernel
	.section	.text._ZN7rocprim17ROCPRIM_400000_NS6detail17trampoline_kernelINS0_14default_configENS1_27scan_by_key_config_selectorIllEEZZNS1_16scan_by_key_implILNS1_25lookback_scan_determinismE0ELb0ES3_PKlN6hipcub16HIPCUB_304000_NS21ConstantInputIteratorIllEEPllNSB_3SumENSB_8EqualityElEE10hipError_tPvRmT2_T3_T4_T5_mT6_T7_P12ihipStream_tbENKUlT_T0_E_clISt17integral_constantIbLb1EESW_IbLb0EEEEDaSS_ST_EUlSS_E_NS1_11comp_targetILNS1_3genE8ELNS1_11target_archE1030ELNS1_3gpuE2ELNS1_3repE0EEENS1_30default_config_static_selectorELNS0_4arch9wavefront6targetE1EEEvT1_,"axG",@progbits,_ZN7rocprim17ROCPRIM_400000_NS6detail17trampoline_kernelINS0_14default_configENS1_27scan_by_key_config_selectorIllEEZZNS1_16scan_by_key_implILNS1_25lookback_scan_determinismE0ELb0ES3_PKlN6hipcub16HIPCUB_304000_NS21ConstantInputIteratorIllEEPllNSB_3SumENSB_8EqualityElEE10hipError_tPvRmT2_T3_T4_T5_mT6_T7_P12ihipStream_tbENKUlT_T0_E_clISt17integral_constantIbLb1EESW_IbLb0EEEEDaSS_ST_EUlSS_E_NS1_11comp_targetILNS1_3genE8ELNS1_11target_archE1030ELNS1_3gpuE2ELNS1_3repE0EEENS1_30default_config_static_selectorELNS0_4arch9wavefront6targetE1EEEvT1_,comdat
.Lfunc_end124:
	.size	_ZN7rocprim17ROCPRIM_400000_NS6detail17trampoline_kernelINS0_14default_configENS1_27scan_by_key_config_selectorIllEEZZNS1_16scan_by_key_implILNS1_25lookback_scan_determinismE0ELb0ES3_PKlN6hipcub16HIPCUB_304000_NS21ConstantInputIteratorIllEEPllNSB_3SumENSB_8EqualityElEE10hipError_tPvRmT2_T3_T4_T5_mT6_T7_P12ihipStream_tbENKUlT_T0_E_clISt17integral_constantIbLb1EESW_IbLb0EEEEDaSS_ST_EUlSS_E_NS1_11comp_targetILNS1_3genE8ELNS1_11target_archE1030ELNS1_3gpuE2ELNS1_3repE0EEENS1_30default_config_static_selectorELNS0_4arch9wavefront6targetE1EEEvT1_, .Lfunc_end124-_ZN7rocprim17ROCPRIM_400000_NS6detail17trampoline_kernelINS0_14default_configENS1_27scan_by_key_config_selectorIllEEZZNS1_16scan_by_key_implILNS1_25lookback_scan_determinismE0ELb0ES3_PKlN6hipcub16HIPCUB_304000_NS21ConstantInputIteratorIllEEPllNSB_3SumENSB_8EqualityElEE10hipError_tPvRmT2_T3_T4_T5_mT6_T7_P12ihipStream_tbENKUlT_T0_E_clISt17integral_constantIbLb1EESW_IbLb0EEEEDaSS_ST_EUlSS_E_NS1_11comp_targetILNS1_3genE8ELNS1_11target_archE1030ELNS1_3gpuE2ELNS1_3repE0EEENS1_30default_config_static_selectorELNS0_4arch9wavefront6targetE1EEEvT1_
                                        ; -- End function
	.section	.AMDGPU.csdata,"",@progbits
; Kernel info:
; codeLenInByte = 0
; NumSgprs: 6
; NumVgprs: 0
; NumAgprs: 0
; TotalNumVgprs: 0
; ScratchSize: 0
; MemoryBound: 0
; FloatMode: 240
; IeeeMode: 1
; LDSByteSize: 0 bytes/workgroup (compile time only)
; SGPRBlocks: 0
; VGPRBlocks: 0
; NumSGPRsForWavesPerEU: 6
; NumVGPRsForWavesPerEU: 1
; AccumOffset: 4
; Occupancy: 8
; WaveLimiterHint : 0
; COMPUTE_PGM_RSRC2:SCRATCH_EN: 0
; COMPUTE_PGM_RSRC2:USER_SGPR: 2
; COMPUTE_PGM_RSRC2:TRAP_HANDLER: 0
; COMPUTE_PGM_RSRC2:TGID_X_EN: 1
; COMPUTE_PGM_RSRC2:TGID_Y_EN: 0
; COMPUTE_PGM_RSRC2:TGID_Z_EN: 0
; COMPUTE_PGM_RSRC2:TIDIG_COMP_CNT: 0
; COMPUTE_PGM_RSRC3_GFX90A:ACCUM_OFFSET: 0
; COMPUTE_PGM_RSRC3_GFX90A:TG_SPLIT: 0
	.section	.text._ZN7rocprim17ROCPRIM_400000_NS6detail30init_device_scan_by_key_kernelINS1_19lookback_scan_stateINS0_5tupleIJlbEEELb0ELb0EEEPKljNS1_16block_id_wrapperIjLb1EEEEEvT_jjPNSB_10value_typeET0_PNSt15iterator_traitsISE_E10value_typeEmT1_T2_,"axG",@progbits,_ZN7rocprim17ROCPRIM_400000_NS6detail30init_device_scan_by_key_kernelINS1_19lookback_scan_stateINS0_5tupleIJlbEEELb0ELb0EEEPKljNS1_16block_id_wrapperIjLb1EEEEEvT_jjPNSB_10value_typeET0_PNSt15iterator_traitsISE_E10value_typeEmT1_T2_,comdat
	.protected	_ZN7rocprim17ROCPRIM_400000_NS6detail30init_device_scan_by_key_kernelINS1_19lookback_scan_stateINS0_5tupleIJlbEEELb0ELb0EEEPKljNS1_16block_id_wrapperIjLb1EEEEEvT_jjPNSB_10value_typeET0_PNSt15iterator_traitsISE_E10value_typeEmT1_T2_ ; -- Begin function _ZN7rocprim17ROCPRIM_400000_NS6detail30init_device_scan_by_key_kernelINS1_19lookback_scan_stateINS0_5tupleIJlbEEELb0ELb0EEEPKljNS1_16block_id_wrapperIjLb1EEEEEvT_jjPNSB_10value_typeET0_PNSt15iterator_traitsISE_E10value_typeEmT1_T2_
	.globl	_ZN7rocprim17ROCPRIM_400000_NS6detail30init_device_scan_by_key_kernelINS1_19lookback_scan_stateINS0_5tupleIJlbEEELb0ELb0EEEPKljNS1_16block_id_wrapperIjLb1EEEEEvT_jjPNSB_10value_typeET0_PNSt15iterator_traitsISE_E10value_typeEmT1_T2_
	.p2align	8
	.type	_ZN7rocprim17ROCPRIM_400000_NS6detail30init_device_scan_by_key_kernelINS1_19lookback_scan_stateINS0_5tupleIJlbEEELb0ELb0EEEPKljNS1_16block_id_wrapperIjLb1EEEEEvT_jjPNSB_10value_typeET0_PNSt15iterator_traitsISE_E10value_typeEmT1_T2_,@function
_ZN7rocprim17ROCPRIM_400000_NS6detail30init_device_scan_by_key_kernelINS1_19lookback_scan_stateINS0_5tupleIJlbEEELb0ELb0EEEPKljNS1_16block_id_wrapperIjLb1EEEEEvT_jjPNSB_10value_typeET0_PNSt15iterator_traitsISE_E10value_typeEmT1_T2_: ; @_ZN7rocprim17ROCPRIM_400000_NS6detail30init_device_scan_by_key_kernelINS1_19lookback_scan_stateINS0_5tupleIJlbEEELb0ELb0EEEPKljNS1_16block_id_wrapperIjLb1EEEEEvT_jjPNSB_10value_typeET0_PNSt15iterator_traitsISE_E10value_typeEmT1_T2_
; %bb.0:
	s_load_dword s3, s[0:1], 0x5c
	s_load_dwordx8 s[4:11], s[0:1], 0x10
	s_load_dword s20, s[0:1], 0x50
	s_waitcnt lgkmcnt(0)
	s_and_b32 s21, s3, 0xffff
	s_mul_i32 s2, s2, s21
	s_cmp_eq_u64 s[8:9], 0
	v_add_u32_e32 v0, s2, v0
	s_cbranch_scc1 .LBB125_7
; %bb.1:
	s_cmp_lt_u32 s7, s6
	s_cselect_b32 s2, s7, 0
	s_mov_b32 s17, 0
	v_cmp_eq_u32_e32 vcc, s2, v0
	s_and_saveexec_b64 s[2:3], vcc
	s_cbranch_execz .LBB125_6
; %bb.2:
	s_add_i32 s16, s7, 64
	v_mov_b32_e32 v1, s16
	global_load_ubyte v1, v1, s[4:5] sc1
	s_load_dwordx4 s[12:15], s[0:1], 0x0
	s_add_u32 s18, s4, s16
	s_addc_u32 s19, s5, 0
	s_waitcnt vmcnt(0)
	v_cmp_ne_u16_e32 vcc, 0, v1
	v_readfirstlane_b32 s7, v1
	s_cbranch_vccnz .LBB125_5
; %bb.3:
	v_mov_b32_e32 v1, 0
.LBB125_4:                              ; =>This Inner Loop Header: Depth=1
	global_load_ubyte v2, v1, s[18:19] sc1
	s_waitcnt vmcnt(0)
	v_cmp_eq_u16_e32 vcc, 0, v2
	v_readfirstlane_b32 s7, v2
	s_cbranch_vccnz .LBB125_4
.LBB125_5:
	s_and_b32 s7, 0xffff, s7
	s_cmp_eq_u32 s7, 1
	s_waitcnt lgkmcnt(0)
	s_cselect_b32 s7, s13, s15
	s_cselect_b32 s14, s12, s14
	s_lshl_b64 s[12:13], s[16:17], 4
	s_add_u32 s12, s14, s12
	s_addc_u32 s13, s7, s13
	v_mov_b32_e32 v1, 0
	s_waitcnt vmcnt(0)
	global_load_dword v2, v1, s[12:13] sc1
	global_load_dword v3, v1, s[12:13] offset:4 sc1
	global_load_dword v4, v1, s[12:13] offset:8 sc1
	;; [unrolled: 1-line block ×3, first 2 shown]
	s_waitcnt vmcnt(2)
	global_store_dwordx2 v1, v[2:3], s[8:9]
	s_waitcnt vmcnt(2)
	global_store_byte v1, v4, s[8:9] offset:8
.LBB125_6:
	s_or_b64 exec, exec, s[2:3]
.LBB125_7:
	v_cmp_eq_u32_e32 vcc, 0, v0
	s_and_saveexec_b64 s[2:3], vcc
	s_cbranch_execz .LBB125_9
; %bb.8:
	s_load_dwordx2 s[8:9], s[0:1], 0x48
	v_mov_b32_e32 v1, 0
	s_waitcnt lgkmcnt(0)
	global_store_dword v1, v1, s[8:9]
.LBB125_9:
	s_or_b64 exec, exec, s[2:3]
	v_cmp_gt_u32_e32 vcc, s6, v0
	s_and_saveexec_b64 s[2:3], vcc
	s_cbranch_execz .LBB125_11
; %bb.10:
	v_add_u32_e32 v1, 64, v0
	v_mov_b32_e32 v2, 0
	global_store_byte v1, v2, s[4:5]
.LBB125_11:
	s_or_b64 exec, exec, s[2:3]
	v_cmp_gt_u32_e32 vcc, 64, v0
	v_mov_b32_e32 v1, 0
	s_and_saveexec_b64 s[2:3], vcc
	s_cbranch_execz .LBB125_13
; %bb.12:
	v_lshl_add_u64 v[2:3], s[4:5], 0, v[0:1]
	v_mov_b32_e32 v4, 0xff
	global_store_byte v[2:3], v4, off
.LBB125_13:
	s_or_b64 exec, exec, s[2:3]
	s_load_dwordx2 s[2:3], s[0:1], 0x38
	s_waitcnt lgkmcnt(0)
	v_cmp_gt_u64_e32 vcc, s[2:3], v[0:1]
	s_and_saveexec_b64 s[4:5], vcc
	s_cbranch_execz .LBB125_16
; %bb.14:
	s_load_dword s12, s[0:1], 0x40
	s_load_dwordx2 s[6:7], s[0:1], 0x30
	s_mov_b32 s5, 0
	s_mov_b32 s1, s5
	s_mul_i32 s0, s20, s21
	s_waitcnt lgkmcnt(0)
	s_add_i32 s4, s12, -1
	s_lshl_b64 s[4:5], s[4:5], 3
	s_add_u32 s4, s10, s4
	v_mad_u64_u32 v[2:3], s[8:9], s12, v0, 0
	s_addc_u32 s5, s11, s5
	v_lshl_add_u64 v[2:3], v[2:3], 3, s[4:5]
	s_mul_hi_u32 s5, s12, s0
	s_mul_i32 s4, s12, s0
	s_lshl_b64 s[4:5], s[4:5], 3
	s_waitcnt vmcnt(2)
	v_lshl_add_u64 v[4:5], v[0:1], 3, s[6:7]
	s_lshl_b64 s[6:7], s[0:1], 3
	s_mov_b64 s[8:9], 0
.LBB125_15:                             ; =>This Inner Loop Header: Depth=1
	global_load_dwordx2 v[6:7], v[2:3], off
	v_lshl_add_u64 v[0:1], v[0:1], 0, s[0:1]
	v_cmp_le_u64_e32 vcc, s[2:3], v[0:1]
	v_lshl_add_u64 v[2:3], v[2:3], 0, s[4:5]
	s_or_b64 s[8:9], vcc, s[8:9]
	s_waitcnt vmcnt(0)
	global_store_dwordx2 v[4:5], v[6:7], off
	v_lshl_add_u64 v[4:5], v[4:5], 0, s[6:7]
	s_andn2_b64 exec, exec, s[8:9]
	s_cbranch_execnz .LBB125_15
.LBB125_16:
	s_endpgm
	.section	.rodata,"a",@progbits
	.p2align	6, 0x0
	.amdhsa_kernel _ZN7rocprim17ROCPRIM_400000_NS6detail30init_device_scan_by_key_kernelINS1_19lookback_scan_stateINS0_5tupleIJlbEEELb0ELb0EEEPKljNS1_16block_id_wrapperIjLb1EEEEEvT_jjPNSB_10value_typeET0_PNSt15iterator_traitsISE_E10value_typeEmT1_T2_
		.amdhsa_group_segment_fixed_size 0
		.amdhsa_private_segment_fixed_size 0
		.amdhsa_kernarg_size 336
		.amdhsa_user_sgpr_count 2
		.amdhsa_user_sgpr_dispatch_ptr 0
		.amdhsa_user_sgpr_queue_ptr 0
		.amdhsa_user_sgpr_kernarg_segment_ptr 1
		.amdhsa_user_sgpr_dispatch_id 0
		.amdhsa_user_sgpr_kernarg_preload_length 0
		.amdhsa_user_sgpr_kernarg_preload_offset 0
		.amdhsa_user_sgpr_private_segment_size 0
		.amdhsa_uses_dynamic_stack 0
		.amdhsa_enable_private_segment 0
		.amdhsa_system_sgpr_workgroup_id_x 1
		.amdhsa_system_sgpr_workgroup_id_y 0
		.amdhsa_system_sgpr_workgroup_id_z 0
		.amdhsa_system_sgpr_workgroup_info 0
		.amdhsa_system_vgpr_workitem_id 0
		.amdhsa_next_free_vgpr 8
		.amdhsa_next_free_sgpr 22
		.amdhsa_accum_offset 8
		.amdhsa_reserve_vcc 1
		.amdhsa_float_round_mode_32 0
		.amdhsa_float_round_mode_16_64 0
		.amdhsa_float_denorm_mode_32 3
		.amdhsa_float_denorm_mode_16_64 3
		.amdhsa_dx10_clamp 1
		.amdhsa_ieee_mode 1
		.amdhsa_fp16_overflow 0
		.amdhsa_tg_split 0
		.amdhsa_exception_fp_ieee_invalid_op 0
		.amdhsa_exception_fp_denorm_src 0
		.amdhsa_exception_fp_ieee_div_zero 0
		.amdhsa_exception_fp_ieee_overflow 0
		.amdhsa_exception_fp_ieee_underflow 0
		.amdhsa_exception_fp_ieee_inexact 0
		.amdhsa_exception_int_div_zero 0
	.end_amdhsa_kernel
	.section	.text._ZN7rocprim17ROCPRIM_400000_NS6detail30init_device_scan_by_key_kernelINS1_19lookback_scan_stateINS0_5tupleIJlbEEELb0ELb0EEEPKljNS1_16block_id_wrapperIjLb1EEEEEvT_jjPNSB_10value_typeET0_PNSt15iterator_traitsISE_E10value_typeEmT1_T2_,"axG",@progbits,_ZN7rocprim17ROCPRIM_400000_NS6detail30init_device_scan_by_key_kernelINS1_19lookback_scan_stateINS0_5tupleIJlbEEELb0ELb0EEEPKljNS1_16block_id_wrapperIjLb1EEEEEvT_jjPNSB_10value_typeET0_PNSt15iterator_traitsISE_E10value_typeEmT1_T2_,comdat
.Lfunc_end125:
	.size	_ZN7rocprim17ROCPRIM_400000_NS6detail30init_device_scan_by_key_kernelINS1_19lookback_scan_stateINS0_5tupleIJlbEEELb0ELb0EEEPKljNS1_16block_id_wrapperIjLb1EEEEEvT_jjPNSB_10value_typeET0_PNSt15iterator_traitsISE_E10value_typeEmT1_T2_, .Lfunc_end125-_ZN7rocprim17ROCPRIM_400000_NS6detail30init_device_scan_by_key_kernelINS1_19lookback_scan_stateINS0_5tupleIJlbEEELb0ELb0EEEPKljNS1_16block_id_wrapperIjLb1EEEEEvT_jjPNSB_10value_typeET0_PNSt15iterator_traitsISE_E10value_typeEmT1_T2_
                                        ; -- End function
	.section	.AMDGPU.csdata,"",@progbits
; Kernel info:
; codeLenInByte = 556
; NumSgprs: 28
; NumVgprs: 8
; NumAgprs: 0
; TotalNumVgprs: 8
; ScratchSize: 0
; MemoryBound: 0
; FloatMode: 240
; IeeeMode: 1
; LDSByteSize: 0 bytes/workgroup (compile time only)
; SGPRBlocks: 3
; VGPRBlocks: 0
; NumSGPRsForWavesPerEU: 28
; NumVGPRsForWavesPerEU: 8
; AccumOffset: 8
; Occupancy: 8
; WaveLimiterHint : 0
; COMPUTE_PGM_RSRC2:SCRATCH_EN: 0
; COMPUTE_PGM_RSRC2:USER_SGPR: 2
; COMPUTE_PGM_RSRC2:TRAP_HANDLER: 0
; COMPUTE_PGM_RSRC2:TGID_X_EN: 1
; COMPUTE_PGM_RSRC2:TGID_Y_EN: 0
; COMPUTE_PGM_RSRC2:TGID_Z_EN: 0
; COMPUTE_PGM_RSRC2:TIDIG_COMP_CNT: 0
; COMPUTE_PGM_RSRC3_GFX90A:ACCUM_OFFSET: 1
; COMPUTE_PGM_RSRC3_GFX90A:TG_SPLIT: 0
	.section	.text._ZN7rocprim17ROCPRIM_400000_NS6detail30init_device_scan_by_key_kernelINS1_19lookback_scan_stateINS0_5tupleIJlbEEELb0ELb0EEENS1_16block_id_wrapperIjLb1EEEEEvT_jjPNS9_10value_typeET0_,"axG",@progbits,_ZN7rocprim17ROCPRIM_400000_NS6detail30init_device_scan_by_key_kernelINS1_19lookback_scan_stateINS0_5tupleIJlbEEELb0ELb0EEENS1_16block_id_wrapperIjLb1EEEEEvT_jjPNS9_10value_typeET0_,comdat
	.protected	_ZN7rocprim17ROCPRIM_400000_NS6detail30init_device_scan_by_key_kernelINS1_19lookback_scan_stateINS0_5tupleIJlbEEELb0ELb0EEENS1_16block_id_wrapperIjLb1EEEEEvT_jjPNS9_10value_typeET0_ ; -- Begin function _ZN7rocprim17ROCPRIM_400000_NS6detail30init_device_scan_by_key_kernelINS1_19lookback_scan_stateINS0_5tupleIJlbEEELb0ELb0EEENS1_16block_id_wrapperIjLb1EEEEEvT_jjPNS9_10value_typeET0_
	.globl	_ZN7rocprim17ROCPRIM_400000_NS6detail30init_device_scan_by_key_kernelINS1_19lookback_scan_stateINS0_5tupleIJlbEEELb0ELb0EEENS1_16block_id_wrapperIjLb1EEEEEvT_jjPNS9_10value_typeET0_
	.p2align	8
	.type	_ZN7rocprim17ROCPRIM_400000_NS6detail30init_device_scan_by_key_kernelINS1_19lookback_scan_stateINS0_5tupleIJlbEEELb0ELb0EEENS1_16block_id_wrapperIjLb1EEEEEvT_jjPNS9_10value_typeET0_,@function
_ZN7rocprim17ROCPRIM_400000_NS6detail30init_device_scan_by_key_kernelINS1_19lookback_scan_stateINS0_5tupleIJlbEEELb0ELb0EEENS1_16block_id_wrapperIjLb1EEEEEvT_jjPNS9_10value_typeET0_: ; @_ZN7rocprim17ROCPRIM_400000_NS6detail30init_device_scan_by_key_kernelINS1_19lookback_scan_stateINS0_5tupleIJlbEEELb0ELb0EEENS1_16block_id_wrapperIjLb1EEEEEvT_jjPNS9_10value_typeET0_
; %bb.0:
	s_load_dword s3, s[0:1], 0x3c
	s_load_dwordx8 s[4:11], s[0:1], 0x10
	s_waitcnt lgkmcnt(0)
	s_and_b32 s3, s3, 0xffff
	s_mul_i32 s2, s2, s3
	s_cmp_eq_u64 s[8:9], 0
	v_add_u32_e32 v0, s2, v0
	s_cbranch_scc1 .LBB126_7
; %bb.1:
	s_cmp_lt_u32 s7, s6
	s_cselect_b32 s2, s7, 0
	s_mov_b32 s15, 0
	v_cmp_eq_u32_e32 vcc, s2, v0
	s_and_saveexec_b64 s[12:13], vcc
	s_cbranch_execz .LBB126_6
; %bb.2:
	s_add_i32 s14, s7, 64
	v_mov_b32_e32 v1, s14
	global_load_ubyte v1, v1, s[4:5] sc1
	s_load_dwordx4 s[0:3], s[0:1], 0x0
	s_add_u32 s16, s4, s14
	s_addc_u32 s17, s5, 0
	s_waitcnt vmcnt(0)
	v_cmp_ne_u16_e32 vcc, 0, v1
	v_readfirstlane_b32 s7, v1
	s_cbranch_vccnz .LBB126_5
; %bb.3:
	v_mov_b32_e32 v1, 0
.LBB126_4:                              ; =>This Inner Loop Header: Depth=1
	global_load_ubyte v2, v1, s[16:17] sc1
	s_waitcnt vmcnt(0)
	v_cmp_eq_u16_e32 vcc, 0, v2
	v_readfirstlane_b32 s7, v2
	s_cbranch_vccnz .LBB126_4
.LBB126_5:
	s_and_b32 s7, 0xffff, s7
	s_cmp_eq_u32 s7, 1
	s_waitcnt lgkmcnt(0)
	s_cselect_b32 s3, s1, s3
	s_cselect_b32 s2, s0, s2
	s_lshl_b64 s[0:1], s[14:15], 4
	s_add_u32 s0, s2, s0
	s_addc_u32 s1, s3, s1
	v_mov_b32_e32 v1, 0
	s_waitcnt vmcnt(0)
	global_load_dword v2, v1, s[0:1] sc1
	global_load_dword v3, v1, s[0:1] offset:4 sc1
	global_load_dword v4, v1, s[0:1] offset:8 sc1
	;; [unrolled: 1-line block ×3, first 2 shown]
	s_waitcnt vmcnt(2)
	global_store_dwordx2 v1, v[2:3], s[8:9]
	s_waitcnt vmcnt(2)
	global_store_byte v1, v4, s[8:9] offset:8
.LBB126_6:
	s_or_b64 exec, exec, s[12:13]
.LBB126_7:
	v_cmp_eq_u32_e32 vcc, 0, v0
	s_and_saveexec_b64 s[0:1], vcc
	s_cbranch_execnz .LBB126_11
; %bb.8:
	s_or_b64 exec, exec, s[0:1]
	v_cmp_gt_u32_e32 vcc, s6, v0
	s_and_saveexec_b64 s[0:1], vcc
	s_cbranch_execnz .LBB126_12
.LBB126_9:
	s_or_b64 exec, exec, s[0:1]
	v_cmp_gt_u32_e32 vcc, 64, v0
	s_and_saveexec_b64 s[0:1], vcc
	s_cbranch_execnz .LBB126_13
.LBB126_10:
	s_endpgm
.LBB126_11:
	v_mov_b32_e32 v1, 0
	global_store_dword v1, v1, s[10:11]
	s_or_b64 exec, exec, s[0:1]
	v_cmp_gt_u32_e32 vcc, s6, v0
	s_and_saveexec_b64 s[0:1], vcc
	s_cbranch_execz .LBB126_9
.LBB126_12:
	v_add_u32_e32 v1, 64, v0
	v_mov_b32_e32 v2, 0
	global_store_byte v1, v2, s[4:5]
	s_or_b64 exec, exec, s[0:1]
	v_cmp_gt_u32_e32 vcc, 64, v0
	s_and_saveexec_b64 s[0:1], vcc
	s_cbranch_execz .LBB126_10
.LBB126_13:
	v_mov_b32_e32 v1, 0xff
	global_store_byte v0, v1, s[4:5]
	s_endpgm
	.section	.rodata,"a",@progbits
	.p2align	6, 0x0
	.amdhsa_kernel _ZN7rocprim17ROCPRIM_400000_NS6detail30init_device_scan_by_key_kernelINS1_19lookback_scan_stateINS0_5tupleIJlbEEELb0ELb0EEENS1_16block_id_wrapperIjLb1EEEEEvT_jjPNS9_10value_typeET0_
		.amdhsa_group_segment_fixed_size 0
		.amdhsa_private_segment_fixed_size 0
		.amdhsa_kernarg_size 304
		.amdhsa_user_sgpr_count 2
		.amdhsa_user_sgpr_dispatch_ptr 0
		.amdhsa_user_sgpr_queue_ptr 0
		.amdhsa_user_sgpr_kernarg_segment_ptr 1
		.amdhsa_user_sgpr_dispatch_id 0
		.amdhsa_user_sgpr_kernarg_preload_length 0
		.amdhsa_user_sgpr_kernarg_preload_offset 0
		.amdhsa_user_sgpr_private_segment_size 0
		.amdhsa_uses_dynamic_stack 0
		.amdhsa_enable_private_segment 0
		.amdhsa_system_sgpr_workgroup_id_x 1
		.amdhsa_system_sgpr_workgroup_id_y 0
		.amdhsa_system_sgpr_workgroup_id_z 0
		.amdhsa_system_sgpr_workgroup_info 0
		.amdhsa_system_vgpr_workitem_id 0
		.amdhsa_next_free_vgpr 6
		.amdhsa_next_free_sgpr 18
		.amdhsa_accum_offset 8
		.amdhsa_reserve_vcc 1
		.amdhsa_float_round_mode_32 0
		.amdhsa_float_round_mode_16_64 0
		.amdhsa_float_denorm_mode_32 3
		.amdhsa_float_denorm_mode_16_64 3
		.amdhsa_dx10_clamp 1
		.amdhsa_ieee_mode 1
		.amdhsa_fp16_overflow 0
		.amdhsa_tg_split 0
		.amdhsa_exception_fp_ieee_invalid_op 0
		.amdhsa_exception_fp_denorm_src 0
		.amdhsa_exception_fp_ieee_div_zero 0
		.amdhsa_exception_fp_ieee_overflow 0
		.amdhsa_exception_fp_ieee_underflow 0
		.amdhsa_exception_fp_ieee_inexact 0
		.amdhsa_exception_int_div_zero 0
	.end_amdhsa_kernel
	.section	.text._ZN7rocprim17ROCPRIM_400000_NS6detail30init_device_scan_by_key_kernelINS1_19lookback_scan_stateINS0_5tupleIJlbEEELb0ELb0EEENS1_16block_id_wrapperIjLb1EEEEEvT_jjPNS9_10value_typeET0_,"axG",@progbits,_ZN7rocprim17ROCPRIM_400000_NS6detail30init_device_scan_by_key_kernelINS1_19lookback_scan_stateINS0_5tupleIJlbEEELb0ELb0EEENS1_16block_id_wrapperIjLb1EEEEEvT_jjPNS9_10value_typeET0_,comdat
.Lfunc_end126:
	.size	_ZN7rocprim17ROCPRIM_400000_NS6detail30init_device_scan_by_key_kernelINS1_19lookback_scan_stateINS0_5tupleIJlbEEELb0ELb0EEENS1_16block_id_wrapperIjLb1EEEEEvT_jjPNS9_10value_typeET0_, .Lfunc_end126-_ZN7rocprim17ROCPRIM_400000_NS6detail30init_device_scan_by_key_kernelINS1_19lookback_scan_stateINS0_5tupleIJlbEEELb0ELb0EEENS1_16block_id_wrapperIjLb1EEEEEvT_jjPNS9_10value_typeET0_
                                        ; -- End function
	.section	.AMDGPU.csdata,"",@progbits
; Kernel info:
; codeLenInByte = 376
; NumSgprs: 24
; NumVgprs: 6
; NumAgprs: 0
; TotalNumVgprs: 6
; ScratchSize: 0
; MemoryBound: 0
; FloatMode: 240
; IeeeMode: 1
; LDSByteSize: 0 bytes/workgroup (compile time only)
; SGPRBlocks: 2
; VGPRBlocks: 0
; NumSGPRsForWavesPerEU: 24
; NumVGPRsForWavesPerEU: 6
; AccumOffset: 8
; Occupancy: 8
; WaveLimiterHint : 0
; COMPUTE_PGM_RSRC2:SCRATCH_EN: 0
; COMPUTE_PGM_RSRC2:USER_SGPR: 2
; COMPUTE_PGM_RSRC2:TRAP_HANDLER: 0
; COMPUTE_PGM_RSRC2:TGID_X_EN: 1
; COMPUTE_PGM_RSRC2:TGID_Y_EN: 0
; COMPUTE_PGM_RSRC2:TGID_Z_EN: 0
; COMPUTE_PGM_RSRC2:TIDIG_COMP_CNT: 0
; COMPUTE_PGM_RSRC3_GFX90A:ACCUM_OFFSET: 1
; COMPUTE_PGM_RSRC3_GFX90A:TG_SPLIT: 0
	.section	.text._ZN7rocprim17ROCPRIM_400000_NS6detail17trampoline_kernelINS0_14default_configENS1_27scan_by_key_config_selectorIllEEZZNS1_16scan_by_key_implILNS1_25lookback_scan_determinismE0ELb0ES3_PKlN6hipcub16HIPCUB_304000_NS21ConstantInputIteratorIllEEPllNSB_3SumENSB_8EqualityElEE10hipError_tPvRmT2_T3_T4_T5_mT6_T7_P12ihipStream_tbENKUlT_T0_E_clISt17integral_constantIbLb0EESW_IbLb1EEEEDaSS_ST_EUlSS_E_NS1_11comp_targetILNS1_3genE0ELNS1_11target_archE4294967295ELNS1_3gpuE0ELNS1_3repE0EEENS1_30default_config_static_selectorELNS0_4arch9wavefront6targetE1EEEvT1_,"axG",@progbits,_ZN7rocprim17ROCPRIM_400000_NS6detail17trampoline_kernelINS0_14default_configENS1_27scan_by_key_config_selectorIllEEZZNS1_16scan_by_key_implILNS1_25lookback_scan_determinismE0ELb0ES3_PKlN6hipcub16HIPCUB_304000_NS21ConstantInputIteratorIllEEPllNSB_3SumENSB_8EqualityElEE10hipError_tPvRmT2_T3_T4_T5_mT6_T7_P12ihipStream_tbENKUlT_T0_E_clISt17integral_constantIbLb0EESW_IbLb1EEEEDaSS_ST_EUlSS_E_NS1_11comp_targetILNS1_3genE0ELNS1_11target_archE4294967295ELNS1_3gpuE0ELNS1_3repE0EEENS1_30default_config_static_selectorELNS0_4arch9wavefront6targetE1EEEvT1_,comdat
	.protected	_ZN7rocprim17ROCPRIM_400000_NS6detail17trampoline_kernelINS0_14default_configENS1_27scan_by_key_config_selectorIllEEZZNS1_16scan_by_key_implILNS1_25lookback_scan_determinismE0ELb0ES3_PKlN6hipcub16HIPCUB_304000_NS21ConstantInputIteratorIllEEPllNSB_3SumENSB_8EqualityElEE10hipError_tPvRmT2_T3_T4_T5_mT6_T7_P12ihipStream_tbENKUlT_T0_E_clISt17integral_constantIbLb0EESW_IbLb1EEEEDaSS_ST_EUlSS_E_NS1_11comp_targetILNS1_3genE0ELNS1_11target_archE4294967295ELNS1_3gpuE0ELNS1_3repE0EEENS1_30default_config_static_selectorELNS0_4arch9wavefront6targetE1EEEvT1_ ; -- Begin function _ZN7rocprim17ROCPRIM_400000_NS6detail17trampoline_kernelINS0_14default_configENS1_27scan_by_key_config_selectorIllEEZZNS1_16scan_by_key_implILNS1_25lookback_scan_determinismE0ELb0ES3_PKlN6hipcub16HIPCUB_304000_NS21ConstantInputIteratorIllEEPllNSB_3SumENSB_8EqualityElEE10hipError_tPvRmT2_T3_T4_T5_mT6_T7_P12ihipStream_tbENKUlT_T0_E_clISt17integral_constantIbLb0EESW_IbLb1EEEEDaSS_ST_EUlSS_E_NS1_11comp_targetILNS1_3genE0ELNS1_11target_archE4294967295ELNS1_3gpuE0ELNS1_3repE0EEENS1_30default_config_static_selectorELNS0_4arch9wavefront6targetE1EEEvT1_
	.globl	_ZN7rocprim17ROCPRIM_400000_NS6detail17trampoline_kernelINS0_14default_configENS1_27scan_by_key_config_selectorIllEEZZNS1_16scan_by_key_implILNS1_25lookback_scan_determinismE0ELb0ES3_PKlN6hipcub16HIPCUB_304000_NS21ConstantInputIteratorIllEEPllNSB_3SumENSB_8EqualityElEE10hipError_tPvRmT2_T3_T4_T5_mT6_T7_P12ihipStream_tbENKUlT_T0_E_clISt17integral_constantIbLb0EESW_IbLb1EEEEDaSS_ST_EUlSS_E_NS1_11comp_targetILNS1_3genE0ELNS1_11target_archE4294967295ELNS1_3gpuE0ELNS1_3repE0EEENS1_30default_config_static_selectorELNS0_4arch9wavefront6targetE1EEEvT1_
	.p2align	8
	.type	_ZN7rocprim17ROCPRIM_400000_NS6detail17trampoline_kernelINS0_14default_configENS1_27scan_by_key_config_selectorIllEEZZNS1_16scan_by_key_implILNS1_25lookback_scan_determinismE0ELb0ES3_PKlN6hipcub16HIPCUB_304000_NS21ConstantInputIteratorIllEEPllNSB_3SumENSB_8EqualityElEE10hipError_tPvRmT2_T3_T4_T5_mT6_T7_P12ihipStream_tbENKUlT_T0_E_clISt17integral_constantIbLb0EESW_IbLb1EEEEDaSS_ST_EUlSS_E_NS1_11comp_targetILNS1_3genE0ELNS1_11target_archE4294967295ELNS1_3gpuE0ELNS1_3repE0EEENS1_30default_config_static_selectorELNS0_4arch9wavefront6targetE1EEEvT1_,@function
_ZN7rocprim17ROCPRIM_400000_NS6detail17trampoline_kernelINS0_14default_configENS1_27scan_by_key_config_selectorIllEEZZNS1_16scan_by_key_implILNS1_25lookback_scan_determinismE0ELb0ES3_PKlN6hipcub16HIPCUB_304000_NS21ConstantInputIteratorIllEEPllNSB_3SumENSB_8EqualityElEE10hipError_tPvRmT2_T3_T4_T5_mT6_T7_P12ihipStream_tbENKUlT_T0_E_clISt17integral_constantIbLb0EESW_IbLb1EEEEDaSS_ST_EUlSS_E_NS1_11comp_targetILNS1_3genE0ELNS1_11target_archE4294967295ELNS1_3gpuE0ELNS1_3repE0EEENS1_30default_config_static_selectorELNS0_4arch9wavefront6targetE1EEEvT1_: ; @_ZN7rocprim17ROCPRIM_400000_NS6detail17trampoline_kernelINS0_14default_configENS1_27scan_by_key_config_selectorIllEEZZNS1_16scan_by_key_implILNS1_25lookback_scan_determinismE0ELb0ES3_PKlN6hipcub16HIPCUB_304000_NS21ConstantInputIteratorIllEEPllNSB_3SumENSB_8EqualityElEE10hipError_tPvRmT2_T3_T4_T5_mT6_T7_P12ihipStream_tbENKUlT_T0_E_clISt17integral_constantIbLb0EESW_IbLb1EEEEDaSS_ST_EUlSS_E_NS1_11comp_targetILNS1_3genE0ELNS1_11target_archE4294967295ELNS1_3gpuE0ELNS1_3repE0EEENS1_30default_config_static_selectorELNS0_4arch9wavefront6targetE1EEEvT1_
; %bb.0:
	.section	.rodata,"a",@progbits
	.p2align	6, 0x0
	.amdhsa_kernel _ZN7rocprim17ROCPRIM_400000_NS6detail17trampoline_kernelINS0_14default_configENS1_27scan_by_key_config_selectorIllEEZZNS1_16scan_by_key_implILNS1_25lookback_scan_determinismE0ELb0ES3_PKlN6hipcub16HIPCUB_304000_NS21ConstantInputIteratorIllEEPllNSB_3SumENSB_8EqualityElEE10hipError_tPvRmT2_T3_T4_T5_mT6_T7_P12ihipStream_tbENKUlT_T0_E_clISt17integral_constantIbLb0EESW_IbLb1EEEEDaSS_ST_EUlSS_E_NS1_11comp_targetILNS1_3genE0ELNS1_11target_archE4294967295ELNS1_3gpuE0ELNS1_3repE0EEENS1_30default_config_static_selectorELNS0_4arch9wavefront6targetE1EEEvT1_
		.amdhsa_group_segment_fixed_size 0
		.amdhsa_private_segment_fixed_size 0
		.amdhsa_kernarg_size 144
		.amdhsa_user_sgpr_count 2
		.amdhsa_user_sgpr_dispatch_ptr 0
		.amdhsa_user_sgpr_queue_ptr 0
		.amdhsa_user_sgpr_kernarg_segment_ptr 1
		.amdhsa_user_sgpr_dispatch_id 0
		.amdhsa_user_sgpr_kernarg_preload_length 0
		.amdhsa_user_sgpr_kernarg_preload_offset 0
		.amdhsa_user_sgpr_private_segment_size 0
		.amdhsa_uses_dynamic_stack 0
		.amdhsa_enable_private_segment 0
		.amdhsa_system_sgpr_workgroup_id_x 1
		.amdhsa_system_sgpr_workgroup_id_y 0
		.amdhsa_system_sgpr_workgroup_id_z 0
		.amdhsa_system_sgpr_workgroup_info 0
		.amdhsa_system_vgpr_workitem_id 0
		.amdhsa_next_free_vgpr 1
		.amdhsa_next_free_sgpr 0
		.amdhsa_accum_offset 4
		.amdhsa_reserve_vcc 0
		.amdhsa_float_round_mode_32 0
		.amdhsa_float_round_mode_16_64 0
		.amdhsa_float_denorm_mode_32 3
		.amdhsa_float_denorm_mode_16_64 3
		.amdhsa_dx10_clamp 1
		.amdhsa_ieee_mode 1
		.amdhsa_fp16_overflow 0
		.amdhsa_tg_split 0
		.amdhsa_exception_fp_ieee_invalid_op 0
		.amdhsa_exception_fp_denorm_src 0
		.amdhsa_exception_fp_ieee_div_zero 0
		.amdhsa_exception_fp_ieee_overflow 0
		.amdhsa_exception_fp_ieee_underflow 0
		.amdhsa_exception_fp_ieee_inexact 0
		.amdhsa_exception_int_div_zero 0
	.end_amdhsa_kernel
	.section	.text._ZN7rocprim17ROCPRIM_400000_NS6detail17trampoline_kernelINS0_14default_configENS1_27scan_by_key_config_selectorIllEEZZNS1_16scan_by_key_implILNS1_25lookback_scan_determinismE0ELb0ES3_PKlN6hipcub16HIPCUB_304000_NS21ConstantInputIteratorIllEEPllNSB_3SumENSB_8EqualityElEE10hipError_tPvRmT2_T3_T4_T5_mT6_T7_P12ihipStream_tbENKUlT_T0_E_clISt17integral_constantIbLb0EESW_IbLb1EEEEDaSS_ST_EUlSS_E_NS1_11comp_targetILNS1_3genE0ELNS1_11target_archE4294967295ELNS1_3gpuE0ELNS1_3repE0EEENS1_30default_config_static_selectorELNS0_4arch9wavefront6targetE1EEEvT1_,"axG",@progbits,_ZN7rocprim17ROCPRIM_400000_NS6detail17trampoline_kernelINS0_14default_configENS1_27scan_by_key_config_selectorIllEEZZNS1_16scan_by_key_implILNS1_25lookback_scan_determinismE0ELb0ES3_PKlN6hipcub16HIPCUB_304000_NS21ConstantInputIteratorIllEEPllNSB_3SumENSB_8EqualityElEE10hipError_tPvRmT2_T3_T4_T5_mT6_T7_P12ihipStream_tbENKUlT_T0_E_clISt17integral_constantIbLb0EESW_IbLb1EEEEDaSS_ST_EUlSS_E_NS1_11comp_targetILNS1_3genE0ELNS1_11target_archE4294967295ELNS1_3gpuE0ELNS1_3repE0EEENS1_30default_config_static_selectorELNS0_4arch9wavefront6targetE1EEEvT1_,comdat
.Lfunc_end127:
	.size	_ZN7rocprim17ROCPRIM_400000_NS6detail17trampoline_kernelINS0_14default_configENS1_27scan_by_key_config_selectorIllEEZZNS1_16scan_by_key_implILNS1_25lookback_scan_determinismE0ELb0ES3_PKlN6hipcub16HIPCUB_304000_NS21ConstantInputIteratorIllEEPllNSB_3SumENSB_8EqualityElEE10hipError_tPvRmT2_T3_T4_T5_mT6_T7_P12ihipStream_tbENKUlT_T0_E_clISt17integral_constantIbLb0EESW_IbLb1EEEEDaSS_ST_EUlSS_E_NS1_11comp_targetILNS1_3genE0ELNS1_11target_archE4294967295ELNS1_3gpuE0ELNS1_3repE0EEENS1_30default_config_static_selectorELNS0_4arch9wavefront6targetE1EEEvT1_, .Lfunc_end127-_ZN7rocprim17ROCPRIM_400000_NS6detail17trampoline_kernelINS0_14default_configENS1_27scan_by_key_config_selectorIllEEZZNS1_16scan_by_key_implILNS1_25lookback_scan_determinismE0ELb0ES3_PKlN6hipcub16HIPCUB_304000_NS21ConstantInputIteratorIllEEPllNSB_3SumENSB_8EqualityElEE10hipError_tPvRmT2_T3_T4_T5_mT6_T7_P12ihipStream_tbENKUlT_T0_E_clISt17integral_constantIbLb0EESW_IbLb1EEEEDaSS_ST_EUlSS_E_NS1_11comp_targetILNS1_3genE0ELNS1_11target_archE4294967295ELNS1_3gpuE0ELNS1_3repE0EEENS1_30default_config_static_selectorELNS0_4arch9wavefront6targetE1EEEvT1_
                                        ; -- End function
	.section	.AMDGPU.csdata,"",@progbits
; Kernel info:
; codeLenInByte = 0
; NumSgprs: 6
; NumVgprs: 0
; NumAgprs: 0
; TotalNumVgprs: 0
; ScratchSize: 0
; MemoryBound: 0
; FloatMode: 240
; IeeeMode: 1
; LDSByteSize: 0 bytes/workgroup (compile time only)
; SGPRBlocks: 0
; VGPRBlocks: 0
; NumSGPRsForWavesPerEU: 6
; NumVGPRsForWavesPerEU: 1
; AccumOffset: 4
; Occupancy: 8
; WaveLimiterHint : 0
; COMPUTE_PGM_RSRC2:SCRATCH_EN: 0
; COMPUTE_PGM_RSRC2:USER_SGPR: 2
; COMPUTE_PGM_RSRC2:TRAP_HANDLER: 0
; COMPUTE_PGM_RSRC2:TGID_X_EN: 1
; COMPUTE_PGM_RSRC2:TGID_Y_EN: 0
; COMPUTE_PGM_RSRC2:TGID_Z_EN: 0
; COMPUTE_PGM_RSRC2:TIDIG_COMP_CNT: 0
; COMPUTE_PGM_RSRC3_GFX90A:ACCUM_OFFSET: 0
; COMPUTE_PGM_RSRC3_GFX90A:TG_SPLIT: 0
	.section	.text._ZN7rocprim17ROCPRIM_400000_NS6detail17trampoline_kernelINS0_14default_configENS1_27scan_by_key_config_selectorIllEEZZNS1_16scan_by_key_implILNS1_25lookback_scan_determinismE0ELb0ES3_PKlN6hipcub16HIPCUB_304000_NS21ConstantInputIteratorIllEEPllNSB_3SumENSB_8EqualityElEE10hipError_tPvRmT2_T3_T4_T5_mT6_T7_P12ihipStream_tbENKUlT_T0_E_clISt17integral_constantIbLb0EESW_IbLb1EEEEDaSS_ST_EUlSS_E_NS1_11comp_targetILNS1_3genE10ELNS1_11target_archE1201ELNS1_3gpuE5ELNS1_3repE0EEENS1_30default_config_static_selectorELNS0_4arch9wavefront6targetE1EEEvT1_,"axG",@progbits,_ZN7rocprim17ROCPRIM_400000_NS6detail17trampoline_kernelINS0_14default_configENS1_27scan_by_key_config_selectorIllEEZZNS1_16scan_by_key_implILNS1_25lookback_scan_determinismE0ELb0ES3_PKlN6hipcub16HIPCUB_304000_NS21ConstantInputIteratorIllEEPllNSB_3SumENSB_8EqualityElEE10hipError_tPvRmT2_T3_T4_T5_mT6_T7_P12ihipStream_tbENKUlT_T0_E_clISt17integral_constantIbLb0EESW_IbLb1EEEEDaSS_ST_EUlSS_E_NS1_11comp_targetILNS1_3genE10ELNS1_11target_archE1201ELNS1_3gpuE5ELNS1_3repE0EEENS1_30default_config_static_selectorELNS0_4arch9wavefront6targetE1EEEvT1_,comdat
	.protected	_ZN7rocprim17ROCPRIM_400000_NS6detail17trampoline_kernelINS0_14default_configENS1_27scan_by_key_config_selectorIllEEZZNS1_16scan_by_key_implILNS1_25lookback_scan_determinismE0ELb0ES3_PKlN6hipcub16HIPCUB_304000_NS21ConstantInputIteratorIllEEPllNSB_3SumENSB_8EqualityElEE10hipError_tPvRmT2_T3_T4_T5_mT6_T7_P12ihipStream_tbENKUlT_T0_E_clISt17integral_constantIbLb0EESW_IbLb1EEEEDaSS_ST_EUlSS_E_NS1_11comp_targetILNS1_3genE10ELNS1_11target_archE1201ELNS1_3gpuE5ELNS1_3repE0EEENS1_30default_config_static_selectorELNS0_4arch9wavefront6targetE1EEEvT1_ ; -- Begin function _ZN7rocprim17ROCPRIM_400000_NS6detail17trampoline_kernelINS0_14default_configENS1_27scan_by_key_config_selectorIllEEZZNS1_16scan_by_key_implILNS1_25lookback_scan_determinismE0ELb0ES3_PKlN6hipcub16HIPCUB_304000_NS21ConstantInputIteratorIllEEPllNSB_3SumENSB_8EqualityElEE10hipError_tPvRmT2_T3_T4_T5_mT6_T7_P12ihipStream_tbENKUlT_T0_E_clISt17integral_constantIbLb0EESW_IbLb1EEEEDaSS_ST_EUlSS_E_NS1_11comp_targetILNS1_3genE10ELNS1_11target_archE1201ELNS1_3gpuE5ELNS1_3repE0EEENS1_30default_config_static_selectorELNS0_4arch9wavefront6targetE1EEEvT1_
	.globl	_ZN7rocprim17ROCPRIM_400000_NS6detail17trampoline_kernelINS0_14default_configENS1_27scan_by_key_config_selectorIllEEZZNS1_16scan_by_key_implILNS1_25lookback_scan_determinismE0ELb0ES3_PKlN6hipcub16HIPCUB_304000_NS21ConstantInputIteratorIllEEPllNSB_3SumENSB_8EqualityElEE10hipError_tPvRmT2_T3_T4_T5_mT6_T7_P12ihipStream_tbENKUlT_T0_E_clISt17integral_constantIbLb0EESW_IbLb1EEEEDaSS_ST_EUlSS_E_NS1_11comp_targetILNS1_3genE10ELNS1_11target_archE1201ELNS1_3gpuE5ELNS1_3repE0EEENS1_30default_config_static_selectorELNS0_4arch9wavefront6targetE1EEEvT1_
	.p2align	8
	.type	_ZN7rocprim17ROCPRIM_400000_NS6detail17trampoline_kernelINS0_14default_configENS1_27scan_by_key_config_selectorIllEEZZNS1_16scan_by_key_implILNS1_25lookback_scan_determinismE0ELb0ES3_PKlN6hipcub16HIPCUB_304000_NS21ConstantInputIteratorIllEEPllNSB_3SumENSB_8EqualityElEE10hipError_tPvRmT2_T3_T4_T5_mT6_T7_P12ihipStream_tbENKUlT_T0_E_clISt17integral_constantIbLb0EESW_IbLb1EEEEDaSS_ST_EUlSS_E_NS1_11comp_targetILNS1_3genE10ELNS1_11target_archE1201ELNS1_3gpuE5ELNS1_3repE0EEENS1_30default_config_static_selectorELNS0_4arch9wavefront6targetE1EEEvT1_,@function
_ZN7rocprim17ROCPRIM_400000_NS6detail17trampoline_kernelINS0_14default_configENS1_27scan_by_key_config_selectorIllEEZZNS1_16scan_by_key_implILNS1_25lookback_scan_determinismE0ELb0ES3_PKlN6hipcub16HIPCUB_304000_NS21ConstantInputIteratorIllEEPllNSB_3SumENSB_8EqualityElEE10hipError_tPvRmT2_T3_T4_T5_mT6_T7_P12ihipStream_tbENKUlT_T0_E_clISt17integral_constantIbLb0EESW_IbLb1EEEEDaSS_ST_EUlSS_E_NS1_11comp_targetILNS1_3genE10ELNS1_11target_archE1201ELNS1_3gpuE5ELNS1_3repE0EEENS1_30default_config_static_selectorELNS0_4arch9wavefront6targetE1EEEvT1_: ; @_ZN7rocprim17ROCPRIM_400000_NS6detail17trampoline_kernelINS0_14default_configENS1_27scan_by_key_config_selectorIllEEZZNS1_16scan_by_key_implILNS1_25lookback_scan_determinismE0ELb0ES3_PKlN6hipcub16HIPCUB_304000_NS21ConstantInputIteratorIllEEPllNSB_3SumENSB_8EqualityElEE10hipError_tPvRmT2_T3_T4_T5_mT6_T7_P12ihipStream_tbENKUlT_T0_E_clISt17integral_constantIbLb0EESW_IbLb1EEEEDaSS_ST_EUlSS_E_NS1_11comp_targetILNS1_3genE10ELNS1_11target_archE1201ELNS1_3gpuE5ELNS1_3repE0EEENS1_30default_config_static_selectorELNS0_4arch9wavefront6targetE1EEEvT1_
; %bb.0:
	.section	.rodata,"a",@progbits
	.p2align	6, 0x0
	.amdhsa_kernel _ZN7rocprim17ROCPRIM_400000_NS6detail17trampoline_kernelINS0_14default_configENS1_27scan_by_key_config_selectorIllEEZZNS1_16scan_by_key_implILNS1_25lookback_scan_determinismE0ELb0ES3_PKlN6hipcub16HIPCUB_304000_NS21ConstantInputIteratorIllEEPllNSB_3SumENSB_8EqualityElEE10hipError_tPvRmT2_T3_T4_T5_mT6_T7_P12ihipStream_tbENKUlT_T0_E_clISt17integral_constantIbLb0EESW_IbLb1EEEEDaSS_ST_EUlSS_E_NS1_11comp_targetILNS1_3genE10ELNS1_11target_archE1201ELNS1_3gpuE5ELNS1_3repE0EEENS1_30default_config_static_selectorELNS0_4arch9wavefront6targetE1EEEvT1_
		.amdhsa_group_segment_fixed_size 0
		.amdhsa_private_segment_fixed_size 0
		.amdhsa_kernarg_size 144
		.amdhsa_user_sgpr_count 2
		.amdhsa_user_sgpr_dispatch_ptr 0
		.amdhsa_user_sgpr_queue_ptr 0
		.amdhsa_user_sgpr_kernarg_segment_ptr 1
		.amdhsa_user_sgpr_dispatch_id 0
		.amdhsa_user_sgpr_kernarg_preload_length 0
		.amdhsa_user_sgpr_kernarg_preload_offset 0
		.amdhsa_user_sgpr_private_segment_size 0
		.amdhsa_uses_dynamic_stack 0
		.amdhsa_enable_private_segment 0
		.amdhsa_system_sgpr_workgroup_id_x 1
		.amdhsa_system_sgpr_workgroup_id_y 0
		.amdhsa_system_sgpr_workgroup_id_z 0
		.amdhsa_system_sgpr_workgroup_info 0
		.amdhsa_system_vgpr_workitem_id 0
		.amdhsa_next_free_vgpr 1
		.amdhsa_next_free_sgpr 0
		.amdhsa_accum_offset 4
		.amdhsa_reserve_vcc 0
		.amdhsa_float_round_mode_32 0
		.amdhsa_float_round_mode_16_64 0
		.amdhsa_float_denorm_mode_32 3
		.amdhsa_float_denorm_mode_16_64 3
		.amdhsa_dx10_clamp 1
		.amdhsa_ieee_mode 1
		.amdhsa_fp16_overflow 0
		.amdhsa_tg_split 0
		.amdhsa_exception_fp_ieee_invalid_op 0
		.amdhsa_exception_fp_denorm_src 0
		.amdhsa_exception_fp_ieee_div_zero 0
		.amdhsa_exception_fp_ieee_overflow 0
		.amdhsa_exception_fp_ieee_underflow 0
		.amdhsa_exception_fp_ieee_inexact 0
		.amdhsa_exception_int_div_zero 0
	.end_amdhsa_kernel
	.section	.text._ZN7rocprim17ROCPRIM_400000_NS6detail17trampoline_kernelINS0_14default_configENS1_27scan_by_key_config_selectorIllEEZZNS1_16scan_by_key_implILNS1_25lookback_scan_determinismE0ELb0ES3_PKlN6hipcub16HIPCUB_304000_NS21ConstantInputIteratorIllEEPllNSB_3SumENSB_8EqualityElEE10hipError_tPvRmT2_T3_T4_T5_mT6_T7_P12ihipStream_tbENKUlT_T0_E_clISt17integral_constantIbLb0EESW_IbLb1EEEEDaSS_ST_EUlSS_E_NS1_11comp_targetILNS1_3genE10ELNS1_11target_archE1201ELNS1_3gpuE5ELNS1_3repE0EEENS1_30default_config_static_selectorELNS0_4arch9wavefront6targetE1EEEvT1_,"axG",@progbits,_ZN7rocprim17ROCPRIM_400000_NS6detail17trampoline_kernelINS0_14default_configENS1_27scan_by_key_config_selectorIllEEZZNS1_16scan_by_key_implILNS1_25lookback_scan_determinismE0ELb0ES3_PKlN6hipcub16HIPCUB_304000_NS21ConstantInputIteratorIllEEPllNSB_3SumENSB_8EqualityElEE10hipError_tPvRmT2_T3_T4_T5_mT6_T7_P12ihipStream_tbENKUlT_T0_E_clISt17integral_constantIbLb0EESW_IbLb1EEEEDaSS_ST_EUlSS_E_NS1_11comp_targetILNS1_3genE10ELNS1_11target_archE1201ELNS1_3gpuE5ELNS1_3repE0EEENS1_30default_config_static_selectorELNS0_4arch9wavefront6targetE1EEEvT1_,comdat
.Lfunc_end128:
	.size	_ZN7rocprim17ROCPRIM_400000_NS6detail17trampoline_kernelINS0_14default_configENS1_27scan_by_key_config_selectorIllEEZZNS1_16scan_by_key_implILNS1_25lookback_scan_determinismE0ELb0ES3_PKlN6hipcub16HIPCUB_304000_NS21ConstantInputIteratorIllEEPllNSB_3SumENSB_8EqualityElEE10hipError_tPvRmT2_T3_T4_T5_mT6_T7_P12ihipStream_tbENKUlT_T0_E_clISt17integral_constantIbLb0EESW_IbLb1EEEEDaSS_ST_EUlSS_E_NS1_11comp_targetILNS1_3genE10ELNS1_11target_archE1201ELNS1_3gpuE5ELNS1_3repE0EEENS1_30default_config_static_selectorELNS0_4arch9wavefront6targetE1EEEvT1_, .Lfunc_end128-_ZN7rocprim17ROCPRIM_400000_NS6detail17trampoline_kernelINS0_14default_configENS1_27scan_by_key_config_selectorIllEEZZNS1_16scan_by_key_implILNS1_25lookback_scan_determinismE0ELb0ES3_PKlN6hipcub16HIPCUB_304000_NS21ConstantInputIteratorIllEEPllNSB_3SumENSB_8EqualityElEE10hipError_tPvRmT2_T3_T4_T5_mT6_T7_P12ihipStream_tbENKUlT_T0_E_clISt17integral_constantIbLb0EESW_IbLb1EEEEDaSS_ST_EUlSS_E_NS1_11comp_targetILNS1_3genE10ELNS1_11target_archE1201ELNS1_3gpuE5ELNS1_3repE0EEENS1_30default_config_static_selectorELNS0_4arch9wavefront6targetE1EEEvT1_
                                        ; -- End function
	.section	.AMDGPU.csdata,"",@progbits
; Kernel info:
; codeLenInByte = 0
; NumSgprs: 6
; NumVgprs: 0
; NumAgprs: 0
; TotalNumVgprs: 0
; ScratchSize: 0
; MemoryBound: 0
; FloatMode: 240
; IeeeMode: 1
; LDSByteSize: 0 bytes/workgroup (compile time only)
; SGPRBlocks: 0
; VGPRBlocks: 0
; NumSGPRsForWavesPerEU: 6
; NumVGPRsForWavesPerEU: 1
; AccumOffset: 4
; Occupancy: 8
; WaveLimiterHint : 0
; COMPUTE_PGM_RSRC2:SCRATCH_EN: 0
; COMPUTE_PGM_RSRC2:USER_SGPR: 2
; COMPUTE_PGM_RSRC2:TRAP_HANDLER: 0
; COMPUTE_PGM_RSRC2:TGID_X_EN: 1
; COMPUTE_PGM_RSRC2:TGID_Y_EN: 0
; COMPUTE_PGM_RSRC2:TGID_Z_EN: 0
; COMPUTE_PGM_RSRC2:TIDIG_COMP_CNT: 0
; COMPUTE_PGM_RSRC3_GFX90A:ACCUM_OFFSET: 0
; COMPUTE_PGM_RSRC3_GFX90A:TG_SPLIT: 0
	.section	.text._ZN7rocprim17ROCPRIM_400000_NS6detail17trampoline_kernelINS0_14default_configENS1_27scan_by_key_config_selectorIllEEZZNS1_16scan_by_key_implILNS1_25lookback_scan_determinismE0ELb0ES3_PKlN6hipcub16HIPCUB_304000_NS21ConstantInputIteratorIllEEPllNSB_3SumENSB_8EqualityElEE10hipError_tPvRmT2_T3_T4_T5_mT6_T7_P12ihipStream_tbENKUlT_T0_E_clISt17integral_constantIbLb0EESW_IbLb1EEEEDaSS_ST_EUlSS_E_NS1_11comp_targetILNS1_3genE5ELNS1_11target_archE942ELNS1_3gpuE9ELNS1_3repE0EEENS1_30default_config_static_selectorELNS0_4arch9wavefront6targetE1EEEvT1_,"axG",@progbits,_ZN7rocprim17ROCPRIM_400000_NS6detail17trampoline_kernelINS0_14default_configENS1_27scan_by_key_config_selectorIllEEZZNS1_16scan_by_key_implILNS1_25lookback_scan_determinismE0ELb0ES3_PKlN6hipcub16HIPCUB_304000_NS21ConstantInputIteratorIllEEPllNSB_3SumENSB_8EqualityElEE10hipError_tPvRmT2_T3_T4_T5_mT6_T7_P12ihipStream_tbENKUlT_T0_E_clISt17integral_constantIbLb0EESW_IbLb1EEEEDaSS_ST_EUlSS_E_NS1_11comp_targetILNS1_3genE5ELNS1_11target_archE942ELNS1_3gpuE9ELNS1_3repE0EEENS1_30default_config_static_selectorELNS0_4arch9wavefront6targetE1EEEvT1_,comdat
	.protected	_ZN7rocprim17ROCPRIM_400000_NS6detail17trampoline_kernelINS0_14default_configENS1_27scan_by_key_config_selectorIllEEZZNS1_16scan_by_key_implILNS1_25lookback_scan_determinismE0ELb0ES3_PKlN6hipcub16HIPCUB_304000_NS21ConstantInputIteratorIllEEPllNSB_3SumENSB_8EqualityElEE10hipError_tPvRmT2_T3_T4_T5_mT6_T7_P12ihipStream_tbENKUlT_T0_E_clISt17integral_constantIbLb0EESW_IbLb1EEEEDaSS_ST_EUlSS_E_NS1_11comp_targetILNS1_3genE5ELNS1_11target_archE942ELNS1_3gpuE9ELNS1_3repE0EEENS1_30default_config_static_selectorELNS0_4arch9wavefront6targetE1EEEvT1_ ; -- Begin function _ZN7rocprim17ROCPRIM_400000_NS6detail17trampoline_kernelINS0_14default_configENS1_27scan_by_key_config_selectorIllEEZZNS1_16scan_by_key_implILNS1_25lookback_scan_determinismE0ELb0ES3_PKlN6hipcub16HIPCUB_304000_NS21ConstantInputIteratorIllEEPllNSB_3SumENSB_8EqualityElEE10hipError_tPvRmT2_T3_T4_T5_mT6_T7_P12ihipStream_tbENKUlT_T0_E_clISt17integral_constantIbLb0EESW_IbLb1EEEEDaSS_ST_EUlSS_E_NS1_11comp_targetILNS1_3genE5ELNS1_11target_archE942ELNS1_3gpuE9ELNS1_3repE0EEENS1_30default_config_static_selectorELNS0_4arch9wavefront6targetE1EEEvT1_
	.globl	_ZN7rocprim17ROCPRIM_400000_NS6detail17trampoline_kernelINS0_14default_configENS1_27scan_by_key_config_selectorIllEEZZNS1_16scan_by_key_implILNS1_25lookback_scan_determinismE0ELb0ES3_PKlN6hipcub16HIPCUB_304000_NS21ConstantInputIteratorIllEEPllNSB_3SumENSB_8EqualityElEE10hipError_tPvRmT2_T3_T4_T5_mT6_T7_P12ihipStream_tbENKUlT_T0_E_clISt17integral_constantIbLb0EESW_IbLb1EEEEDaSS_ST_EUlSS_E_NS1_11comp_targetILNS1_3genE5ELNS1_11target_archE942ELNS1_3gpuE9ELNS1_3repE0EEENS1_30default_config_static_selectorELNS0_4arch9wavefront6targetE1EEEvT1_
	.p2align	8
	.type	_ZN7rocprim17ROCPRIM_400000_NS6detail17trampoline_kernelINS0_14default_configENS1_27scan_by_key_config_selectorIllEEZZNS1_16scan_by_key_implILNS1_25lookback_scan_determinismE0ELb0ES3_PKlN6hipcub16HIPCUB_304000_NS21ConstantInputIteratorIllEEPllNSB_3SumENSB_8EqualityElEE10hipError_tPvRmT2_T3_T4_T5_mT6_T7_P12ihipStream_tbENKUlT_T0_E_clISt17integral_constantIbLb0EESW_IbLb1EEEEDaSS_ST_EUlSS_E_NS1_11comp_targetILNS1_3genE5ELNS1_11target_archE942ELNS1_3gpuE9ELNS1_3repE0EEENS1_30default_config_static_selectorELNS0_4arch9wavefront6targetE1EEEvT1_,@function
_ZN7rocprim17ROCPRIM_400000_NS6detail17trampoline_kernelINS0_14default_configENS1_27scan_by_key_config_selectorIllEEZZNS1_16scan_by_key_implILNS1_25lookback_scan_determinismE0ELb0ES3_PKlN6hipcub16HIPCUB_304000_NS21ConstantInputIteratorIllEEPllNSB_3SumENSB_8EqualityElEE10hipError_tPvRmT2_T3_T4_T5_mT6_T7_P12ihipStream_tbENKUlT_T0_E_clISt17integral_constantIbLb0EESW_IbLb1EEEEDaSS_ST_EUlSS_E_NS1_11comp_targetILNS1_3genE5ELNS1_11target_archE942ELNS1_3gpuE9ELNS1_3repE0EEENS1_30default_config_static_selectorELNS0_4arch9wavefront6targetE1EEEvT1_: ; @_ZN7rocprim17ROCPRIM_400000_NS6detail17trampoline_kernelINS0_14default_configENS1_27scan_by_key_config_selectorIllEEZZNS1_16scan_by_key_implILNS1_25lookback_scan_determinismE0ELb0ES3_PKlN6hipcub16HIPCUB_304000_NS21ConstantInputIteratorIllEEPllNSB_3SumENSB_8EqualityElEE10hipError_tPvRmT2_T3_T4_T5_mT6_T7_P12ihipStream_tbENKUlT_T0_E_clISt17integral_constantIbLb0EESW_IbLb1EEEEDaSS_ST_EUlSS_E_NS1_11comp_targetILNS1_3genE5ELNS1_11target_archE942ELNS1_3gpuE9ELNS1_3repE0EEENS1_30default_config_static_selectorELNS0_4arch9wavefront6targetE1EEEvT1_
; %bb.0:
	s_load_dwordx4 s[8:11], s[0:1], 0x0
	s_load_dwordx2 s[6:7], s[0:1], 0x10
	s_load_dwordx2 s[38:39], s[0:1], 0x20
	s_load_dwordx8 s[40:47], s[0:1], 0x38
	s_load_dwordx2 s[58:59], s[0:1], 0x58
	v_cmp_ne_u32_e64 s[4:5], 0, v0
	v_cmp_eq_u32_e64 s[36:37], 0, v0
	s_and_saveexec_b64 s[2:3], s[36:37]
	s_cbranch_execz .LBB129_4
; %bb.1:
	s_mov_b64 s[14:15], exec
	v_mbcnt_lo_u32_b32 v1, s14, 0
	v_mbcnt_hi_u32_b32 v1, s15, v1
	v_cmp_eq_u32_e32 vcc, 0, v1
                                        ; implicit-def: $vgpr2
	s_and_saveexec_b64 s[12:13], vcc
	s_cbranch_execz .LBB129_3
; %bb.2:
	s_load_dwordx2 s[16:17], s[0:1], 0x88
	s_bcnt1_i32_b64 s14, s[14:15]
	v_mov_b32_e32 v2, 0
	v_mov_b32_e32 v3, s14
	s_waitcnt lgkmcnt(0)
	global_atomic_add v2, v2, v3, s[16:17] sc0
.LBB129_3:
	s_or_b64 exec, exec, s[12:13]
	s_waitcnt vmcnt(0)
	v_readfirstlane_b32 s12, v2
	v_mov_b32_e32 v2, 0
	s_nop 0
	v_add_u32_e32 v1, s12, v1
	ds_write_b32 v2, v1
.LBB129_4:
	s_or_b64 exec, exec, s[2:3]
	s_load_dword s2, s[0:1], 0x60
	s_load_dwordx8 s[48:55], s[0:1], 0x68
	v_mov_b32_e32 v1, 0
	s_waitcnt lgkmcnt(0)
	s_barrier
	ds_read_b32 v2, v1
	s_mul_i32 s0, s59, s2
	s_mul_hi_u32 s1, s58, s2
	s_add_i32 s3, s1, s0
	s_lshl_b64 s[56:57], s[10:11], 3
	s_add_u32 s8, s8, s56
	s_addc_u32 s9, s9, s57
	s_waitcnt lgkmcnt(0)
	v_readfirstlane_b32 s47, v2
	s_cmp_lg_u64 s[52:53], 0
	s_mov_b32 s1, 0
	s_mul_i32 s0, s47, 0xe00
	s_cselect_b64 s[10:11], -1, 0
	s_lshl_b64 s[52:53], s[0:1], 3
	s_add_u32 s8, s8, s52
	s_mul_i32 s2, s58, s2
	s_addc_u32 s9, s9, s53
	s_add_u32 s12, s2, s47
	s_addc_u32 s13, s3, 0
	s_add_u32 s0, s48, -1
	s_addc_u32 s1, s49, -1
	v_mov_b64_e32 v[2:3], s[0:1]
	v_cmp_ge_u64_e64 s[2:3], s[12:13], v[2:3]
	s_mov_b64 s[18:19], 0
	s_mov_b64 s[14:15], -1
	s_and_b64 vcc, exec, s[2:3]
	s_mul_i32 s33, s0, 0xfffff200
	s_barrier
	s_barrier
	s_cbranch_vccz .LBB129_66
; %bb.5:
	global_load_dwordx2 v[2:3], v1, s[8:9]
	s_add_i32 s69, s33, s46
	v_cmp_gt_u32_e32 vcc, s69, v0
	s_waitcnt vmcnt(0)
	v_mov_b64_e32 v[4:5], v[2:3]
	s_and_saveexec_b64 s[0:1], vcc
	s_cbranch_execz .LBB129_7
; %bb.6:
	v_lshlrev_b32_e32 v1, 3, v0
	global_load_dwordx2 v[4:5], v1, s[8:9]
.LBB129_7:
	s_or_b64 exec, exec, s[0:1]
	v_or_b32_e32 v1, 0x100, v0
	v_cmp_gt_u32_e32 vcc, s69, v1
	v_mov_b64_e32 v[6:7], v[2:3]
	s_and_saveexec_b64 s[0:1], vcc
	s_cbranch_execz .LBB129_9
; %bb.8:
	v_lshlrev_b32_e32 v1, 3, v0
	global_load_dwordx2 v[6:7], v1, s[8:9] offset:2048
.LBB129_9:
	s_or_b64 exec, exec, s[0:1]
	v_or_b32_e32 v1, 0x200, v0
	v_cmp_gt_u32_e32 vcc, s69, v1
	v_mov_b64_e32 v[8:9], v[2:3]
	s_and_saveexec_b64 s[0:1], vcc
	s_cbranch_execz .LBB129_11
; %bb.10:
	v_lshlrev_b32_e32 v1, 3, v1
	global_load_dwordx2 v[8:9], v1, s[8:9]
.LBB129_11:
	s_or_b64 exec, exec, s[0:1]
	v_or_b32_e32 v1, 0x300, v0
	v_cmp_gt_u32_e32 vcc, s69, v1
	v_mov_b64_e32 v[10:11], v[2:3]
	s_and_saveexec_b64 s[0:1], vcc
	s_cbranch_execz .LBB129_13
; %bb.12:
	v_lshlrev_b32_e32 v1, 3, v1
	global_load_dwordx2 v[10:11], v1, s[8:9]
.LBB129_13:
	;; [unrolled: 10-line block ×11, first 2 shown]
	s_or_b64 exec, exec, s[0:1]
	v_or_b32_e32 v1, 0xd00, v0
	v_cmp_gt_u32_e32 vcc, s69, v1
	s_and_saveexec_b64 s[0:1], vcc
	s_cbranch_execz .LBB129_33
; %bb.32:
	v_lshlrev_b32_e32 v1, 3, v1
	global_load_dwordx2 v[2:3], v1, s[8:9]
.LBB129_33:
	s_or_b64 exec, exec, s[0:1]
	v_lshlrev_b32_e32 v1, 3, v0
	s_movk_i32 s0, 0x68
	s_waitcnt vmcnt(0)
	ds_write2st64_b64 v1, v[4:5], v[6:7] offset1:4
	ds_write2st64_b64 v1, v[8:9], v[10:11] offset0:8 offset1:12
	ds_write2st64_b64 v1, v[12:13], v[14:15] offset0:16 offset1:20
	;; [unrolled: 1-line block ×6, first 2 shown]
	v_mad_u32_u24 v8, v0, s0, v1
	s_waitcnt lgkmcnt(0)
	s_barrier
	ds_read_b128 v[74:77], v8
	ds_read_b128 v[70:73], v8 offset:16
	ds_read_b128 v[66:69], v8 offset:32
	;; [unrolled: 1-line block ×6, first 2 shown]
	s_cmp_eq_u64 s[12:13], 0
	s_mov_b64 s[0:1], s[8:9]
	s_cbranch_scc1 .LBB129_37
; %bb.34:
	s_andn2_b64 vcc, exec, s[10:11]
	s_cbranch_vccnz .LBB129_207
; %bb.35:
	s_lshl_b64 s[0:1], s[12:13], 3
	s_add_u32 s0, s54, s0
	s_addc_u32 s1, s55, s1
	s_add_u32 s0, s0, -8
	s_addc_u32 s1, s1, -1
	s_cbranch_execnz .LBB129_37
.LBB129_36:
	s_add_u32 s0, s8, -8
	s_addc_u32 s1, s9, -1
.LBB129_37:
	v_mov_b32_e32 v80, 0
	global_load_dwordx2 v[4:5], v80, s[0:1]
	s_movk_i32 s0, 0xff98
	v_mad_i32_i24 v2, v0, s0, v8
	s_waitcnt lgkmcnt(0)
	ds_write_b64 v2, v[60:61] offset:28672
	s_waitcnt lgkmcnt(0)
	s_barrier
	s_and_saveexec_b64 s[0:1], s[4:5]
	s_cbranch_execz .LBB129_39
; %bb.38:
	v_mul_i32_i24_e32 v2, 0xffffff98, v0
	v_add_u32_e32 v2, v8, v2
	s_waitcnt vmcnt(0)
	ds_read_b64 v[4:5], v2 offset:28664
.LBB129_39:
	s_or_b64 exec, exec, s[0:1]
	v_mul_u32_u24_e32 v9, 14, v0
	v_mov_b64_e32 v[2:3], s[6:7]
	v_mov_b64_e32 v[78:79], 0
	s_waitcnt lgkmcnt(0)
	s_barrier
	ds_write2st64_b64 v1, v[2:3], v[2:3] offset1:4
	ds_write2st64_b64 v1, v[2:3], v[2:3] offset0:8 offset1:12
	ds_write2st64_b64 v1, v[2:3], v[2:3] offset0:16 offset1:20
	;; [unrolled: 1-line block ×6, first 2 shown]
	v_cmp_gt_u32_e32 vcc, s69, v9
	s_mov_b64 s[14:15], 0
	s_mov_b32 s68, 0
	v_mov_b32_e32 v91, 0
	v_mov_b64_e32 v[46:47], v[78:79]
	v_mov_b32_e32 v90, 0
	v_mov_b64_e32 v[34:35], v[78:79]
	;; [unrolled: 2-line block ×12, first 2 shown]
	s_waitcnt lgkmcnt(0)
	s_barrier
	s_waitcnt lgkmcnt(0)
                                        ; implicit-def: $sgpr0_sgpr1
                                        ; implicit-def: $vgpr52_vgpr53
	s_and_saveexec_b64 s[16:17], vcc
	s_cbranch_execz .LBB129_65
; %bb.40:
	ds_read_b64 v[2:3], v8
	v_or_b32_e32 v6, 1, v9
	s_waitcnt vmcnt(0)
	v_cmp_ne_u64_e32 vcc, v[4:5], v[74:75]
	v_mov_b64_e32 v[78:79], 0
	s_mov_b64 s[20:21], 0
	v_cndmask_b32_e64 v1, 0, 1, vcc
	v_cmp_gt_u32_e32 vcc, s69, v6
	s_mov_b64 s[0:1], 0
	v_mov_b32_e32 v80, 0
	v_mov_b32_e32 v91, 0
	v_mov_b64_e32 v[46:47], v[78:79]
	v_mov_b32_e32 v90, 0
	v_mov_b64_e32 v[34:35], v[78:79]
	;; [unrolled: 2-line block ×11, first 2 shown]
                                        ; implicit-def: $sgpr22_sgpr23
                                        ; implicit-def: $vgpr52_vgpr53
	s_and_saveexec_b64 s[18:19], vcc
	s_cbranch_execz .LBB129_64
; %bb.41:
	ds_read2_b64 v[14:17], v8 offset0:1 offset1:2
	v_cmp_ne_u64_e32 vcc, v[74:75], v[76:77]
	v_add_u32_e32 v4, 2, v9
	v_mov_b64_e32 v[78:79], 0
	v_cndmask_b32_e64 v82, 0, 1, vcc
	v_cmp_gt_u32_e32 vcc, s69, v4
	s_mov_b64 s[24:25], 0
	v_mov_b32_e32 v80, 0
	v_mov_b32_e32 v91, 0
	v_mov_b64_e32 v[46:47], v[78:79]
	v_mov_b32_e32 v90, 0
	v_mov_b64_e32 v[34:35], v[78:79]
	;; [unrolled: 2-line block ×10, first 2 shown]
                                        ; implicit-def: $sgpr22_sgpr23
                                        ; implicit-def: $vgpr52_vgpr53
	s_and_saveexec_b64 s[20:21], vcc
	s_cbranch_execz .LBB129_63
; %bb.42:
	v_cmp_ne_u64_e32 vcc, v[76:77], v[70:71]
	v_add_u32_e32 v4, 3, v9
	v_mov_b64_e32 v[78:79], 0
	s_waitcnt lgkmcnt(0)
	v_mov_b32_e32 v6, v16
	v_mov_b32_e32 v7, v17
	v_cndmask_b32_e64 v81, 0, 1, vcc
	v_cmp_gt_u32_e32 vcc, s69, v4
	v_mov_b32_e32 v80, 0
	v_mov_b32_e32 v91, 0
	v_mov_b64_e32 v[46:47], v[78:79]
	v_mov_b32_e32 v90, 0
	v_mov_b64_e32 v[34:35], v[78:79]
	;; [unrolled: 2-line block ×9, first 2 shown]
                                        ; implicit-def: $sgpr26_sgpr27
                                        ; implicit-def: $vgpr52_vgpr53
	s_and_saveexec_b64 s[22:23], vcc
	s_cbranch_execz .LBB129_62
; %bb.43:
	ds_read2_b64 v[22:25], v8 offset0:3 offset1:4
	v_cmp_ne_u64_e32 vcc, v[70:71], v[72:73]
	v_add_u32_e32 v4, 4, v9
	v_mov_b64_e32 v[78:79], 0
	v_cndmask_b32_e64 v83, 0, 1, vcc
	v_cmp_gt_u32_e32 vcc, s69, v4
	s_mov_b64 s[28:29], 0
	v_mov_b32_e32 v80, 0
	v_mov_b32_e32 v91, 0
	v_mov_b64_e32 v[46:47], v[78:79]
	v_mov_b32_e32 v90, 0
	v_mov_b64_e32 v[34:35], v[78:79]
	;; [unrolled: 2-line block ×8, first 2 shown]
                                        ; implicit-def: $sgpr26_sgpr27
                                        ; implicit-def: $vgpr52_vgpr53
	s_and_saveexec_b64 s[24:25], vcc
	s_cbranch_execz .LBB129_61
; %bb.44:
	v_cmp_ne_u64_e32 vcc, v[72:73], v[66:67]
	v_add_u32_e32 v4, 5, v9
	v_mov_b64_e32 v[78:79], 0
	s_waitcnt lgkmcnt(0)
	v_mov_b32_e32 v10, v24
	v_mov_b32_e32 v11, v25
	v_cndmask_b32_e64 v84, 0, 1, vcc
	v_cmp_gt_u32_e32 vcc, s69, v4
	v_mov_b32_e32 v80, 0
	v_mov_b32_e32 v91, 0
	v_mov_b64_e32 v[46:47], v[78:79]
	v_mov_b32_e32 v90, 0
	v_mov_b64_e32 v[34:35], v[78:79]
	v_mov_b32_e32 v89, 0
	v_mov_b64_e32 v[42:43], v[78:79]
	v_mov_b32_e32 v88, 0
	v_mov_b64_e32 v[26:27], v[78:79]
	v_mov_b32_e32 v87, 0
	v_mov_b64_e32 v[38:39], v[78:79]
	v_mov_b32_e32 v86, 0
	v_mov_b64_e32 v[18:19], v[78:79]
	v_mov_b32_e32 v85, 0
	v_mov_b64_e32 v[30:31], v[78:79]
                                        ; implicit-def: $sgpr30_sgpr31
                                        ; implicit-def: $vgpr52_vgpr53
	s_and_saveexec_b64 s[26:27], vcc
	s_cbranch_execz .LBB129_60
; %bb.45:
	ds_read2_b64 v[30:33], v8 offset0:5 offset1:6
	v_cmp_ne_u64_e32 vcc, v[66:67], v[68:69]
	v_add_u32_e32 v4, 6, v9
	v_mov_b64_e32 v[78:79], 0
	v_cndmask_b32_e64 v85, 0, 1, vcc
	v_cmp_gt_u32_e32 vcc, s69, v4
	s_mov_b64 s[34:35], 0
	v_mov_b32_e32 v80, 0
	v_mov_b32_e32 v91, 0
	v_mov_b64_e32 v[46:47], v[78:79]
	v_mov_b32_e32 v90, 0
	v_mov_b64_e32 v[34:35], v[78:79]
	;; [unrolled: 2-line block ×6, first 2 shown]
                                        ; implicit-def: $sgpr30_sgpr31
                                        ; implicit-def: $vgpr52_vgpr53
	s_and_saveexec_b64 s[28:29], vcc
	s_cbranch_execz .LBB129_59
; %bb.46:
	v_cmp_ne_u64_e32 vcc, v[68:69], v[62:63]
	v_add_u32_e32 v4, 7, v9
	v_mov_b64_e32 v[78:79], 0
	s_waitcnt lgkmcnt(0)
	v_mov_b32_e32 v18, v32
	v_mov_b32_e32 v19, v33
	v_cndmask_b32_e64 v86, 0, 1, vcc
	v_cmp_gt_u32_e32 vcc, s69, v4
	v_mov_b32_e32 v80, 0
	v_mov_b32_e32 v91, 0
	v_mov_b64_e32 v[46:47], v[78:79]
	v_mov_b32_e32 v90, 0
	v_mov_b64_e32 v[34:35], v[78:79]
	;; [unrolled: 2-line block ×5, first 2 shown]
                                        ; implicit-def: $sgpr48_sgpr49
                                        ; implicit-def: $vgpr52_vgpr53
	s_and_saveexec_b64 s[30:31], vcc
	s_cbranch_execz .LBB129_58
; %bb.47:
	ds_read2_b64 v[38:41], v8 offset0:7 offset1:8
	v_cmp_ne_u64_e32 vcc, v[62:63], v[64:65]
	v_add_u32_e32 v4, 8, v9
	v_mov_b64_e32 v[78:79], 0
	v_cndmask_b32_e64 v87, 0, 1, vcc
	v_cmp_gt_u32_e32 vcc, s69, v4
	s_mov_b64 s[60:61], 0
	v_mov_b32_e32 v80, 0
	v_mov_b32_e32 v91, 0
	v_mov_b64_e32 v[46:47], v[78:79]
	v_mov_b32_e32 v90, 0
	v_mov_b64_e32 v[34:35], v[78:79]
	;; [unrolled: 2-line block ×4, first 2 shown]
                                        ; implicit-def: $sgpr48_sgpr49
                                        ; implicit-def: $vgpr52_vgpr53
	s_and_saveexec_b64 s[34:35], vcc
	s_cbranch_execz .LBB129_57
; %bb.48:
	v_cmp_ne_u64_e32 vcc, v[64:65], v[48:49]
	v_add_u32_e32 v4, 9, v9
	v_mov_b64_e32 v[78:79], 0
	s_waitcnt lgkmcnt(0)
	v_mov_b32_e32 v26, v40
	v_mov_b32_e32 v27, v41
	v_cndmask_b32_e64 v88, 0, 1, vcc
	v_cmp_gt_u32_e32 vcc, s69, v4
	v_mov_b32_e32 v80, 0
	v_mov_b32_e32 v91, 0
	v_mov_b64_e32 v[46:47], v[78:79]
	v_mov_b32_e32 v90, 0
	v_mov_b64_e32 v[34:35], v[78:79]
	v_mov_b32_e32 v89, 0
	v_mov_b64_e32 v[42:43], v[78:79]
                                        ; implicit-def: $sgpr62_sgpr63
                                        ; implicit-def: $vgpr52_vgpr53
	s_and_saveexec_b64 s[48:49], vcc
	s_cbranch_execz .LBB129_56
; %bb.49:
	ds_read2_b64 v[42:45], v8 offset0:9 offset1:10
	v_cmp_ne_u64_e32 vcc, v[48:49], v[50:51]
	v_add_u32_e32 v4, 10, v9
	v_mov_b64_e32 v[78:79], 0
	v_cndmask_b32_e64 v89, 0, 1, vcc
	v_cmp_gt_u32_e32 vcc, s69, v4
	s_mov_b64 s[64:65], 0
	v_mov_b32_e32 v80, 0
	v_mov_b32_e32 v91, 0
	v_mov_b64_e32 v[46:47], v[78:79]
	v_mov_b32_e32 v90, 0
	v_mov_b64_e32 v[34:35], v[78:79]
                                        ; implicit-def: $sgpr62_sgpr63
                                        ; implicit-def: $vgpr52_vgpr53
	s_and_saveexec_b64 s[60:61], vcc
	s_cbranch_execz .LBB129_55
; %bb.50:
	v_cmp_ne_u64_e32 vcc, v[50:51], v[54:55]
	v_add_u32_e32 v4, 11, v9
	v_mov_b64_e32 v[78:79], 0
	s_waitcnt lgkmcnt(0)
	v_mov_b32_e32 v34, v44
	v_mov_b32_e32 v35, v45
	v_cndmask_b32_e64 v90, 0, 1, vcc
	v_cmp_gt_u32_e32 vcc, s69, v4
	v_mov_b32_e32 v80, 0
	v_mov_b32_e32 v91, 0
	v_mov_b64_e32 v[46:47], v[78:79]
                                        ; implicit-def: $sgpr66_sgpr67
                                        ; implicit-def: $vgpr52_vgpr53
	s_and_saveexec_b64 s[62:63], vcc
	s_cbranch_execz .LBB129_54
; %bb.51:
	ds_read2_b64 v[46:49], v8 offset0:11 offset1:12
	v_cmp_ne_u64_e32 vcc, v[54:55], v[56:57]
	v_add_u32_e32 v4, 12, v9
	v_mov_b32_e32 v80, 0
	v_cndmask_b32_e64 v91, 0, 1, vcc
	v_cmp_gt_u32_e32 vcc, s69, v4
	v_mov_b64_e32 v[78:79], 0
                                        ; implicit-def: $sgpr64_sgpr65
                                        ; implicit-def: $vgpr52_vgpr53
	s_and_saveexec_b64 s[66:67], vcc
	s_xor_b64 s[66:67], exec, s[66:67]
	s_cbranch_execz .LBB129_53
; %bb.52:
	ds_read_b64 v[52:53], v8 offset:104
	v_cmp_ne_u64_e64 s[0:1], v[56:57], v[58:59]
	v_add_u32_e32 v4, 13, v9
	v_cmp_ne_u64_e32 vcc, v[58:59], v[60:61]
	v_cndmask_b32_e64 v80, 0, 1, s[0:1]
	v_cmp_gt_u32_e64 s[0:1], s69, v4
	s_and_b64 s[64:65], vcc, exec
	s_and_b64 s[0:1], s[0:1], exec
	s_waitcnt lgkmcnt(1)
	v_mov_b64_e32 v[50:51], v[48:49]
	v_mov_b64_e32 v[78:79], v[48:49]
.LBB129_53:
	s_or_b64 exec, exec, s[66:67]
	s_and_b64 s[66:67], s[64:65], exec
	s_and_b64 s[64:65], s[0:1], exec
.LBB129_54:
	s_or_b64 exec, exec, s[62:63]
	s_and_b64 s[62:63], s[66:67], exec
	s_and_b64 s[0:1], s[64:65], exec
	s_waitcnt lgkmcnt(0)
	v_mov_b64_e32 v[36:37], v[46:47]
	v_mov_b64_e32 v[28:29], v[42:43]
	;; [unrolled: 1-line block ×6, first 2 shown]
.LBB129_55:
	s_or_b64 exec, exec, s[60:61]
	s_and_b64 s[62:63], s[62:63], exec
	s_and_b64 s[60:61], s[0:1], exec
.LBB129_56:
	s_or_b64 exec, exec, s[48:49]
	s_and_b64 s[48:49], s[62:63], exec
	s_and_b64 s[0:1], s[60:61], exec
.LBB129_57:
	s_or_b64 exec, exec, s[34:35]
	s_and_b64 s[48:49], s[48:49], exec
	s_and_b64 s[34:35], s[0:1], exec
.LBB129_58:
	s_or_b64 exec, exec, s[30:31]
	s_and_b64 s[30:31], s[48:49], exec
	s_and_b64 s[0:1], s[34:35], exec
.LBB129_59:
	s_or_b64 exec, exec, s[28:29]
	s_and_b64 s[30:31], s[30:31], exec
	s_and_b64 s[28:29], s[0:1], exec
.LBB129_60:
	s_or_b64 exec, exec, s[26:27]
	s_and_b64 s[26:27], s[30:31], exec
	s_and_b64 s[0:1], s[28:29], exec
.LBB129_61:
	s_or_b64 exec, exec, s[24:25]
	s_and_b64 s[26:27], s[26:27], exec
	s_and_b64 s[24:25], s[0:1], exec
.LBB129_62:
	s_or_b64 exec, exec, s[22:23]
	s_and_b64 s[22:23], s[26:27], exec
	s_and_b64 s[0:1], s[24:25], exec
.LBB129_63:
	s_or_b64 exec, exec, s[20:21]
	s_and_b64 s[22:23], s[22:23], exec
	s_and_b64 s[20:21], s[0:1], exec
.LBB129_64:
	s_or_b64 exec, exec, s[18:19]
	s_and_b64 s[0:1], s[22:23], exec
	s_and_b64 s[18:19], s[20:21], exec
.LBB129_65:
	s_or_b64 exec, exec, s[16:17]
	s_mov_b64 s[16:17], 0
	s_and_b64 vcc, exec, s[14:15]
	s_waitcnt lgkmcnt(0)
	v_lshlrev_b32_e32 v32, 3, v0
	s_cbranch_vccnz .LBB129_67
	s_branch .LBB129_75
.LBB129_66:
                                        ; implicit-def: $sgpr0_sgpr1
                                        ; implicit-def: $vgpr52_vgpr53
                                        ; implicit-def: $vgpr80
                                        ; implicit-def: $vgpr91
                                        ; implicit-def: $vgpr36_vgpr37
                                        ; implicit-def: $vgpr90
                                        ; implicit-def: $vgpr89
                                        ; implicit-def: $vgpr28_vgpr29
                                        ; implicit-def: $vgpr88
                                        ; implicit-def: $vgpr87
                                        ; implicit-def: $vgpr20_vgpr21
                                        ; implicit-def: $vgpr86
                                        ; implicit-def: $vgpr85
                                        ; implicit-def: $vgpr12_vgpr13
                                        ; implicit-def: $vgpr84
                                        ; implicit-def: $vgpr83
                                        ; implicit-def: $vgpr8_vgpr9
                                        ; implicit-def: $vgpr81
                                        ; implicit-def: $vgpr82
                                        ; implicit-def: $vgpr4_vgpr5
                                        ; implicit-def: $vgpr1
                                        ; implicit-def: $sgpr68
                                        ; implicit-def: $sgpr16_sgpr17
                                        ; implicit-def: $vgpr78_vgpr79
                                        ; implicit-def: $vgpr46_vgpr47
                                        ; implicit-def: $vgpr42_vgpr43
                                        ; implicit-def: $vgpr38_vgpr39
                                        ; implicit-def: $vgpr30_vgpr31
                                        ; implicit-def: $vgpr22_vgpr23
                                        ; implicit-def: $vgpr14_vgpr15
	s_and_b64 vcc, exec, s[14:15]
	v_lshlrev_b32_e32 v32, 3, v0
	s_cbranch_vccz .LBB129_75
.LBB129_67:
	v_mov_b32_e32 v33, 0
	v_lshl_add_u64 v[2:3], s[8:9], 0, v[32:33]
	v_add_co_u32_e32 v8, vcc, 0x1000, v2
	global_load_dwordx2 v[4:5], v32, s[8:9]
	global_load_dwordx2 v[6:7], v32, s[8:9] offset:2048
	v_addc_co_u32_e32 v9, vcc, 0, v3, vcc
	v_add_co_u32_e32 v10, vcc, 0x2000, v2
	s_movk_i32 s0, 0x68
	s_nop 0
	v_addc_co_u32_e32 v11, vcc, 0, v3, vcc
	global_load_dwordx2 v[12:13], v[8:9], off
	global_load_dwordx2 v[14:15], v[8:9], off offset:2048
	global_load_dwordx2 v[16:17], v[10:11], off
	global_load_dwordx2 v[18:19], v[10:11], off offset:2048
	v_add_co_u32_e32 v8, vcc, 0x3000, v2
	v_mad_u32_u24 v1, v0, s0, v32
	s_nop 0
	v_addc_co_u32_e32 v9, vcc, 0, v3, vcc
	v_add_co_u32_e32 v10, vcc, 0x4000, v2
	s_cmp_eq_u64 s[12:13], 0
	s_nop 0
	v_addc_co_u32_e32 v11, vcc, 0, v3, vcc
	global_load_dwordx2 v[20:21], v[8:9], off
	global_load_dwordx2 v[22:23], v[8:9], off offset:2048
	global_load_dwordx2 v[24:25], v[10:11], off
	global_load_dwordx2 v[26:27], v[10:11], off offset:2048
	v_add_co_u32_e32 v8, vcc, 0x5000, v2
	s_nop 1
	v_addc_co_u32_e32 v9, vcc, 0, v3, vcc
	v_add_co_u32_e32 v2, vcc, 0x6000, v2
	s_nop 1
	v_addc_co_u32_e32 v3, vcc, 0, v3, vcc
	global_load_dwordx2 v[10:11], v[8:9], off
	global_load_dwordx2 v[28:29], v[8:9], off offset:2048
	global_load_dwordx2 v[30:31], v[2:3], off
	global_load_dwordx2 v[34:35], v[2:3], off offset:2048
	s_waitcnt vmcnt(12)
	ds_write2st64_b64 v32, v[4:5], v[6:7] offset1:4
	s_waitcnt vmcnt(10)
	ds_write2st64_b64 v32, v[12:13], v[14:15] offset0:8 offset1:12
	s_waitcnt vmcnt(8)
	ds_write2st64_b64 v32, v[16:17], v[18:19] offset0:16 offset1:20
	;; [unrolled: 2-line block ×6, first 2 shown]
	s_waitcnt lgkmcnt(0)
	s_barrier
	ds_read_b128 v[14:17], v1
	ds_read_b128 v[2:5], v1 offset:16
	ds_read_b128 v[6:9], v1 offset:32
	;; [unrolled: 1-line block ×6, first 2 shown]
	s_cbranch_scc1 .LBB129_72
; %bb.68:
	s_andn2_b64 vcc, exec, s[10:11]
	s_cbranch_vccnz .LBB129_208
; %bb.69:
	s_lshl_b64 s[0:1], s[12:13], 3
	s_add_u32 s0, s54, s0
	s_addc_u32 s1, s55, s1
	s_add_u32 s0, s0, -8
	s_addc_u32 s1, s1, -1
	s_cbranch_execnz .LBB129_71
.LBB129_70:
	s_add_u32 s0, s8, -8
	s_addc_u32 s1, s9, -1
.LBB129_71:
	s_mov_b64 s[8:9], s[0:1]
.LBB129_72:
	global_load_dwordx2 v[30:31], v33, s[8:9]
	s_movk_i32 s0, 0xff98
	v_mad_i32_i24 v33, v0, s0, v1
	s_waitcnt lgkmcnt(0)
	ds_write_b64 v33, v[28:29] offset:28672
	s_waitcnt lgkmcnt(0)
	s_barrier
	s_and_saveexec_b64 s[0:1], s[4:5]
	s_cbranch_execz .LBB129_74
; %bb.73:
	s_waitcnt vmcnt(0)
	v_mul_i32_i24_e32 v30, 0xffffff98, v0
	v_add_u32_e32 v30, v1, v30
	ds_read_b64 v[30:31], v30 offset:28664
.LBB129_74:
	s_or_b64 exec, exec, s[0:1]
	v_cmp_ne_u64_e32 vcc, v[24:25], v[26:27]
	v_cmp_ne_u64_e64 s[0:1], v[26:27], v[28:29]
	s_waitcnt lgkmcnt(0)
	v_cndmask_b32_e64 v80, 0, 1, vcc
	v_cmp_ne_u64_e32 vcc, v[22:23], v[24:25]
	s_barrier
	s_nop 0
	v_cndmask_b32_e64 v91, 0, 1, vcc
	v_cmp_ne_u64_e32 vcc, v[20:21], v[22:23]
	s_mov_b64 s[18:19], -1
                                        ; implicit-def: $sgpr68
                                        ; implicit-def: $sgpr16_sgpr17
                                        ; implicit-def: $vgpr78_vgpr79
                                        ; implicit-def: $vgpr46_vgpr47
                                        ; implicit-def: $vgpr42_vgpr43
                                        ; implicit-def: $vgpr38_vgpr39
                                        ; implicit-def: $vgpr22_vgpr23
	s_nop 0
	v_cndmask_b32_e64 v90, 0, 1, vcc
	v_cmp_ne_u64_e32 vcc, v[18:19], v[20:21]
	s_nop 1
	v_cndmask_b32_e64 v89, 0, 1, vcc
	v_cmp_ne_u64_e32 vcc, v[12:13], v[18:19]
	;; [unrolled: 3-line block ×8, first 2 shown]
	v_mov_b64_e32 v[2:3], s[6:7]
	ds_write2st64_b64 v32, v[2:3], v[2:3] offset1:4
	ds_write2st64_b64 v32, v[2:3], v[2:3] offset0:8 offset1:12
	ds_write2st64_b64 v32, v[2:3], v[2:3] offset0:16 offset1:20
	ds_write2st64_b64 v32, v[2:3], v[2:3] offset0:24 offset1:28
	ds_write2st64_b64 v32, v[2:3], v[2:3] offset0:32 offset1:36
	ds_write2st64_b64 v32, v[2:3], v[2:3] offset0:40 offset1:44
	ds_write2st64_b64 v32, v[2:3], v[2:3] offset0:48 offset1:52
	s_waitcnt lgkmcnt(0)
	s_barrier
	ds_read_b128 v[2:5], v1
	ds_read_b128 v[6:9], v1 offset:16
	ds_read_b128 v[10:13], v1 offset:32
	ds_read_b128 v[18:21], v1 offset:48
	ds_read_b128 v[26:29], v1 offset:64
	ds_read_b128 v[34:37], v1 offset:80
	ds_read_b128 v[50:53], v1 offset:96
	v_cndmask_b32_e64 v81, 0, 1, vcc
	v_cmp_ne_u64_e32 vcc, v[14:15], v[16:17]
	s_nop 1
	v_cndmask_b32_e64 v82, 0, 1, vcc
	s_waitcnt vmcnt(0)
	v_cmp_ne_u64_e32 vcc, v[30:31], v[14:15]
                                        ; implicit-def: $vgpr30_vgpr31
                                        ; implicit-def: $vgpr14_vgpr15
	s_nop 1
	v_cndmask_b32_e64 v1, 0, 1, vcc
.LBB129_75:
	v_mov_b64_e32 v[16:17], s[16:17]
	v_mov_b32_e32 v33, s68
	s_and_saveexec_b64 s[6:7], s[18:19]
	s_cbranch_execz .LBB129_77
; %bb.76:
	v_cndmask_b32_e64 v33, 0, 1, s[0:1]
	s_waitcnt vmcnt(0) lgkmcnt(6)
	v_mov_b64_e32 v[14:15], v[4:5]
	s_waitcnt lgkmcnt(5)
	v_mov_b64_e32 v[22:23], v[8:9]
	s_waitcnt lgkmcnt(4)
	;; [unrolled: 2-line block ×6, first 2 shown]
	v_mov_b64_e32 v[78:79], v[50:51]
	v_mov_b64_e32 v[16:17], v[52:53]
.LBB129_77:
	s_or_b64 exec, exec, s[6:7]
	s_waitcnt vmcnt(0) lgkmcnt(6)
	v_or_b32_e32 v4, v33, v80
	s_cmp_lg_u32 s47, 0
	s_waitcnt lgkmcnt(2)
	v_or_b32_e32 v29, v4, v91
	v_mbcnt_lo_u32_b32 v28, -1, 0
	s_waitcnt lgkmcnt(0)
	s_barrier
	s_cbranch_scc0 .LBB129_144
; %bb.78:
	v_mov_b32_e32 v8, 0
	v_cmp_eq_u16_sdwa s[6:7], v82, v8 src0_sel:BYTE_0 src1_sel:DWORD
	v_cmp_eq_u16_sdwa s[8:9], v81, v8 src0_sel:BYTE_0 src1_sel:DWORD
	v_cmp_eq_u16_sdwa s[10:11], v83, v8 src0_sel:BYTE_0 src1_sel:DWORD
	v_cndmask_b32_e64 v5, 0, v3, s[6:7]
	v_cndmask_b32_e64 v4, 0, v2, s[6:7]
	v_lshl_add_u64 v[4:5], v[4:5], 0, v[14:15]
	v_cndmask_b32_e64 v5, 0, v5, s[8:9]
	v_cndmask_b32_e64 v4, 0, v4, s[8:9]
	v_lshl_add_u64 v[4:5], v[4:5], 0, v[6:7]
	v_cndmask_b32_e64 v5, 0, v5, s[10:11]
	v_cndmask_b32_e64 v4, 0, v4, s[10:11]
	v_lshl_add_u64 v[4:5], v[4:5], 0, v[22:23]
	v_cmp_eq_u16_sdwa s[12:13], v84, v8 src0_sel:BYTE_0 src1_sel:DWORD
	v_cmp_eq_u16_sdwa s[14:15], v85, v8 src0_sel:BYTE_0 src1_sel:DWORD
	v_cmp_eq_u16_sdwa s[16:17], v86, v8 src0_sel:BYTE_0 src1_sel:DWORD
	v_cndmask_b32_e64 v5, 0, v5, s[12:13]
	v_cndmask_b32_e64 v4, 0, v4, s[12:13]
	v_lshl_add_u64 v[4:5], v[4:5], 0, v[10:11]
	v_cndmask_b32_e64 v5, 0, v5, s[14:15]
	v_cndmask_b32_e64 v4, 0, v4, s[14:15]
	v_lshl_add_u64 v[4:5], v[4:5], 0, v[30:31]
	v_cndmask_b32_e64 v5, 0, v5, s[16:17]
	v_cndmask_b32_e64 v4, 0, v4, s[16:17]
	v_lshl_add_u64 v[4:5], v[4:5], 0, v[18:19]
	;; [unrolled: 12-line block ×4, first 2 shown]
	v_cmp_eq_u16_sdwa s[30:31], v33, v8 src0_sel:BYTE_0 src1_sel:DWORD
	v_and_b32_e32 v12, 0xff, v1
	v_mbcnt_hi_u32_b32 v44, -1, v28
	v_cndmask_b32_e64 v5, 0, v5, s[30:31]
	v_cndmask_b32_e64 v4, 0, v4, s[30:31]
	v_lshl_add_u64 v[8:9], v[4:5], 0, v[16:17]
	v_or_b32_e32 v4, v29, v90
	v_or_b32_e32 v4, v4, v89
	;; [unrolled: 1-line block ×10, first 2 shown]
	v_and_b32_e32 v4, 1, v4
	v_cmp_eq_u32_e32 vcc, 1, v4
	v_and_b32_e32 v4, 15, v44
	v_mov_b32_dpp v13, v8 row_shr:1 row_mask:0xf bank_mask:0xf
	v_cndmask_b32_e64 v12, v12, 1, vcc
	v_mov_b32_dpp v20, v9 row_shr:1 row_mask:0xf bank_mask:0xf
	v_cmp_ne_u32_e32 vcc, 0, v4
	v_mov_b32_dpp v5, v12 row_shr:1 row_mask:0xf bank_mask:0xf
	s_and_saveexec_b64 s[0:1], vcc
; %bb.79:
	v_cmp_eq_u32_e32 vcc, 0, v12
	v_and_or_b32 v12, v5, 1, v12
	s_nop 0
	v_cndmask_b32_e32 v21, 0, v20, vcc
	v_cndmask_b32_e32 v20, 0, v13, vcc
	v_lshl_add_u64 v[8:9], v[20:21], 0, v[8:9]
; %bb.80:
	s_or_b64 exec, exec, s[0:1]
	s_nop 0
	v_mov_b32_dpp v13, v8 row_shr:2 row_mask:0xf bank_mask:0xf
	v_mov_b32_dpp v20, v9 row_shr:2 row_mask:0xf bank_mask:0xf
	v_mov_b32_dpp v5, v12 row_shr:2 row_mask:0xf bank_mask:0xf
	v_cmp_lt_u32_e32 vcc, 1, v4
	s_and_saveexec_b64 s[0:1], vcc
; %bb.81:
	v_cmp_eq_u32_e32 vcc, 0, v12
	v_or_b32_e32 v5, v5, v12
	v_and_b32_e32 v12, 1, v5
	v_cndmask_b32_e32 v21, 0, v20, vcc
	v_cndmask_b32_e32 v20, 0, v13, vcc
	v_lshl_add_u64 v[8:9], v[20:21], 0, v[8:9]
; %bb.82:
	s_or_b64 exec, exec, s[0:1]
	s_nop 0
	v_mov_b32_dpp v13, v8 row_shr:4 row_mask:0xf bank_mask:0xf
	v_mov_b32_dpp v20, v9 row_shr:4 row_mask:0xf bank_mask:0xf
	v_mov_b32_dpp v5, v12 row_shr:4 row_mask:0xf bank_mask:0xf
	v_cmp_lt_u32_e32 vcc, 3, v4
	s_and_saveexec_b64 s[0:1], vcc
; %bb.83:
	v_cmp_eq_u32_e32 vcc, 0, v12
	v_or_b32_e32 v5, v5, v12
	v_and_b32_e32 v12, 1, v5
	;; [unrolled: 15-line block ×3, first 2 shown]
	v_cndmask_b32_e32 v21, 0, v20, vcc
	v_cndmask_b32_e32 v20, 0, v13, vcc
	v_lshl_add_u64 v[8:9], v[20:21], 0, v[8:9]
; %bb.86:
	s_or_b64 exec, exec, s[0:1]
	v_and_b32_e32 v20, 16, v44
	v_mov_b32_dpp v5, v8 row_bcast:15 row_mask:0xf bank_mask:0xf
	v_mov_b32_dpp v13, v9 row_bcast:15 row_mask:0xf bank_mask:0xf
	;; [unrolled: 1-line block ×3, first 2 shown]
	v_cmp_ne_u32_e32 vcc, 0, v20
	s_and_saveexec_b64 s[0:1], vcc
; %bb.87:
	v_cmp_eq_u32_e32 vcc, 0, v12
	v_or_b32_e32 v4, v4, v12
	v_and_b32_e32 v12, 1, v4
	v_cndmask_b32_e32 v21, 0, v13, vcc
	v_cndmask_b32_e32 v20, 0, v5, vcc
	v_lshl_add_u64 v[8:9], v[20:21], 0, v[8:9]
; %bb.88:
	s_or_b64 exec, exec, s[0:1]
	s_nop 0
	v_mov_b32_dpp v13, v8 row_bcast:31 row_mask:0xf bank_mask:0xf
	v_mov_b32_dpp v20, v9 row_bcast:31 row_mask:0xf bank_mask:0xf
	;; [unrolled: 1-line block ×3, first 2 shown]
	v_cmp_lt_u32_e32 vcc, 31, v44
	v_mov_b32_e32 v4, v12
	s_and_saveexec_b64 s[0:1], vcc
; %bb.89:
	v_cmp_eq_u32_e32 vcc, 0, v12
	v_or_b32_e32 v5, v5, v12
	v_and_b32_e32 v4, 1, v5
	v_cndmask_b32_e32 v21, 0, v20, vcc
	v_cndmask_b32_e32 v20, 0, v13, vcc
	v_lshl_add_u64 v[8:9], v[20:21], 0, v[8:9]
	v_and_b32_e32 v12, 1, v5
; %bb.90:
	s_or_b64 exec, exec, s[0:1]
	v_or_b32_e32 v5, 63, v0
	v_lshrrev_b32_e32 v13, 6, v0
	v_cmp_eq_u32_e32 vcc, v5, v0
	s_and_saveexec_b64 s[0:1], vcc
	s_cbranch_execz .LBB129_92
; %bb.91:
	v_lshlrev_b32_e32 v5, 4, v13
	ds_write_b64 v5, v[8:9]
	ds_write_b8 v5, v4 offset:8
.LBB129_92:
	s_or_b64 exec, exec, s[0:1]
	v_cmp_gt_u32_e32 vcc, 4, v0
	s_waitcnt lgkmcnt(0)
	s_barrier
	s_and_saveexec_b64 s[34:35], vcc
	s_cbranch_execz .LBB129_98
; %bb.93:
	v_lshlrev_b32_e32 v20, 4, v0
	ds_read_b64 v[4:5], v20
	ds_read_b32 v21, v20 offset:8
	v_and_b32_e32 v24, 3, v44
	v_cmp_ne_u32_e32 vcc, 0, v24
	s_waitcnt lgkmcnt(1)
	v_mov_b32_dpp v40, v4 row_shr:1 row_mask:0xf bank_mask:0xf
	v_mov_b32_dpp v41, v5 row_shr:1 row_mask:0xf bank_mask:0xf
	s_waitcnt lgkmcnt(0)
	v_mov_b32_dpp v37, v21 row_shr:1 row_mask:0xf bank_mask:0xf
	v_mov_b32_e32 v25, v21
	v_mov_b32_e32 v36, v21
	s_and_saveexec_b64 s[0:1], vcc
; %bb.94:
	v_mov_b32_e32 v25, 0
	v_cmp_eq_u16_sdwa vcc, v21, v25 src0_sel:BYTE_0 src1_sel:DWORD
	v_or_b32_e32 v36, v37, v21
	v_and_b32_e32 v25, 1, v36
	v_cndmask_b32_e32 v41, 0, v41, vcc
	v_cndmask_b32_e32 v40, 0, v40, vcc
	v_and_b32_e32 v36, 1, v36
	s_movk_i32 s48, 0xff00
	v_lshl_add_u64 v[4:5], v[40:41], 0, v[4:5]
	v_and_or_b32 v21, v21, s48, v36
; %bb.95:
	s_or_b64 exec, exec, s[0:1]
	v_mov_b32_dpp v37, v4 row_shr:2 row_mask:0xf bank_mask:0xf
	v_mov_b32_dpp v40, v5 row_shr:2 row_mask:0xf bank_mask:0xf
	;; [unrolled: 1-line block ×3, first 2 shown]
	v_cmp_lt_u32_e32 vcc, 1, v24
	s_and_saveexec_b64 s[48:49], vcc
; %bb.96:
	v_mov_b32_e32 v24, 0
	v_cmp_eq_u16_sdwa vcc, v36, v24 src0_sel:BYTE_0 src1_sel:DWORD
	v_and_b32_e32 v21, 1, v21
	v_cmp_eq_u32_e64 s[0:1], 1, v21
	v_cndmask_b32_e32 v25, 0, v40, vcc
	v_cndmask_b32_e32 v24, 0, v37, vcc
	v_lshl_add_u64 v[4:5], v[24:25], 0, v[4:5]
	v_and_b32_e32 v24, 1, v36
	v_cmp_eq_u32_e32 vcc, 1, v24
	s_or_b64 s[0:1], vcc, s[0:1]
	v_cndmask_b32_e64 v25, 0, 1, s[0:1]
; %bb.97:
	s_or_b64 exec, exec, s[48:49]
	ds_write_b64 v20, v[4:5]
	ds_write_b8 v20, v25 offset:8
.LBB129_98:
	s_or_b64 exec, exec, s[34:35]
	v_cmp_gt_u32_e32 vcc, 64, v0
	v_cmp_lt_u32_e64 s[0:1], 63, v0
	v_mov_b32_e32 v36, 0
	v_mov_b64_e32 v[4:5], 0
	s_waitcnt lgkmcnt(0)
	s_barrier
	s_and_saveexec_b64 s[34:35], s[0:1]
	s_cbranch_execz .LBB129_100
; %bb.99:
	v_lshl_add_u32 v13, v13, 4, -16
	ds_read_b64 v[4:5], v13
	ds_read_u8 v36, v13 offset:8
	v_and_b32_e32 v20, 1, v12
	v_cmp_eq_u32_e64 s[0:1], 0, v12
	s_waitcnt lgkmcnt(1)
	s_nop 0
	v_cndmask_b32_e64 v13, 0, v5, s[0:1]
	v_cndmask_b32_e64 v12, 0, v4, s[0:1]
	v_cmp_eq_u32_e64 s[0:1], 1, v20
	v_lshl_add_u64 v[8:9], v[12:13], 0, v[8:9]
	s_waitcnt lgkmcnt(0)
	v_cndmask_b32_e64 v12, v36, 1, s[0:1]
.LBB129_100:
	s_or_b64 exec, exec, s[34:35]
	v_add_u32_e32 v13, -1, v44
	v_and_b32_e32 v20, 64, v44
	v_cmp_lt_i32_e64 s[0:1], v13, v20
	v_cmp_eq_u32_e64 s[34:35], 0, v44
	s_nop 0
	v_cndmask_b32_e64 v13, v13, v44, s[0:1]
	v_lshlrev_b32_e32 v13, 2, v13
	ds_bpermute_b32 v37, v13, v8
	ds_bpermute_b32 v40, v13, v9
	;; [unrolled: 1-line block ×3, first 2 shown]
	s_and_saveexec_b64 s[48:49], vcc
	s_cbranch_execz .LBB129_143
; %bb.101:
	v_mov_b32_e32 v13, 0
	ds_read2_b64 v[48:51], v13 offset0:6 offset1:7
	s_and_saveexec_b64 s[0:1], s[34:35]
	s_cbranch_execz .LBB129_103
; %bb.102:
	s_add_i32 s54, s47, 64
	s_mov_b32 s55, 0
	s_lshl_b64 s[60:61], s[54:55], 4
	s_add_u32 s60, s40, s60
	s_addc_u32 s61, s41, s61
	v_mov_b32_e32 v8, s54
	v_mov_b32_e32 v9, 1
	s_waitcnt lgkmcnt(0)
	global_store_dword v13, v48, s[60:61] sc1
	global_store_dword v13, v49, s[60:61] offset:4 sc1
	global_store_dword v13, v50, s[60:61] offset:8 sc1
	global_store_dword v13, v51, s[60:61] offset:12 sc1
	s_waitcnt vmcnt(0)
	global_store_byte v8, v9, s[44:45] sc1
.LBB129_103:
	s_or_b64 exec, exec, s[0:1]
	v_xad_u32 v8, v44, -1, s47
	v_add_u32_e32 v12, 64, v8
	global_load_ubyte v45, v12, s[44:45] sc1
	s_waitcnt vmcnt(0)
	v_cmp_eq_u16_e32 vcc, 0, v45
	s_and_saveexec_b64 s[0:1], vcc
	s_cbranch_execz .LBB129_107
; %bb.104:
	v_lshl_add_u64 v[20:21], s[44:45], 0, v[12:13]
	s_mov_b64 s[54:55], 0
.LBB129_105:                            ; =>This Inner Loop Header: Depth=1
	global_load_ubyte v45, v[20:21], off sc1
	s_waitcnt vmcnt(0)
	v_cmp_ne_u16_e32 vcc, 0, v45
	s_or_b64 s[54:55], vcc, s[54:55]
	s_andn2_b64 exec, exec, s[54:55]
	s_cbranch_execnz .LBB129_105
; %bb.106:
	s_or_b64 exec, exec, s[54:55]
.LBB129_107:
	s_or_b64 exec, exec, s[0:1]
	v_mov_b32_e32 v9, s43
	v_mov_b32_e32 v20, s41
	v_cmp_eq_u16_e32 vcc, 1, v45
	s_waitcnt vmcnt(0) lgkmcnt(0)
	s_nop 0
	v_cndmask_b32_e32 v21, v9, v20, vcc
	v_mov_b32_e32 v9, s42
	v_mov_b32_e32 v20, s40
	v_cndmask_b32_e32 v20, v9, v20, vcc
	v_lshl_add_u64 v[12:13], v[12:13], 4, v[20:21]
	global_load_dword v24, v[12:13], off sc1
	global_load_dword v25, v[12:13], off offset:4 sc1
	global_load_dword v64, v[12:13], off offset:8 sc1
	;; [unrolled: 1-line block ×3, first 2 shown]
	v_cmp_eq_u16_e32 vcc, 2, v45
	v_lshlrev_b64 v[12:13], v44, -1
	v_and_b32_e32 v51, 63, v44
	s_waitcnt vmcnt(0)
	v_and_b32_e32 v9, vcc_hi, v13
	v_and_b32_e32 v55, vcc_lo, v12
	v_cmp_ne_u32_e32 vcc, 63, v51
	v_or_b32_e32 v9, 0x80000000, v9
	v_ffbl_b32_e32 v9, v9
	v_addc_co_u32_e32 v20, vcc, 0, v44, vcc
	v_lshlrev_b32_e32 v52, 2, v20
	v_add_u32_e32 v9, 32, v9
	v_ffbl_b32_e32 v55, v55
	v_min_u32_e32 v9, v55, v9
	v_cmp_lt_u32_e32 vcc, v51, v9
	ds_bpermute_b32 v53, v52, v24
	ds_bpermute_b32 v54, v52, v25
	v_and_b32_e32 v20, 0xff, v64
	ds_bpermute_b32 v21, v52, v20
	s_and_saveexec_b64 s[0:1], vcc
	s_cbranch_execz .LBB129_109
; %bb.108:
	v_mov_b32_e32 v20, 0
	v_cmp_eq_u16_sdwa vcc, v64, v20 src0_sel:BYTE_0 src1_sel:DWORD
	s_waitcnt lgkmcnt(0)
	v_or_b32_e32 v20, v21, v64
	v_and_b32_e32 v64, 1, v20
	v_cndmask_b32_e32 v55, 0, v54, vcc
	v_cndmask_b32_e32 v54, 0, v53, vcc
	v_lshl_add_u64 v[24:25], v[54:55], 0, v[24:25]
	v_and_b32_e32 v20, 1, v20
.LBB129_109:
	s_or_b64 exec, exec, s[0:1]
	v_cmp_gt_u32_e32 vcc, 62, v51
	s_waitcnt lgkmcnt(1)
	v_add_u32_e32 v54, 2, v51
	s_waitcnt lgkmcnt(0)
	v_cndmask_b32_e64 v21, 0, 1, vcc
	v_lshlrev_b32_e32 v21, 1, v21
	v_add_lshl_u32 v53, v21, v44, 2
	ds_bpermute_b32 v55, v53, v24
	ds_bpermute_b32 v56, v53, v25
	ds_bpermute_b32 v21, v53, v20
	v_cmp_le_u32_e32 vcc, v54, v9
	s_and_saveexec_b64 s[54:55], vcc
	s_cbranch_execz .LBB129_111
; %bb.110:
	v_mov_b32_e32 v20, 0
	v_cmp_eq_u16_sdwa vcc, v64, v20 src0_sel:BYTE_0 src1_sel:DWORD
	v_and_b32_e32 v20, 1, v64
	s_waitcnt lgkmcnt(1)
	v_cndmask_b32_e32 v57, 0, v56, vcc
	v_cndmask_b32_e32 v56, 0, v55, vcc
	v_cmp_eq_u32_e32 vcc, 1, v20
	s_waitcnt lgkmcnt(0)
	v_and_b32_e32 v20, 1, v21
	v_cmp_eq_u32_e64 s[0:1], 1, v20
	s_or_b64 s[0:1], vcc, s[0:1]
	v_lshl_add_u64 v[24:25], v[56:57], 0, v[24:25]
	v_cndmask_b32_e64 v64, 0, 1, s[0:1]
	v_cndmask_b32_e64 v20, 0, 1, s[0:1]
.LBB129_111:
	s_or_b64 exec, exec, s[54:55]
	v_cmp_gt_u32_e32 vcc, 60, v51
	s_waitcnt lgkmcnt(1)
	v_add_u32_e32 v56, 4, v51
	s_waitcnt lgkmcnt(0)
	v_cndmask_b32_e64 v21, 0, 1, vcc
	v_lshlrev_b32_e32 v21, 2, v21
	v_add_lshl_u32 v55, v21, v44, 2
	ds_bpermute_b32 v57, v55, v24
	ds_bpermute_b32 v58, v55, v25
	ds_bpermute_b32 v21, v55, v20
	v_cmp_le_u32_e32 vcc, v56, v9
	s_and_saveexec_b64 s[54:55], vcc
	s_cbranch_execz .LBB129_113
; %bb.112:
	v_mov_b32_e32 v20, 0
	v_cmp_eq_u16_sdwa vcc, v64, v20 src0_sel:BYTE_0 src1_sel:DWORD
	v_and_b32_e32 v20, 1, v64
	s_waitcnt lgkmcnt(1)
	v_cndmask_b32_e32 v59, 0, v58, vcc
	v_cndmask_b32_e32 v58, 0, v57, vcc
	v_cmp_eq_u32_e32 vcc, 1, v20
	s_waitcnt lgkmcnt(0)
	v_and_b32_e32 v20, 1, v21
	v_cmp_eq_u32_e64 s[0:1], 1, v20
	s_or_b64 s[0:1], vcc, s[0:1]
	v_lshl_add_u64 v[24:25], v[58:59], 0, v[24:25]
	v_cndmask_b32_e64 v64, 0, 1, s[0:1]
	v_cndmask_b32_e64 v20, 0, 1, s[0:1]
.LBB129_113:
	s_or_b64 exec, exec, s[54:55]
	v_cmp_gt_u32_e32 vcc, 56, v51
	s_waitcnt lgkmcnt(1)
	v_add_u32_e32 v58, 8, v51
	s_waitcnt lgkmcnt(0)
	v_cndmask_b32_e64 v21, 0, 1, vcc
	v_lshlrev_b32_e32 v21, 3, v21
	v_add_lshl_u32 v57, v21, v44, 2
	ds_bpermute_b32 v59, v57, v24
	ds_bpermute_b32 v60, v57, v25
	ds_bpermute_b32 v21, v57, v20
	v_cmp_le_u32_e32 vcc, v58, v9
	s_and_saveexec_b64 s[54:55], vcc
	s_cbranch_execz .LBB129_115
; %bb.114:
	v_mov_b32_e32 v20, 0
	v_cmp_eq_u16_sdwa vcc, v64, v20 src0_sel:BYTE_0 src1_sel:DWORD
	v_and_b32_e32 v20, 1, v64
	s_waitcnt lgkmcnt(1)
	v_cndmask_b32_e32 v61, 0, v60, vcc
	v_cndmask_b32_e32 v60, 0, v59, vcc
	v_cmp_eq_u32_e32 vcc, 1, v20
	s_waitcnt lgkmcnt(0)
	v_and_b32_e32 v20, 1, v21
	v_cmp_eq_u32_e64 s[0:1], 1, v20
	s_or_b64 s[0:1], vcc, s[0:1]
	v_lshl_add_u64 v[24:25], v[60:61], 0, v[24:25]
	v_cndmask_b32_e64 v64, 0, 1, s[0:1]
	v_cndmask_b32_e64 v20, 0, 1, s[0:1]
.LBB129_115:
	s_or_b64 exec, exec, s[54:55]
	v_cmp_gt_u32_e32 vcc, 48, v51
	s_waitcnt lgkmcnt(1)
	v_add_u32_e32 v60, 16, v51
	s_waitcnt lgkmcnt(0)
	v_cndmask_b32_e64 v21, 0, 1, vcc
	v_lshlrev_b32_e32 v21, 4, v21
	v_add_lshl_u32 v59, v21, v44, 2
	ds_bpermute_b32 v61, v59, v24
	ds_bpermute_b32 v62, v59, v25
	ds_bpermute_b32 v21, v59, v20
	v_cmp_le_u32_e32 vcc, v60, v9
	s_and_saveexec_b64 s[54:55], vcc
	s_cbranch_execz .LBB129_117
; %bb.116:
	v_mov_b32_e32 v20, 0
	v_cmp_eq_u16_sdwa vcc, v64, v20 src0_sel:BYTE_0 src1_sel:DWORD
	v_and_b32_e32 v20, 1, v64
	s_waitcnt lgkmcnt(1)
	v_cndmask_b32_e32 v63, 0, v62, vcc
	v_cndmask_b32_e32 v62, 0, v61, vcc
	v_cmp_eq_u32_e32 vcc, 1, v20
	s_waitcnt lgkmcnt(0)
	v_and_b32_e32 v20, 1, v21
	v_cmp_eq_u32_e64 s[0:1], 1, v20
	s_or_b64 s[0:1], vcc, s[0:1]
	v_lshl_add_u64 v[24:25], v[62:63], 0, v[24:25]
	v_cndmask_b32_e64 v64, 0, 1, s[0:1]
	v_cndmask_b32_e64 v20, 0, 1, s[0:1]
.LBB129_117:
	s_or_b64 exec, exec, s[54:55]
	v_cmp_gt_u32_e32 vcc, 32, v51
	s_waitcnt lgkmcnt(1)
	v_add_u32_e32 v62, 32, v51
	s_waitcnt lgkmcnt(0)
	v_cndmask_b32_e64 v21, 0, 1, vcc
	v_lshlrev_b32_e32 v21, 5, v21
	v_add_lshl_u32 v61, v21, v44, 2
	ds_bpermute_b32 v21, v61, v24
	ds_bpermute_b32 v44, v61, v25
	;; [unrolled: 1-line block ×3, first 2 shown]
	v_cmp_le_u32_e32 vcc, v62, v9
	s_and_saveexec_b64 s[54:55], vcc
	s_cbranch_execz .LBB129_119
; %bb.118:
	v_mov_b32_e32 v9, 0
	v_cmp_eq_u16_sdwa vcc, v64, v9 src0_sel:BYTE_0 src1_sel:DWORD
	v_and_b32_e32 v9, 1, v64
	s_waitcnt lgkmcnt(1)
	v_cndmask_b32_e32 v67, 0, v44, vcc
	v_cndmask_b32_e32 v66, 0, v21, vcc
	v_cmp_eq_u32_e32 vcc, 1, v9
	s_waitcnt lgkmcnt(0)
	v_and_b32_e32 v9, 1, v20
	v_cmp_eq_u32_e64 s[0:1], 1, v9
	s_or_b64 s[0:1], vcc, s[0:1]
	v_lshl_add_u64 v[24:25], v[66:67], 0, v[24:25]
	v_cndmask_b32_e64 v64, 0, 1, s[0:1]
.LBB129_119:
	s_or_b64 exec, exec, s[54:55]
	v_mov_b32_e32 v9, 0
	v_mov_b32_e32 v63, 2
	s_branch .LBB129_121
.LBB129_120:                            ;   in Loop: Header=BB129_121 Depth=1
	s_or_b64 exec, exec, s[60:61]
	v_cmp_eq_u16_sdwa vcc, v44, v9 src0_sel:BYTE_0 src1_sel:DWORD
	v_and_b32_e32 v64, 1, v44
	v_subrev_u32_e32 v8, 64, v8
	v_cndmask_b32_e32 v25, 0, v25, vcc
	v_cndmask_b32_e32 v24, 0, v24, vcc
	v_cmp_eq_u32_e32 vcc, 1, v64
	s_or_b64 s[0:1], vcc, s[54:55]
	v_lshl_add_u64 v[24:25], v[24:25], 0, v[20:21]
	v_cndmask_b32_e64 v64, 0, 1, s[0:1]
.LBB129_121:                            ; =>This Loop Header: Depth=1
                                        ;     Child Loop BB129_124 Depth 2
	v_cmp_ne_u16_sdwa s[0:1], v45, v63 src0_sel:BYTE_0 src1_sel:DWORD
	s_waitcnt lgkmcnt(1)
	v_mov_b32_e32 v44, v64
	s_waitcnt lgkmcnt(0)
	v_cndmask_b32_e64 v20, 0, 1, s[0:1]
	;;#ASMSTART
	;;#ASMEND
	s_nop 0
	v_cmp_ne_u32_e32 vcc, 0, v20
	s_cmp_lg_u64 vcc, exec
	v_mov_b64_e32 v[20:21], v[24:25]
	s_cbranch_scc1 .LBB129_138
; %bb.122:                              ;   in Loop: Header=BB129_121 Depth=1
	global_load_ubyte v45, v8, s[44:45] sc1
	s_waitcnt vmcnt(0)
	v_cmp_eq_u16_e32 vcc, 0, v45
	s_and_saveexec_b64 s[0:1], vcc
	s_cbranch_execz .LBB129_126
; %bb.123:                              ;   in Loop: Header=BB129_121 Depth=1
	v_lshl_add_u64 v[24:25], s[44:45], 0, v[8:9]
	s_mov_b64 s[54:55], 0
.LBB129_124:                            ;   Parent Loop BB129_121 Depth=1
                                        ; =>  This Inner Loop Header: Depth=2
	global_load_ubyte v45, v[24:25], off sc1
	s_waitcnt vmcnt(0)
	v_cmp_ne_u16_e32 vcc, 0, v45
	s_or_b64 s[54:55], vcc, s[54:55]
	s_andn2_b64 exec, exec, s[54:55]
	s_cbranch_execnz .LBB129_124
; %bb.125:                              ;   in Loop: Header=BB129_121 Depth=1
	s_or_b64 exec, exec, s[54:55]
.LBB129_126:                            ;   in Loop: Header=BB129_121 Depth=1
	s_or_b64 exec, exec, s[0:1]
	v_mov_b32_e32 v24, s43
	v_mov_b32_e32 v25, s41
	v_cmp_eq_u16_e32 vcc, 1, v45
	v_mov_b32_e32 v64, s40
	s_waitcnt vmcnt(0)
	v_cndmask_b32_e32 v25, v24, v25, vcc
	v_mov_b32_e32 v24, s42
	v_cndmask_b32_e32 v24, v24, v64, vcc
	v_lshl_add_u64 v[66:67], v[8:9], 4, v[24:25]
	global_load_dword v24, v[66:67], off sc1
	global_load_dword v25, v[66:67], off offset:4 sc1
	global_load_dword v64, v[66:67], off offset:8 sc1
	;; [unrolled: 1-line block ×3, first 2 shown]
	v_cmp_eq_u16_e32 vcc, 2, v45
	s_waitcnt vmcnt(3)
	ds_bpermute_b32 v68, v52, v24
	s_waitcnt vmcnt(0)
	v_and_b32_e32 v65, vcc_hi, v13
	v_and_b32_e32 v66, 0xff, v64
	v_or_b32_e32 v65, 0x80000000, v65
	ds_bpermute_b32 v69, v52, v25
	ds_bpermute_b32 v67, v52, v66
	v_and_b32_e32 v70, vcc_lo, v12
	v_ffbl_b32_e32 v65, v65
	v_add_u32_e32 v65, 32, v65
	v_ffbl_b32_e32 v70, v70
	v_min_u32_e32 v65, v70, v65
	v_cmp_lt_u32_e32 vcc, v51, v65
	s_and_saveexec_b64 s[0:1], vcc
	s_cbranch_execz .LBB129_128
; %bb.127:                              ;   in Loop: Header=BB129_121 Depth=1
	v_cmp_eq_u16_sdwa vcc, v64, v9 src0_sel:BYTE_0 src1_sel:DWORD
	s_waitcnt lgkmcnt(0)
	v_or_b32_e32 v66, v67, v64
	v_and_b32_e32 v64, 1, v66
	v_cndmask_b32_e32 v69, 0, v69, vcc
	v_cndmask_b32_e32 v68, 0, v68, vcc
	v_lshl_add_u64 v[24:25], v[68:69], 0, v[24:25]
	v_and_b32_e32 v66, 1, v66
.LBB129_128:                            ;   in Loop: Header=BB129_121 Depth=1
	s_or_b64 exec, exec, s[0:1]
	s_waitcnt lgkmcnt(2)
	ds_bpermute_b32 v68, v53, v24
	s_waitcnt lgkmcnt(2)
	ds_bpermute_b32 v69, v53, v25
	;; [unrolled: 2-line block ×3, first 2 shown]
	v_and_b32_e32 v70, 1, v64
	v_cmp_le_u32_e32 vcc, v54, v65
	v_cmp_eq_u32_e64 s[54:55], 1, v70
	s_and_saveexec_b64 s[0:1], vcc
	s_cbranch_execz .LBB129_130
; %bb.129:                              ;   in Loop: Header=BB129_121 Depth=1
	v_cmp_eq_u16_sdwa vcc, v64, v9 src0_sel:BYTE_0 src1_sel:DWORD
	s_waitcnt lgkmcnt(0)
	v_and_b32_e32 v64, 1, v67
	v_cndmask_b32_e32 v69, 0, v69, vcc
	v_cndmask_b32_e32 v68, 0, v68, vcc
	v_cmp_eq_u32_e32 vcc, 1, v64
	s_or_b64 s[60:61], s[54:55], vcc
	v_cndmask_b32_e64 v64, 0, 1, s[60:61]
	v_cndmask_b32_e64 v66, 0, 1, s[60:61]
	s_andn2_b64 s[54:55], s[54:55], exec
	s_and_b64 s[60:61], s[60:61], exec
	v_lshl_add_u64 v[24:25], v[68:69], 0, v[24:25]
	s_or_b64 s[54:55], s[54:55], s[60:61]
.LBB129_130:                            ;   in Loop: Header=BB129_121 Depth=1
	s_or_b64 exec, exec, s[0:1]
	s_waitcnt lgkmcnt(2)
	ds_bpermute_b32 v68, v55, v24
	s_waitcnt lgkmcnt(2)
	ds_bpermute_b32 v69, v55, v25
	s_waitcnt lgkmcnt(2)
	ds_bpermute_b32 v67, v55, v66
	v_cmp_le_u32_e32 vcc, v56, v65
	s_and_saveexec_b64 s[60:61], vcc
	s_cbranch_execz .LBB129_132
; %bb.131:                              ;   in Loop: Header=BB129_121 Depth=1
	v_cmp_eq_u16_sdwa vcc, v64, v9 src0_sel:BYTE_0 src1_sel:DWORD
	v_and_b32_e32 v64, 1, v64
	s_andn2_b64 s[54:55], s[54:55], exec
	s_waitcnt lgkmcnt(1)
	v_cndmask_b32_e32 v69, 0, v69, vcc
	v_cndmask_b32_e32 v68, 0, v68, vcc
	v_cmp_eq_u32_e32 vcc, 1, v64
	s_waitcnt lgkmcnt(0)
	v_and_b32_e32 v64, 1, v67
	v_cmp_eq_u32_e64 s[0:1], 1, v64
	s_or_b64 s[0:1], vcc, s[0:1]
	v_lshl_add_u64 v[24:25], v[68:69], 0, v[24:25]
	v_cndmask_b32_e64 v64, 0, 1, s[0:1]
	v_cndmask_b32_e64 v66, 0, 1, s[0:1]
	s_and_b64 s[0:1], s[0:1], exec
	s_or_b64 s[54:55], s[54:55], s[0:1]
.LBB129_132:                            ;   in Loop: Header=BB129_121 Depth=1
	s_or_b64 exec, exec, s[60:61]
	s_waitcnt lgkmcnt(2)
	ds_bpermute_b32 v68, v57, v24
	s_waitcnt lgkmcnt(2)
	ds_bpermute_b32 v69, v57, v25
	s_waitcnt lgkmcnt(2)
	ds_bpermute_b32 v67, v57, v66
	v_cmp_le_u32_e32 vcc, v58, v65
	s_and_saveexec_b64 s[60:61], vcc
	s_cbranch_execz .LBB129_134
; %bb.133:                              ;   in Loop: Header=BB129_121 Depth=1
	v_cmp_eq_u16_sdwa vcc, v64, v9 src0_sel:BYTE_0 src1_sel:DWORD
	v_and_b32_e32 v64, 1, v64
	s_andn2_b64 s[54:55], s[54:55], exec
	s_waitcnt lgkmcnt(1)
	v_cndmask_b32_e32 v69, 0, v69, vcc
	v_cndmask_b32_e32 v68, 0, v68, vcc
	v_cmp_eq_u32_e32 vcc, 1, v64
	s_waitcnt lgkmcnt(0)
	v_and_b32_e32 v64, 1, v67
	v_cmp_eq_u32_e64 s[0:1], 1, v64
	s_or_b64 s[0:1], vcc, s[0:1]
	v_lshl_add_u64 v[24:25], v[68:69], 0, v[24:25]
	v_cndmask_b32_e64 v64, 0, 1, s[0:1]
	v_cndmask_b32_e64 v66, 0, 1, s[0:1]
	s_and_b64 s[0:1], s[0:1], exec
	s_or_b64 s[54:55], s[54:55], s[0:1]
.LBB129_134:                            ;   in Loop: Header=BB129_121 Depth=1
	;; [unrolled: 28-line block ×3, first 2 shown]
	s_or_b64 exec, exec, s[60:61]
	s_waitcnt lgkmcnt(0)
	ds_bpermute_b32 v67, v61, v24
	ds_bpermute_b32 v68, v61, v25
	;; [unrolled: 1-line block ×3, first 2 shown]
	v_cmp_le_u32_e32 vcc, v62, v65
	s_and_saveexec_b64 s[60:61], vcc
	s_cbranch_execz .LBB129_120
; %bb.137:                              ;   in Loop: Header=BB129_121 Depth=1
	v_cmp_eq_u16_sdwa vcc, v64, v9 src0_sel:BYTE_0 src1_sel:DWORD
	v_and_b32_e32 v64, 1, v64
	s_andn2_b64 s[54:55], s[54:55], exec
	s_waitcnt lgkmcnt(1)
	v_cndmask_b32_e32 v69, 0, v68, vcc
	v_cndmask_b32_e32 v68, 0, v67, vcc
	v_cmp_eq_u32_e32 vcc, 1, v64
	s_waitcnt lgkmcnt(0)
	v_and_b32_e32 v64, 1, v66
	v_cmp_eq_u32_e64 s[0:1], 1, v64
	s_or_b64 s[0:1], vcc, s[0:1]
	s_and_b64 s[0:1], s[0:1], exec
	v_lshl_add_u64 v[24:25], v[68:69], 0, v[24:25]
	s_or_b64 s[54:55], s[54:55], s[0:1]
	s_branch .LBB129_120
.LBB129_138:                            ;   in Loop: Header=BB129_121 Depth=1
                                        ; implicit-def: $vgpr64
                                        ; implicit-def: $vgpr24_vgpr25
                                        ; implicit-def: $vgpr45
	s_cbranch_execz .LBB129_121
; %bb.139:
	s_and_saveexec_b64 s[0:1], s[34:35]
	s_cbranch_execz .LBB129_141
; %bb.140:
	s_mov_b32 s41, 0
	v_mov_b32_e32 v12, 0
	s_add_i32 s40, s47, 64
	v_cmp_eq_u32_sdwa vcc, v50, v12 src0_sel:BYTE_0 src1_sel:DWORD
	s_lshl_b64 s[54:55], s[40:41], 4
	v_and_b32_e32 v13, 1, v50
	v_cndmask_b32_e32 v9, 0, v21, vcc
	v_cndmask_b32_e32 v8, 0, v20, vcc
	s_add_u32 s54, s42, s54
	v_lshl_add_u64 v[8:9], v[8:9], 0, v[48:49]
	v_and_b32_e32 v24, 1, v44
	v_cmp_eq_u32_e32 vcc, 1, v13
	s_addc_u32 s55, s43, s55
	s_nop 0
	v_cndmask_b32_e64 v13, v24, 1, vcc
	global_store_dword v12, v8, s[54:55] sc1
	global_store_dword v12, v9, s[54:55] offset:4 sc1
	global_store_dword v12, v13, s[54:55] offset:8 sc1
	;; [unrolled: 1-line block ×3, first 2 shown]
	v_mov_b32_e32 v8, s40
	v_mov_b32_e32 v9, 2
	s_waitcnt vmcnt(0) lgkmcnt(0)
	global_store_byte v8, v9, s[44:45] sc1
.LBB129_141:
	s_or_b64 exec, exec, s[0:1]
	s_and_b64 exec, exec, s[36:37]
	s_cbranch_execz .LBB129_143
; %bb.142:
	v_mov_b32_e32 v8, 0
	ds_write_b64 v8, v[20:21] offset:48
	ds_write_b8 v8, v44 offset:56
.LBB129_143:
	s_or_b64 exec, exec, s[48:49]
	s_waitcnt lgkmcnt(0)
	v_cndmask_b32_e64 v8, v41, v36, s[34:35]
	v_mov_b32_e32 v13, 0
	v_cndmask_b32_e64 v9, v40, v5, s[34:35]
	v_cndmask_b32_e64 v12, v37, v4, s[34:35]
	v_cmp_eq_u16_sdwa vcc, v1, v13 src0_sel:BYTE_0 src1_sel:DWORD
	v_and_b32_e32 v20, 1, v1
	v_and_b32_e32 v8, 1, v8
	s_barrier
	ds_read_b64 v[4:5], v13 offset:48
	v_cndmask_b32_e32 v12, 0, v12, vcc
	v_cndmask_b32_e32 v9, 0, v9, vcc
	v_cmp_eq_u32_e32 vcc, 1, v20
	v_cmp_eq_u32_e64 s[0:1], 1, v8
	s_or_b64 s[0:1], vcc, s[0:1]
	v_cndmask_b32_e64 v9, v9, 0, s[36:37]
	v_cndmask_b32_e64 v8, 0, 1, s[0:1]
	;; [unrolled: 1-line block ×4, first 2 shown]
	v_cmp_eq_u16_sdwa vcc, v20, v13 src0_sel:BYTE_0 src1_sel:DWORD
	v_lshl_add_u64 v[8:9], v[8:9], 0, v[2:3]
	s_waitcnt lgkmcnt(0)
	v_cndmask_b32_e32 v5, 0, v5, vcc
	v_cndmask_b32_e32 v4, 0, v4, vcc
	v_lshl_add_u64 v[48:49], v[8:9], 0, v[4:5]
	v_cndmask_b32_e64 v5, 0, v49, s[6:7]
	v_cndmask_b32_e64 v4, 0, v48, s[6:7]
	v_lshl_add_u64 v[50:51], v[4:5], 0, v[14:15]
	v_cndmask_b32_e64 v5, 0, v51, s[8:9]
	v_cndmask_b32_e64 v4, 0, v50, s[8:9]
	;; [unrolled: 3-line block ×13, first 2 shown]
	v_lshl_add_u64 v[74:75], v[4:5], 0, v[16:17]
	s_branch .LBB129_174
.LBB129_144:
                                        ; implicit-def: $vgpr74_vgpr75
                                        ; implicit-def: $vgpr70_vgpr71
                                        ; implicit-def: $vgpr66_vgpr67
                                        ; implicit-def: $vgpr62_vgpr63
                                        ; implicit-def: $vgpr58_vgpr59
                                        ; implicit-def: $vgpr54_vgpr55
                                        ; implicit-def: $vgpr50_vgpr51
	s_cbranch_execz .LBB129_174
; %bb.145:
	s_cmp_lg_u64 s[58:59], 0
	s_cselect_b32 s7, s51, 0
	s_cselect_b32 s6, s50, 0
	s_cmp_lg_u64 s[6:7], 0
	s_cselect_b64 s[0:1], -1, 0
	s_and_b64 s[8:9], s[36:37], s[0:1]
	s_and_saveexec_b64 s[0:1], s[8:9]
	s_cbranch_execz .LBB129_147
; %bb.146:
	v_mov_b32_e32 v8, 0
	global_load_dwordx2 v[4:5], v8, s[6:7]
	global_load_ubyte v9, v8, s[6:7] offset:8
	v_cmp_eq_u16_sdwa vcc, v1, v8 src0_sel:BYTE_0 src1_sel:DWORD
	s_waitcnt vmcnt(0)
	v_or_b32_e32 v1, v1, v9
	v_cndmask_b32_e32 v5, 0, v5, vcc
	v_cndmask_b32_e32 v4, 0, v4, vcc
	v_lshl_add_u64 v[2:3], v[4:5], 0, v[2:3]
	v_and_b32_e32 v1, 1, v1
.LBB129_147:
	s_or_b64 exec, exec, s[0:1]
	v_mov_b32_e32 v9, 0
	v_cmp_eq_u16_sdwa vcc, v82, v9 src0_sel:BYTE_0 src1_sel:DWORD
	v_cmp_eq_u16_sdwa s[6:7], v81, v9 src0_sel:BYTE_0 src1_sel:DWORD
	v_cmp_eq_u16_sdwa s[8:9], v83, v9 src0_sel:BYTE_0 src1_sel:DWORD
	v_cndmask_b32_e32 v5, 0, v3, vcc
	v_cndmask_b32_e32 v4, 0, v2, vcc
	v_lshl_add_u64 v[50:51], v[4:5], 0, v[14:15]
	v_cndmask_b32_e64 v5, 0, v51, s[6:7]
	v_cndmask_b32_e64 v4, 0, v50, s[6:7]
	v_lshl_add_u64 v[52:53], v[4:5], 0, v[6:7]
	v_cndmask_b32_e64 v5, 0, v53, s[8:9]
	v_cndmask_b32_e64 v4, 0, v52, s[8:9]
	v_lshl_add_u64 v[54:55], v[4:5], 0, v[22:23]
	v_cmp_eq_u16_sdwa s[10:11], v84, v9 src0_sel:BYTE_0 src1_sel:DWORD
	v_cmp_eq_u16_sdwa s[12:13], v85, v9 src0_sel:BYTE_0 src1_sel:DWORD
	v_cmp_eq_u16_sdwa s[14:15], v86, v9 src0_sel:BYTE_0 src1_sel:DWORD
	v_cndmask_b32_e64 v5, 0, v55, s[10:11]
	v_cndmask_b32_e64 v4, 0, v54, s[10:11]
	v_lshl_add_u64 v[56:57], v[4:5], 0, v[10:11]
	v_cndmask_b32_e64 v5, 0, v57, s[12:13]
	v_cndmask_b32_e64 v4, 0, v56, s[12:13]
	v_lshl_add_u64 v[58:59], v[4:5], 0, v[30:31]
	v_cndmask_b32_e64 v5, 0, v59, s[14:15]
	v_cndmask_b32_e64 v4, 0, v58, s[14:15]
	v_lshl_add_u64 v[60:61], v[4:5], 0, v[18:19]
	v_cmp_eq_u16_sdwa s[16:17], v87, v9 src0_sel:BYTE_0 src1_sel:DWORD
	v_cmp_eq_u16_sdwa s[18:19], v88, v9 src0_sel:BYTE_0 src1_sel:DWORD
	v_cmp_eq_u16_sdwa s[20:21], v89, v9 src0_sel:BYTE_0 src1_sel:DWORD
	v_cndmask_b32_e64 v5, 0, v61, s[16:17]
	v_cndmask_b32_e64 v4, 0, v60, s[16:17]
	;; [unrolled: 12-line block ×3, first 2 shown]
	v_lshl_add_u64 v[68:69], v[4:5], 0, v[34:35]
	v_cndmask_b32_e64 v5, 0, v69, s[24:25]
	v_cndmask_b32_e64 v4, 0, v68, s[24:25]
	v_lshl_add_u64 v[70:71], v[4:5], 0, v[46:47]
	v_cndmask_b32_e64 v5, 0, v71, s[26:27]
	v_cndmask_b32_e64 v4, 0, v70, s[26:27]
	v_lshl_add_u64 v[72:73], v[4:5], 0, v[78:79]
	v_cmp_eq_u16_sdwa s[28:29], v33, v9 src0_sel:BYTE_0 src1_sel:DWORD
	v_and_b32_e32 v8, 0xff, v1
	v_mbcnt_hi_u32_b32 v12, -1, v28
	v_cndmask_b32_e64 v5, 0, v73, s[28:29]
	v_cndmask_b32_e64 v4, 0, v72, s[28:29]
	v_lshl_add_u64 v[74:75], v[4:5], 0, v[16:17]
	v_or_b32_e32 v4, v29, v90
	v_or_b32_e32 v4, v4, v89
	;; [unrolled: 1-line block ×10, first 2 shown]
	v_and_b32_e32 v4, 1, v4
	v_cmp_eq_u32_e64 s[0:1], 1, v4
	v_and_b32_e32 v20, 15, v12
	v_mov_b32_dpp v24, v74 row_shr:1 row_mask:0xf bank_mask:0xf
	v_cndmask_b32_e64 v13, v8, 1, s[0:1]
	v_mov_b32_dpp v25, v75 row_shr:1 row_mask:0xf bank_mask:0xf
	v_cmp_ne_u32_e64 s[0:1], 0, v20
	v_mov_b32_dpp v21, v13 row_shr:1 row_mask:0xf bank_mask:0xf
	v_mov_b64_e32 v[4:5], v[74:75]
	v_mov_b32_e32 v9, v75
	v_mov_b32_e32 v8, v74
	s_and_saveexec_b64 s[30:31], s[0:1]
; %bb.148:
	v_cmp_eq_u32_e64 s[0:1], 0, v13
	v_and_or_b32 v13, v21, 1, v13
	s_nop 0
	v_cndmask_b32_e64 v5, 0, v25, s[0:1]
	v_cndmask_b32_e64 v4, 0, v24, s[0:1]
	v_lshl_add_u64 v[4:5], v[74:75], 0, v[4:5]
	v_mov_b32_e32 v9, v5
	v_mov_b32_e32 v8, v4
; %bb.149:
	s_or_b64 exec, exec, s[30:31]
	s_nop 0
	v_mov_b32_dpp v24, v8 row_shr:2 row_mask:0xf bank_mask:0xf
	v_mov_b32_dpp v25, v9 row_shr:2 row_mask:0xf bank_mask:0xf
	v_mov_b32_dpp v21, v13 row_shr:2 row_mask:0xf bank_mask:0xf
	v_cmp_lt_u32_e64 s[0:1], 1, v20
	s_and_saveexec_b64 s[30:31], s[0:1]
; %bb.150:
	v_cmp_eq_u32_e64 s[0:1], 0, v13
	s_nop 1
	v_cndmask_b32_e64 v9, 0, v25, s[0:1]
	v_cndmask_b32_e64 v8, 0, v24, s[0:1]
	v_lshl_add_u64 v[8:9], v[8:9], 0, v[4:5]
	v_or_b32_e32 v4, v21, v13
	v_and_b32_e32 v13, 1, v4
	v_mov_b64_e32 v[4:5], v[8:9]
; %bb.151:
	s_or_b64 exec, exec, s[30:31]
	v_mov_b32_dpp v24, v8 row_shr:4 row_mask:0xf bank_mask:0xf
	v_mov_b32_dpp v25, v9 row_shr:4 row_mask:0xf bank_mask:0xf
	v_mov_b32_dpp v21, v13 row_shr:4 row_mask:0xf bank_mask:0xf
	v_cmp_lt_u32_e64 s[0:1], 3, v20
	s_and_saveexec_b64 s[30:31], s[0:1]
; %bb.152:
	v_cmp_eq_u32_e64 s[0:1], 0, v13
	s_nop 1
	v_cndmask_b32_e64 v9, 0, v25, s[0:1]
	v_cndmask_b32_e64 v8, 0, v24, s[0:1]
	v_lshl_add_u64 v[8:9], v[8:9], 0, v[4:5]
	v_or_b32_e32 v4, v21, v13
	v_and_b32_e32 v13, 1, v4
	v_mov_b64_e32 v[4:5], v[8:9]
; %bb.153:
	s_or_b64 exec, exec, s[30:31]
	;; [unrolled: 16-line block ×3, first 2 shown]
	v_and_b32_e32 v25, 16, v12
	v_mov_b32_dpp v21, v8 row_bcast:15 row_mask:0xf bank_mask:0xf
	v_mov_b32_dpp v24, v9 row_bcast:15 row_mask:0xf bank_mask:0xf
	;; [unrolled: 1-line block ×3, first 2 shown]
	v_cmp_ne_u32_e64 s[0:1], 0, v25
	s_and_saveexec_b64 s[30:31], s[0:1]
; %bb.156:
	v_cmp_eq_u32_e64 s[0:1], 0, v13
	s_nop 1
	v_cndmask_b32_e64 v9, 0, v24, s[0:1]
	v_cndmask_b32_e64 v8, 0, v21, s[0:1]
	v_lshl_add_u64 v[4:5], v[8:9], 0, v[4:5]
	v_or_b32_e32 v8, v20, v13
	v_and_b32_e32 v13, 1, v8
	v_mov_b32_e32 v9, v5
	v_mov_b32_e32 v8, v4
; %bb.157:
	s_or_b64 exec, exec, s[30:31]
	s_nop 0
	v_mov_b32_dpp v20, v8 row_bcast:31 row_mask:0xf bank_mask:0xf
	v_mov_b32_dpp v21, v9 row_bcast:31 row_mask:0xf bank_mask:0xf
	;; [unrolled: 1-line block ×3, first 2 shown]
	v_cmp_lt_u32_e64 s[0:1], 31, v12
	v_mov_b32_e32 v8, v13
	s_and_saveexec_b64 s[30:31], s[0:1]
; %bb.158:
	v_cmp_eq_u32_e64 s[0:1], 0, v13
	v_or_b32_e32 v9, v9, v13
	v_and_b32_e32 v8, 1, v9
	v_cndmask_b32_e64 v21, 0, v21, s[0:1]
	v_cndmask_b32_e64 v20, 0, v20, s[0:1]
	v_lshl_add_u64 v[4:5], v[20:21], 0, v[4:5]
	v_and_b32_e32 v13, 1, v9
; %bb.159:
	s_or_b64 exec, exec, s[30:31]
	v_or_b32_e32 v9, 63, v0
	v_lshrrev_b32_e32 v20, 6, v0
	v_cmp_eq_u32_e64 s[0:1], v9, v0
	s_and_saveexec_b64 s[30:31], s[0:1]
	s_cbranch_execz .LBB129_161
; %bb.160:
	v_lshlrev_b32_e32 v9, 4, v20
	ds_write_b64 v9, v[4:5]
	ds_write_b8 v9, v8 offset:8
.LBB129_161:
	s_or_b64 exec, exec, s[30:31]
	v_cmp_gt_u32_e64 s[0:1], 4, v0
	s_waitcnt lgkmcnt(0)
	s_barrier
	s_and_saveexec_b64 s[34:35], s[0:1]
	s_cbranch_execz .LBB129_167
; %bb.162:
	v_lshlrev_b32_e32 v21, 4, v0
	ds_read_b64 v[8:9], v21
	ds_read_b32 v24, v21 offset:8
	v_and_b32_e32 v25, 3, v12
	v_cmp_ne_u32_e64 s[0:1], 0, v25
	s_waitcnt lgkmcnt(1)
	v_mov_b32_dpp v36, v8 row_shr:1 row_mask:0xf bank_mask:0xf
	v_mov_b32_dpp v37, v9 row_shr:1 row_mask:0xf bank_mask:0xf
	s_waitcnt lgkmcnt(0)
	v_mov_b32_dpp v33, v24 row_shr:1 row_mask:0xf bank_mask:0xf
	v_mov_b32_e32 v28, v24
	v_mov_b32_e32 v29, v24
	s_and_saveexec_b64 s[30:31], s[0:1]
; %bb.163:
	v_mov_b32_e32 v28, 0
	v_cmp_eq_u16_sdwa s[0:1], v24, v28 src0_sel:BYTE_0 src1_sel:DWORD
	s_nop 1
	v_cndmask_b32_e64 v29, 0, v37, s[0:1]
	v_cndmask_b32_e64 v28, 0, v36, s[0:1]
	v_lshl_add_u64 v[8:9], v[28:29], 0, v[8:9]
	v_or_b32_e32 v29, v33, v24
	v_and_b32_e32 v28, 1, v29
	v_and_b32_e32 v29, 1, v29
	s_movk_i32 s0, 0xff00
	v_and_or_b32 v24, v24, s0, v29
; %bb.164:
	s_or_b64 exec, exec, s[30:31]
	v_mov_b32_dpp v33, v8 row_shr:2 row_mask:0xf bank_mask:0xf
	v_mov_b32_dpp v36, v9 row_shr:2 row_mask:0xf bank_mask:0xf
	;; [unrolled: 1-line block ×3, first 2 shown]
	v_cmp_lt_u32_e64 s[0:1], 1, v25
	s_and_saveexec_b64 s[40:41], s[0:1]
; %bb.165:
	v_mov_b32_e32 v25, 0
	v_cmp_eq_u16_sdwa s[0:1], v29, v25 src0_sel:BYTE_0 src1_sel:DWORD
	v_and_b32_e32 v25, 1, v29
	v_and_b32_e32 v24, 1, v24
	v_cndmask_b32_e64 v37, 0, v36, s[0:1]
	v_cndmask_b32_e64 v36, 0, v33, s[0:1]
	v_cmp_eq_u32_e64 s[0:1], 1, v25
	v_cmp_eq_u32_e64 s[30:31], 1, v24
	s_or_b64 s[0:1], s[0:1], s[30:31]
	v_lshl_add_u64 v[8:9], v[36:37], 0, v[8:9]
	v_cndmask_b32_e64 v28, 0, 1, s[0:1]
; %bb.166:
	s_or_b64 exec, exec, s[40:41]
	ds_write_b64 v21, v[8:9]
	ds_write_b8 v21, v28 offset:8
.LBB129_167:
	s_or_b64 exec, exec, s[34:35]
	v_cmp_lt_u32_e64 s[0:1], 63, v0
	v_mov_b64_e32 v[8:9], 0
	s_waitcnt lgkmcnt(0)
	s_barrier
	s_and_saveexec_b64 s[30:31], s[0:1]
	s_cbranch_execz .LBB129_169
; %bb.168:
	v_lshl_add_u32 v8, v20, 4, -16
	ds_read_b64 v[8:9], v8
	v_cmp_eq_u32_e64 s[0:1], 0, v13
	s_waitcnt lgkmcnt(0)
	s_nop 0
	v_cndmask_b32_e64 v21, 0, v9, s[0:1]
	v_cndmask_b32_e64 v20, 0, v8, s[0:1]
	v_lshl_add_u64 v[4:5], v[20:21], 0, v[4:5]
.LBB129_169:
	s_or_b64 exec, exec, s[30:31]
	v_add_u32_e32 v13, -1, v12
	v_and_b32_e32 v20, 64, v12
	v_cmp_lt_i32_e64 s[0:1], v13, v20
	s_nop 1
	v_cndmask_b32_e64 v13, v13, v12, s[0:1]
	v_lshlrev_b32_e32 v13, 2, v13
	ds_bpermute_b32 v4, v13, v4
	ds_bpermute_b32 v5, v13, v5
	s_and_saveexec_b64 s[30:31], s[4:5]
	s_cbranch_execz .LBB129_171
; %bb.170:
	v_cmp_eq_u32_e64 s[0:1], 0, v12
	;;#ASMSTART
	;;#ASMEND
	s_waitcnt lgkmcnt(1)
	s_nop 0
	v_cndmask_b32_e64 v4, v4, v8, s[0:1]
	v_mov_b32_e32 v8, 0
	s_waitcnt lgkmcnt(0)
	v_cndmask_b32_e64 v5, v5, v9, s[0:1]
	v_cmp_eq_u16_sdwa s[0:1], v1, v8 src0_sel:BYTE_0 src1_sel:DWORD
	s_nop 1
	v_cndmask_b32_e64 v5, 0, v5, s[0:1]
	v_cndmask_b32_e64 v4, 0, v4, s[0:1]
	v_lshl_add_u64 v[2:3], v[4:5], 0, v[2:3]
	v_cndmask_b32_e32 v5, 0, v3, vcc
	v_cndmask_b32_e32 v4, 0, v2, vcc
	v_lshl_add_u64 v[50:51], v[4:5], 0, v[14:15]
	v_cndmask_b32_e64 v5, 0, v51, s[6:7]
	v_cndmask_b32_e64 v4, 0, v50, s[6:7]
	v_lshl_add_u64 v[52:53], v[4:5], 0, v[6:7]
	v_cndmask_b32_e64 v5, 0, v53, s[8:9]
	v_cndmask_b32_e64 v4, 0, v52, s[8:9]
	v_lshl_add_u64 v[54:55], v[4:5], 0, v[22:23]
	v_cndmask_b32_e64 v5, 0, v55, s[10:11]
	v_cndmask_b32_e64 v4, 0, v54, s[10:11]
	v_lshl_add_u64 v[56:57], v[4:5], 0, v[10:11]
	v_cndmask_b32_e64 v5, 0, v57, s[12:13]
	v_cndmask_b32_e64 v4, 0, v56, s[12:13]
	v_lshl_add_u64 v[58:59], v[4:5], 0, v[30:31]
	v_cndmask_b32_e64 v5, 0, v59, s[14:15]
	v_cndmask_b32_e64 v4, 0, v58, s[14:15]
	v_lshl_add_u64 v[60:61], v[4:5], 0, v[18:19]
	v_cndmask_b32_e64 v5, 0, v61, s[16:17]
	v_cndmask_b32_e64 v4, 0, v60, s[16:17]
	v_lshl_add_u64 v[62:63], v[4:5], 0, v[38:39]
	v_cndmask_b32_e64 v5, 0, v63, s[18:19]
	v_cndmask_b32_e64 v4, 0, v62, s[18:19]
	v_lshl_add_u64 v[64:65], v[4:5], 0, v[26:27]
	v_cndmask_b32_e64 v5, 0, v65, s[20:21]
	v_cndmask_b32_e64 v4, 0, v64, s[20:21]
	v_lshl_add_u64 v[66:67], v[4:5], 0, v[42:43]
	v_cndmask_b32_e64 v5, 0, v67, s[22:23]
	v_cndmask_b32_e64 v4, 0, v66, s[22:23]
	v_lshl_add_u64 v[68:69], v[4:5], 0, v[34:35]
	v_cndmask_b32_e64 v5, 0, v69, s[24:25]
	v_cndmask_b32_e64 v4, 0, v68, s[24:25]
	v_lshl_add_u64 v[70:71], v[4:5], 0, v[46:47]
	v_cndmask_b32_e64 v5, 0, v71, s[26:27]
	v_cndmask_b32_e64 v4, 0, v70, s[26:27]
	v_lshl_add_u64 v[72:73], v[4:5], 0, v[78:79]
	v_cndmask_b32_e64 v5, 0, v73, s[28:29]
	v_cndmask_b32_e64 v4, 0, v72, s[28:29]
	v_lshl_add_u64 v[74:75], v[4:5], 0, v[16:17]
.LBB129_171:
	s_or_b64 exec, exec, s[30:31]
	s_and_saveexec_b64 s[0:1], s[36:37]
	s_cbranch_execz .LBB129_173
; %bb.172:
	v_mov_b32_e32 v1, 0
	s_waitcnt lgkmcnt(0)
	ds_read_b64 v[4:5], v1 offset:48
	ds_read_u8 v6, v1 offset:56
	s_waitcnt lgkmcnt(1)
	global_store_dword v1, v4, s[42:43] offset:1024 sc1
	global_store_dword v1, v5, s[42:43] offset:1028 sc1
	s_waitcnt lgkmcnt(0)
	global_store_dword v1, v6, s[42:43] offset:1032 sc1
	global_store_dword v1, v1, s[42:43] offset:1036 sc1
	v_mov_b32_e32 v4, 2
	s_waitcnt vmcnt(0)
	global_store_byte v1, v4, s[44:45] offset:64 sc1
.LBB129_173:
	s_or_b64 exec, exec, s[0:1]
	v_mov_b64_e32 v[48:49], v[2:3]
.LBB129_174:
	s_add_u32 s0, s38, s56
	s_addc_u32 s1, s39, s57
	s_add_u32 s0, s0, s52
	v_mul_u32_u24_e32 v1, 14, v0
	s_addc_u32 s1, s1, s53
	s_and_b64 vcc, exec, s[2:3]
	v_lshlrev_b32_e32 v30, 3, v1
	s_cbranch_vccz .LBB129_202
; %bb.175:
	s_movk_i32 s2, 0xff98
	v_mad_i32_i24 v1, v0, s2, v30
	s_waitcnt lgkmcnt(0)
	s_barrier
	ds_write_b128 v30, v[48:51]
	ds_write_b128 v30, v[52:55] offset:16
	ds_write_b128 v30, v[56:59] offset:32
	ds_write_b128 v30, v[60:63] offset:48
	ds_write_b128 v30, v[64:67] offset:64
	ds_write_b128 v30, v[68:71] offset:80
	ds_write_b128 v30, v[72:75] offset:96
	s_waitcnt lgkmcnt(0)
	s_barrier
	ds_read2st64_b64 v[26:29], v1 offset0:4 offset1:8
	ds_read2st64_b64 v[22:25], v1 offset0:12 offset1:16
	;; [unrolled: 1-line block ×6, first 2 shown]
	ds_read_b64 v[4:5], v1 offset:26624
	s_add_i32 s33, s33, s46
	v_mov_b32_e32 v33, 0
	v_lshl_add_u64 v[2:3], s[0:1], 0, v[32:33]
	v_cmp_gt_u32_e32 vcc, s33, v0
	s_and_saveexec_b64 s[2:3], vcc
	s_cbranch_execz .LBB129_177
; %bb.176:
	v_mul_i32_i24_e32 v1, 0xffffff98, v0
	v_add_u32_e32 v1, v30, v1
	ds_read_b64 v[34:35], v1
	s_waitcnt lgkmcnt(0)
	global_store_dwordx2 v[2:3], v[34:35], off
.LBB129_177:
	s_or_b64 exec, exec, s[2:3]
	v_or_b32_e32 v1, 0x100, v0
	v_cmp_gt_u32_e32 vcc, s33, v1
	s_and_saveexec_b64 s[2:3], vcc
	s_cbranch_execz .LBB129_179
; %bb.178:
	s_waitcnt lgkmcnt(6)
	global_store_dwordx2 v[2:3], v[26:27], off offset:2048
.LBB129_179:
	s_or_b64 exec, exec, s[2:3]
	v_or_b32_e32 v1, 0x200, v0
	v_cmp_gt_u32_e32 vcc, s33, v1
	s_and_saveexec_b64 s[2:3], vcc
	s_cbranch_execz .LBB129_181
; %bb.180:
	s_waitcnt lgkmcnt(6)
	v_add_co_u32_e32 v26, vcc, 0x1000, v2
	s_nop 1
	v_addc_co_u32_e32 v27, vcc, 0, v3, vcc
	global_store_dwordx2 v[26:27], v[28:29], off
.LBB129_181:
	s_or_b64 exec, exec, s[2:3]
	v_or_b32_e32 v1, 0x300, v0
	v_cmp_gt_u32_e32 vcc, s33, v1
	s_and_saveexec_b64 s[2:3], vcc
	s_cbranch_execz .LBB129_183
; %bb.182:
	s_waitcnt lgkmcnt(6)
	v_add_co_u32_e32 v26, vcc, 0x1000, v2
	s_nop 1
	v_addc_co_u32_e32 v27, vcc, 0, v3, vcc
	s_waitcnt lgkmcnt(5)
	global_store_dwordx2 v[26:27], v[22:23], off offset:2048
.LBB129_183:
	s_or_b64 exec, exec, s[2:3]
	v_or_b32_e32 v1, 0x400, v0
	v_cmp_gt_u32_e32 vcc, s33, v1
	s_and_saveexec_b64 s[2:3], vcc
	s_cbranch_execz .LBB129_185
; %bb.184:
	s_waitcnt lgkmcnt(5)
	v_add_co_u32_e32 v22, vcc, 0x2000, v2
	s_nop 1
	v_addc_co_u32_e32 v23, vcc, 0, v3, vcc
	global_store_dwordx2 v[22:23], v[24:25], off
.LBB129_185:
	s_or_b64 exec, exec, s[2:3]
	v_or_b32_e32 v1, 0x500, v0
	v_cmp_gt_u32_e32 vcc, s33, v1
	s_and_saveexec_b64 s[2:3], vcc
	s_cbranch_execz .LBB129_187
; %bb.186:
	s_waitcnt lgkmcnt(5)
	v_add_co_u32_e32 v22, vcc, 0x2000, v2
	s_nop 1
	v_addc_co_u32_e32 v23, vcc, 0, v3, vcc
	s_waitcnt lgkmcnt(4)
	global_store_dwordx2 v[22:23], v[18:19], off offset:2048
.LBB129_187:
	;; [unrolled: 25-line block ×5, first 2 shown]
	s_or_b64 exec, exec, s[2:3]
	v_or_b32_e32 v1, 0xc00, v0
	v_cmp_gt_u32_e32 vcc, s33, v1
	s_and_saveexec_b64 s[2:3], vcc
	s_cbranch_execz .LBB129_201
; %bb.200:
	v_add_co_u32_e32 v2, vcc, 0x6000, v2
	s_nop 1
	v_addc_co_u32_e32 v3, vcc, 0, v3, vcc
	s_waitcnt lgkmcnt(1)
	global_store_dwordx2 v[2:3], v[8:9], off
.LBB129_201:
	s_or_b64 exec, exec, s[2:3]
	v_or_b32_e32 v2, 0xd00, v0
	v_mov_b32_e32 v1, v33
	v_cmp_gt_u32_e64 s[2:3], s33, v2
	s_branch .LBB129_204
.LBB129_202:
	s_mov_b64 s[2:3], 0
                                        ; implicit-def: $vgpr4_vgpr5
	s_cbranch_execz .LBB129_204
; %bb.203:
	v_mov_b32_e32 v1, 0
	s_movk_i32 s4, 0xff98
	v_mad_i32_i24 v2, v0, s4, v30
	v_mov_b32_e32 v33, v1
	s_waitcnt lgkmcnt(0)
	s_barrier
	ds_write_b128 v30, v[48:51]
	ds_write_b128 v30, v[52:55] offset:16
	ds_write_b128 v30, v[56:59] offset:32
	ds_write_b128 v30, v[60:63] offset:48
	ds_write_b128 v30, v[64:67] offset:64
	ds_write_b128 v30, v[68:71] offset:80
	ds_write_b128 v30, v[72:75] offset:96
	s_waitcnt lgkmcnt(0)
	s_barrier
	ds_read2st64_b64 v[6:9], v2 offset1:4
	ds_read2st64_b64 v[10:13], v2 offset0:8 offset1:12
	ds_read2st64_b64 v[14:17], v2 offset0:16 offset1:20
	;; [unrolled: 1-line block ×6, first 2 shown]
	v_lshl_add_u64 v[30:31], s[0:1], 0, v[32:33]
	s_movk_i32 s4, 0x1000
	s_waitcnt lgkmcnt(6)
	global_store_dwordx2 v32, v[6:7], s[0:1]
	global_store_dwordx2 v32, v[8:9], s[0:1] offset:2048
	v_add_co_u32_e32 v6, vcc, s4, v30
	s_movk_i32 s4, 0x2000
	s_nop 0
	v_addc_co_u32_e32 v7, vcc, 0, v31, vcc
	v_add_co_u32_e32 v8, vcc, s4, v30
	s_movk_i32 s4, 0x3000
	s_nop 0
	v_addc_co_u32_e32 v9, vcc, 0, v31, vcc
	s_waitcnt lgkmcnt(5)
	global_store_dwordx2 v[8:9], v[10:11], off offset:-4096
	global_store_dwordx2 v[6:7], v[12:13], off offset:2048
	s_waitcnt lgkmcnt(4)
	global_store_dwordx2 v[8:9], v[14:15], off
	global_store_dwordx2 v[8:9], v[16:17], off offset:2048
	v_add_co_u32_e32 v6, vcc, s4, v30
	s_movk_i32 s4, 0x4000
	s_nop 0
	v_addc_co_u32_e32 v7, vcc, 0, v31, vcc
	v_add_co_u32_e32 v8, vcc, s4, v30
	s_or_b64 s[2:3], s[2:3], exec
	s_nop 0
	v_addc_co_u32_e32 v9, vcc, 0, v31, vcc
	s_waitcnt lgkmcnt(3)
	global_store_dwordx2 v[8:9], v[18:19], off offset:-4096
	global_store_dwordx2 v[6:7], v[20:21], off offset:2048
	s_waitcnt lgkmcnt(2)
	global_store_dwordx2 v[8:9], v[22:23], off
	global_store_dwordx2 v[8:9], v[24:25], off offset:2048
	v_add_co_u32_e32 v6, vcc, 0x5000, v30
	s_nop 1
	v_addc_co_u32_e32 v7, vcc, 0, v31, vcc
	s_waitcnt lgkmcnt(1)
	global_store_dwordx2 v[6:7], v[26:27], off
	global_store_dwordx2 v[6:7], v[28:29], off offset:2048
	v_add_co_u32_e32 v6, vcc, 0x6000, v30
	s_nop 1
	v_addc_co_u32_e32 v7, vcc, 0, v31, vcc
	s_waitcnt lgkmcnt(0)
	global_store_dwordx2 v[6:7], v[2:3], off
.LBB129_204:
	s_and_saveexec_b64 s[4:5], s[2:3]
	s_cbranch_execnz .LBB129_206
; %bb.205:
	s_endpgm
.LBB129_206:
	v_lshl_add_u64 v[0:1], v[0:1], 3, s[0:1]
	v_add_co_u32_e32 v0, vcc, 0x6000, v0
	s_nop 1
	v_addc_co_u32_e32 v1, vcc, 0, v1, vcc
	s_waitcnt lgkmcnt(0)
	global_store_dwordx2 v[0:1], v[4:5], off offset:2048
	s_endpgm
.LBB129_207:
                                        ; implicit-def: $sgpr0_sgpr1
	s_andn2_b64 vcc, exec, s[14:15]
	s_cbranch_vccz .LBB129_36
	s_branch .LBB129_37
.LBB129_208:
                                        ; implicit-def: $sgpr0_sgpr1
	s_branch .LBB129_70
	.section	.rodata,"a",@progbits
	.p2align	6, 0x0
	.amdhsa_kernel _ZN7rocprim17ROCPRIM_400000_NS6detail17trampoline_kernelINS0_14default_configENS1_27scan_by_key_config_selectorIllEEZZNS1_16scan_by_key_implILNS1_25lookback_scan_determinismE0ELb0ES3_PKlN6hipcub16HIPCUB_304000_NS21ConstantInputIteratorIllEEPllNSB_3SumENSB_8EqualityElEE10hipError_tPvRmT2_T3_T4_T5_mT6_T7_P12ihipStream_tbENKUlT_T0_E_clISt17integral_constantIbLb0EESW_IbLb1EEEEDaSS_ST_EUlSS_E_NS1_11comp_targetILNS1_3genE5ELNS1_11target_archE942ELNS1_3gpuE9ELNS1_3repE0EEENS1_30default_config_static_selectorELNS0_4arch9wavefront6targetE1EEEvT1_
		.amdhsa_group_segment_fixed_size 32768
		.amdhsa_private_segment_fixed_size 0
		.amdhsa_kernarg_size 144
		.amdhsa_user_sgpr_count 2
		.amdhsa_user_sgpr_dispatch_ptr 0
		.amdhsa_user_sgpr_queue_ptr 0
		.amdhsa_user_sgpr_kernarg_segment_ptr 1
		.amdhsa_user_sgpr_dispatch_id 0
		.amdhsa_user_sgpr_kernarg_preload_length 0
		.amdhsa_user_sgpr_kernarg_preload_offset 0
		.amdhsa_user_sgpr_private_segment_size 0
		.amdhsa_uses_dynamic_stack 0
		.amdhsa_enable_private_segment 0
		.amdhsa_system_sgpr_workgroup_id_x 1
		.amdhsa_system_sgpr_workgroup_id_y 0
		.amdhsa_system_sgpr_workgroup_id_z 0
		.amdhsa_system_sgpr_workgroup_info 0
		.amdhsa_system_vgpr_workitem_id 0
		.amdhsa_next_free_vgpr 92
		.amdhsa_next_free_sgpr 70
		.amdhsa_accum_offset 92
		.amdhsa_reserve_vcc 1
		.amdhsa_float_round_mode_32 0
		.amdhsa_float_round_mode_16_64 0
		.amdhsa_float_denorm_mode_32 3
		.amdhsa_float_denorm_mode_16_64 3
		.amdhsa_dx10_clamp 1
		.amdhsa_ieee_mode 1
		.amdhsa_fp16_overflow 0
		.amdhsa_tg_split 0
		.amdhsa_exception_fp_ieee_invalid_op 0
		.amdhsa_exception_fp_denorm_src 0
		.amdhsa_exception_fp_ieee_div_zero 0
		.amdhsa_exception_fp_ieee_overflow 0
		.amdhsa_exception_fp_ieee_underflow 0
		.amdhsa_exception_fp_ieee_inexact 0
		.amdhsa_exception_int_div_zero 0
	.end_amdhsa_kernel
	.section	.text._ZN7rocprim17ROCPRIM_400000_NS6detail17trampoline_kernelINS0_14default_configENS1_27scan_by_key_config_selectorIllEEZZNS1_16scan_by_key_implILNS1_25lookback_scan_determinismE0ELb0ES3_PKlN6hipcub16HIPCUB_304000_NS21ConstantInputIteratorIllEEPllNSB_3SumENSB_8EqualityElEE10hipError_tPvRmT2_T3_T4_T5_mT6_T7_P12ihipStream_tbENKUlT_T0_E_clISt17integral_constantIbLb0EESW_IbLb1EEEEDaSS_ST_EUlSS_E_NS1_11comp_targetILNS1_3genE5ELNS1_11target_archE942ELNS1_3gpuE9ELNS1_3repE0EEENS1_30default_config_static_selectorELNS0_4arch9wavefront6targetE1EEEvT1_,"axG",@progbits,_ZN7rocprim17ROCPRIM_400000_NS6detail17trampoline_kernelINS0_14default_configENS1_27scan_by_key_config_selectorIllEEZZNS1_16scan_by_key_implILNS1_25lookback_scan_determinismE0ELb0ES3_PKlN6hipcub16HIPCUB_304000_NS21ConstantInputIteratorIllEEPllNSB_3SumENSB_8EqualityElEE10hipError_tPvRmT2_T3_T4_T5_mT6_T7_P12ihipStream_tbENKUlT_T0_E_clISt17integral_constantIbLb0EESW_IbLb1EEEEDaSS_ST_EUlSS_E_NS1_11comp_targetILNS1_3genE5ELNS1_11target_archE942ELNS1_3gpuE9ELNS1_3repE0EEENS1_30default_config_static_selectorELNS0_4arch9wavefront6targetE1EEEvT1_,comdat
.Lfunc_end129:
	.size	_ZN7rocprim17ROCPRIM_400000_NS6detail17trampoline_kernelINS0_14default_configENS1_27scan_by_key_config_selectorIllEEZZNS1_16scan_by_key_implILNS1_25lookback_scan_determinismE0ELb0ES3_PKlN6hipcub16HIPCUB_304000_NS21ConstantInputIteratorIllEEPllNSB_3SumENSB_8EqualityElEE10hipError_tPvRmT2_T3_T4_T5_mT6_T7_P12ihipStream_tbENKUlT_T0_E_clISt17integral_constantIbLb0EESW_IbLb1EEEEDaSS_ST_EUlSS_E_NS1_11comp_targetILNS1_3genE5ELNS1_11target_archE942ELNS1_3gpuE9ELNS1_3repE0EEENS1_30default_config_static_selectorELNS0_4arch9wavefront6targetE1EEEvT1_, .Lfunc_end129-_ZN7rocprim17ROCPRIM_400000_NS6detail17trampoline_kernelINS0_14default_configENS1_27scan_by_key_config_selectorIllEEZZNS1_16scan_by_key_implILNS1_25lookback_scan_determinismE0ELb0ES3_PKlN6hipcub16HIPCUB_304000_NS21ConstantInputIteratorIllEEPllNSB_3SumENSB_8EqualityElEE10hipError_tPvRmT2_T3_T4_T5_mT6_T7_P12ihipStream_tbENKUlT_T0_E_clISt17integral_constantIbLb0EESW_IbLb1EEEEDaSS_ST_EUlSS_E_NS1_11comp_targetILNS1_3genE5ELNS1_11target_archE942ELNS1_3gpuE9ELNS1_3repE0EEENS1_30default_config_static_selectorELNS0_4arch9wavefront6targetE1EEEvT1_
                                        ; -- End function
	.section	.AMDGPU.csdata,"",@progbits
; Kernel info:
; codeLenInByte = 11472
; NumSgprs: 76
; NumVgprs: 92
; NumAgprs: 0
; TotalNumVgprs: 92
; ScratchSize: 0
; MemoryBound: 0
; FloatMode: 240
; IeeeMode: 1
; LDSByteSize: 32768 bytes/workgroup (compile time only)
; SGPRBlocks: 9
; VGPRBlocks: 11
; NumSGPRsForWavesPerEU: 76
; NumVGPRsForWavesPerEU: 92
; AccumOffset: 92
; Occupancy: 2
; WaveLimiterHint : 1
; COMPUTE_PGM_RSRC2:SCRATCH_EN: 0
; COMPUTE_PGM_RSRC2:USER_SGPR: 2
; COMPUTE_PGM_RSRC2:TRAP_HANDLER: 0
; COMPUTE_PGM_RSRC2:TGID_X_EN: 1
; COMPUTE_PGM_RSRC2:TGID_Y_EN: 0
; COMPUTE_PGM_RSRC2:TGID_Z_EN: 0
; COMPUTE_PGM_RSRC2:TIDIG_COMP_CNT: 0
; COMPUTE_PGM_RSRC3_GFX90A:ACCUM_OFFSET: 22
; COMPUTE_PGM_RSRC3_GFX90A:TG_SPLIT: 0
	.section	.text._ZN7rocprim17ROCPRIM_400000_NS6detail17trampoline_kernelINS0_14default_configENS1_27scan_by_key_config_selectorIllEEZZNS1_16scan_by_key_implILNS1_25lookback_scan_determinismE0ELb0ES3_PKlN6hipcub16HIPCUB_304000_NS21ConstantInputIteratorIllEEPllNSB_3SumENSB_8EqualityElEE10hipError_tPvRmT2_T3_T4_T5_mT6_T7_P12ihipStream_tbENKUlT_T0_E_clISt17integral_constantIbLb0EESW_IbLb1EEEEDaSS_ST_EUlSS_E_NS1_11comp_targetILNS1_3genE4ELNS1_11target_archE910ELNS1_3gpuE8ELNS1_3repE0EEENS1_30default_config_static_selectorELNS0_4arch9wavefront6targetE1EEEvT1_,"axG",@progbits,_ZN7rocprim17ROCPRIM_400000_NS6detail17trampoline_kernelINS0_14default_configENS1_27scan_by_key_config_selectorIllEEZZNS1_16scan_by_key_implILNS1_25lookback_scan_determinismE0ELb0ES3_PKlN6hipcub16HIPCUB_304000_NS21ConstantInputIteratorIllEEPllNSB_3SumENSB_8EqualityElEE10hipError_tPvRmT2_T3_T4_T5_mT6_T7_P12ihipStream_tbENKUlT_T0_E_clISt17integral_constantIbLb0EESW_IbLb1EEEEDaSS_ST_EUlSS_E_NS1_11comp_targetILNS1_3genE4ELNS1_11target_archE910ELNS1_3gpuE8ELNS1_3repE0EEENS1_30default_config_static_selectorELNS0_4arch9wavefront6targetE1EEEvT1_,comdat
	.protected	_ZN7rocprim17ROCPRIM_400000_NS6detail17trampoline_kernelINS0_14default_configENS1_27scan_by_key_config_selectorIllEEZZNS1_16scan_by_key_implILNS1_25lookback_scan_determinismE0ELb0ES3_PKlN6hipcub16HIPCUB_304000_NS21ConstantInputIteratorIllEEPllNSB_3SumENSB_8EqualityElEE10hipError_tPvRmT2_T3_T4_T5_mT6_T7_P12ihipStream_tbENKUlT_T0_E_clISt17integral_constantIbLb0EESW_IbLb1EEEEDaSS_ST_EUlSS_E_NS1_11comp_targetILNS1_3genE4ELNS1_11target_archE910ELNS1_3gpuE8ELNS1_3repE0EEENS1_30default_config_static_selectorELNS0_4arch9wavefront6targetE1EEEvT1_ ; -- Begin function _ZN7rocprim17ROCPRIM_400000_NS6detail17trampoline_kernelINS0_14default_configENS1_27scan_by_key_config_selectorIllEEZZNS1_16scan_by_key_implILNS1_25lookback_scan_determinismE0ELb0ES3_PKlN6hipcub16HIPCUB_304000_NS21ConstantInputIteratorIllEEPllNSB_3SumENSB_8EqualityElEE10hipError_tPvRmT2_T3_T4_T5_mT6_T7_P12ihipStream_tbENKUlT_T0_E_clISt17integral_constantIbLb0EESW_IbLb1EEEEDaSS_ST_EUlSS_E_NS1_11comp_targetILNS1_3genE4ELNS1_11target_archE910ELNS1_3gpuE8ELNS1_3repE0EEENS1_30default_config_static_selectorELNS0_4arch9wavefront6targetE1EEEvT1_
	.globl	_ZN7rocprim17ROCPRIM_400000_NS6detail17trampoline_kernelINS0_14default_configENS1_27scan_by_key_config_selectorIllEEZZNS1_16scan_by_key_implILNS1_25lookback_scan_determinismE0ELb0ES3_PKlN6hipcub16HIPCUB_304000_NS21ConstantInputIteratorIllEEPllNSB_3SumENSB_8EqualityElEE10hipError_tPvRmT2_T3_T4_T5_mT6_T7_P12ihipStream_tbENKUlT_T0_E_clISt17integral_constantIbLb0EESW_IbLb1EEEEDaSS_ST_EUlSS_E_NS1_11comp_targetILNS1_3genE4ELNS1_11target_archE910ELNS1_3gpuE8ELNS1_3repE0EEENS1_30default_config_static_selectorELNS0_4arch9wavefront6targetE1EEEvT1_
	.p2align	8
	.type	_ZN7rocprim17ROCPRIM_400000_NS6detail17trampoline_kernelINS0_14default_configENS1_27scan_by_key_config_selectorIllEEZZNS1_16scan_by_key_implILNS1_25lookback_scan_determinismE0ELb0ES3_PKlN6hipcub16HIPCUB_304000_NS21ConstantInputIteratorIllEEPllNSB_3SumENSB_8EqualityElEE10hipError_tPvRmT2_T3_T4_T5_mT6_T7_P12ihipStream_tbENKUlT_T0_E_clISt17integral_constantIbLb0EESW_IbLb1EEEEDaSS_ST_EUlSS_E_NS1_11comp_targetILNS1_3genE4ELNS1_11target_archE910ELNS1_3gpuE8ELNS1_3repE0EEENS1_30default_config_static_selectorELNS0_4arch9wavefront6targetE1EEEvT1_,@function
_ZN7rocprim17ROCPRIM_400000_NS6detail17trampoline_kernelINS0_14default_configENS1_27scan_by_key_config_selectorIllEEZZNS1_16scan_by_key_implILNS1_25lookback_scan_determinismE0ELb0ES3_PKlN6hipcub16HIPCUB_304000_NS21ConstantInputIteratorIllEEPllNSB_3SumENSB_8EqualityElEE10hipError_tPvRmT2_T3_T4_T5_mT6_T7_P12ihipStream_tbENKUlT_T0_E_clISt17integral_constantIbLb0EESW_IbLb1EEEEDaSS_ST_EUlSS_E_NS1_11comp_targetILNS1_3genE4ELNS1_11target_archE910ELNS1_3gpuE8ELNS1_3repE0EEENS1_30default_config_static_selectorELNS0_4arch9wavefront6targetE1EEEvT1_: ; @_ZN7rocprim17ROCPRIM_400000_NS6detail17trampoline_kernelINS0_14default_configENS1_27scan_by_key_config_selectorIllEEZZNS1_16scan_by_key_implILNS1_25lookback_scan_determinismE0ELb0ES3_PKlN6hipcub16HIPCUB_304000_NS21ConstantInputIteratorIllEEPllNSB_3SumENSB_8EqualityElEE10hipError_tPvRmT2_T3_T4_T5_mT6_T7_P12ihipStream_tbENKUlT_T0_E_clISt17integral_constantIbLb0EESW_IbLb1EEEEDaSS_ST_EUlSS_E_NS1_11comp_targetILNS1_3genE4ELNS1_11target_archE910ELNS1_3gpuE8ELNS1_3repE0EEENS1_30default_config_static_selectorELNS0_4arch9wavefront6targetE1EEEvT1_
; %bb.0:
	.section	.rodata,"a",@progbits
	.p2align	6, 0x0
	.amdhsa_kernel _ZN7rocprim17ROCPRIM_400000_NS6detail17trampoline_kernelINS0_14default_configENS1_27scan_by_key_config_selectorIllEEZZNS1_16scan_by_key_implILNS1_25lookback_scan_determinismE0ELb0ES3_PKlN6hipcub16HIPCUB_304000_NS21ConstantInputIteratorIllEEPllNSB_3SumENSB_8EqualityElEE10hipError_tPvRmT2_T3_T4_T5_mT6_T7_P12ihipStream_tbENKUlT_T0_E_clISt17integral_constantIbLb0EESW_IbLb1EEEEDaSS_ST_EUlSS_E_NS1_11comp_targetILNS1_3genE4ELNS1_11target_archE910ELNS1_3gpuE8ELNS1_3repE0EEENS1_30default_config_static_selectorELNS0_4arch9wavefront6targetE1EEEvT1_
		.amdhsa_group_segment_fixed_size 0
		.amdhsa_private_segment_fixed_size 0
		.amdhsa_kernarg_size 144
		.amdhsa_user_sgpr_count 2
		.amdhsa_user_sgpr_dispatch_ptr 0
		.amdhsa_user_sgpr_queue_ptr 0
		.amdhsa_user_sgpr_kernarg_segment_ptr 1
		.amdhsa_user_sgpr_dispatch_id 0
		.amdhsa_user_sgpr_kernarg_preload_length 0
		.amdhsa_user_sgpr_kernarg_preload_offset 0
		.amdhsa_user_sgpr_private_segment_size 0
		.amdhsa_uses_dynamic_stack 0
		.amdhsa_enable_private_segment 0
		.amdhsa_system_sgpr_workgroup_id_x 1
		.amdhsa_system_sgpr_workgroup_id_y 0
		.amdhsa_system_sgpr_workgroup_id_z 0
		.amdhsa_system_sgpr_workgroup_info 0
		.amdhsa_system_vgpr_workitem_id 0
		.amdhsa_next_free_vgpr 1
		.amdhsa_next_free_sgpr 0
		.amdhsa_accum_offset 4
		.amdhsa_reserve_vcc 0
		.amdhsa_float_round_mode_32 0
		.amdhsa_float_round_mode_16_64 0
		.amdhsa_float_denorm_mode_32 3
		.amdhsa_float_denorm_mode_16_64 3
		.amdhsa_dx10_clamp 1
		.amdhsa_ieee_mode 1
		.amdhsa_fp16_overflow 0
		.amdhsa_tg_split 0
		.amdhsa_exception_fp_ieee_invalid_op 0
		.amdhsa_exception_fp_denorm_src 0
		.amdhsa_exception_fp_ieee_div_zero 0
		.amdhsa_exception_fp_ieee_overflow 0
		.amdhsa_exception_fp_ieee_underflow 0
		.amdhsa_exception_fp_ieee_inexact 0
		.amdhsa_exception_int_div_zero 0
	.end_amdhsa_kernel
	.section	.text._ZN7rocprim17ROCPRIM_400000_NS6detail17trampoline_kernelINS0_14default_configENS1_27scan_by_key_config_selectorIllEEZZNS1_16scan_by_key_implILNS1_25lookback_scan_determinismE0ELb0ES3_PKlN6hipcub16HIPCUB_304000_NS21ConstantInputIteratorIllEEPllNSB_3SumENSB_8EqualityElEE10hipError_tPvRmT2_T3_T4_T5_mT6_T7_P12ihipStream_tbENKUlT_T0_E_clISt17integral_constantIbLb0EESW_IbLb1EEEEDaSS_ST_EUlSS_E_NS1_11comp_targetILNS1_3genE4ELNS1_11target_archE910ELNS1_3gpuE8ELNS1_3repE0EEENS1_30default_config_static_selectorELNS0_4arch9wavefront6targetE1EEEvT1_,"axG",@progbits,_ZN7rocprim17ROCPRIM_400000_NS6detail17trampoline_kernelINS0_14default_configENS1_27scan_by_key_config_selectorIllEEZZNS1_16scan_by_key_implILNS1_25lookback_scan_determinismE0ELb0ES3_PKlN6hipcub16HIPCUB_304000_NS21ConstantInputIteratorIllEEPllNSB_3SumENSB_8EqualityElEE10hipError_tPvRmT2_T3_T4_T5_mT6_T7_P12ihipStream_tbENKUlT_T0_E_clISt17integral_constantIbLb0EESW_IbLb1EEEEDaSS_ST_EUlSS_E_NS1_11comp_targetILNS1_3genE4ELNS1_11target_archE910ELNS1_3gpuE8ELNS1_3repE0EEENS1_30default_config_static_selectorELNS0_4arch9wavefront6targetE1EEEvT1_,comdat
.Lfunc_end130:
	.size	_ZN7rocprim17ROCPRIM_400000_NS6detail17trampoline_kernelINS0_14default_configENS1_27scan_by_key_config_selectorIllEEZZNS1_16scan_by_key_implILNS1_25lookback_scan_determinismE0ELb0ES3_PKlN6hipcub16HIPCUB_304000_NS21ConstantInputIteratorIllEEPllNSB_3SumENSB_8EqualityElEE10hipError_tPvRmT2_T3_T4_T5_mT6_T7_P12ihipStream_tbENKUlT_T0_E_clISt17integral_constantIbLb0EESW_IbLb1EEEEDaSS_ST_EUlSS_E_NS1_11comp_targetILNS1_3genE4ELNS1_11target_archE910ELNS1_3gpuE8ELNS1_3repE0EEENS1_30default_config_static_selectorELNS0_4arch9wavefront6targetE1EEEvT1_, .Lfunc_end130-_ZN7rocprim17ROCPRIM_400000_NS6detail17trampoline_kernelINS0_14default_configENS1_27scan_by_key_config_selectorIllEEZZNS1_16scan_by_key_implILNS1_25lookback_scan_determinismE0ELb0ES3_PKlN6hipcub16HIPCUB_304000_NS21ConstantInputIteratorIllEEPllNSB_3SumENSB_8EqualityElEE10hipError_tPvRmT2_T3_T4_T5_mT6_T7_P12ihipStream_tbENKUlT_T0_E_clISt17integral_constantIbLb0EESW_IbLb1EEEEDaSS_ST_EUlSS_E_NS1_11comp_targetILNS1_3genE4ELNS1_11target_archE910ELNS1_3gpuE8ELNS1_3repE0EEENS1_30default_config_static_selectorELNS0_4arch9wavefront6targetE1EEEvT1_
                                        ; -- End function
	.section	.AMDGPU.csdata,"",@progbits
; Kernel info:
; codeLenInByte = 0
; NumSgprs: 6
; NumVgprs: 0
; NumAgprs: 0
; TotalNumVgprs: 0
; ScratchSize: 0
; MemoryBound: 0
; FloatMode: 240
; IeeeMode: 1
; LDSByteSize: 0 bytes/workgroup (compile time only)
; SGPRBlocks: 0
; VGPRBlocks: 0
; NumSGPRsForWavesPerEU: 6
; NumVGPRsForWavesPerEU: 1
; AccumOffset: 4
; Occupancy: 8
; WaveLimiterHint : 0
; COMPUTE_PGM_RSRC2:SCRATCH_EN: 0
; COMPUTE_PGM_RSRC2:USER_SGPR: 2
; COMPUTE_PGM_RSRC2:TRAP_HANDLER: 0
; COMPUTE_PGM_RSRC2:TGID_X_EN: 1
; COMPUTE_PGM_RSRC2:TGID_Y_EN: 0
; COMPUTE_PGM_RSRC2:TGID_Z_EN: 0
; COMPUTE_PGM_RSRC2:TIDIG_COMP_CNT: 0
; COMPUTE_PGM_RSRC3_GFX90A:ACCUM_OFFSET: 0
; COMPUTE_PGM_RSRC3_GFX90A:TG_SPLIT: 0
	.section	.text._ZN7rocprim17ROCPRIM_400000_NS6detail17trampoline_kernelINS0_14default_configENS1_27scan_by_key_config_selectorIllEEZZNS1_16scan_by_key_implILNS1_25lookback_scan_determinismE0ELb0ES3_PKlN6hipcub16HIPCUB_304000_NS21ConstantInputIteratorIllEEPllNSB_3SumENSB_8EqualityElEE10hipError_tPvRmT2_T3_T4_T5_mT6_T7_P12ihipStream_tbENKUlT_T0_E_clISt17integral_constantIbLb0EESW_IbLb1EEEEDaSS_ST_EUlSS_E_NS1_11comp_targetILNS1_3genE3ELNS1_11target_archE908ELNS1_3gpuE7ELNS1_3repE0EEENS1_30default_config_static_selectorELNS0_4arch9wavefront6targetE1EEEvT1_,"axG",@progbits,_ZN7rocprim17ROCPRIM_400000_NS6detail17trampoline_kernelINS0_14default_configENS1_27scan_by_key_config_selectorIllEEZZNS1_16scan_by_key_implILNS1_25lookback_scan_determinismE0ELb0ES3_PKlN6hipcub16HIPCUB_304000_NS21ConstantInputIteratorIllEEPllNSB_3SumENSB_8EqualityElEE10hipError_tPvRmT2_T3_T4_T5_mT6_T7_P12ihipStream_tbENKUlT_T0_E_clISt17integral_constantIbLb0EESW_IbLb1EEEEDaSS_ST_EUlSS_E_NS1_11comp_targetILNS1_3genE3ELNS1_11target_archE908ELNS1_3gpuE7ELNS1_3repE0EEENS1_30default_config_static_selectorELNS0_4arch9wavefront6targetE1EEEvT1_,comdat
	.protected	_ZN7rocprim17ROCPRIM_400000_NS6detail17trampoline_kernelINS0_14default_configENS1_27scan_by_key_config_selectorIllEEZZNS1_16scan_by_key_implILNS1_25lookback_scan_determinismE0ELb0ES3_PKlN6hipcub16HIPCUB_304000_NS21ConstantInputIteratorIllEEPllNSB_3SumENSB_8EqualityElEE10hipError_tPvRmT2_T3_T4_T5_mT6_T7_P12ihipStream_tbENKUlT_T0_E_clISt17integral_constantIbLb0EESW_IbLb1EEEEDaSS_ST_EUlSS_E_NS1_11comp_targetILNS1_3genE3ELNS1_11target_archE908ELNS1_3gpuE7ELNS1_3repE0EEENS1_30default_config_static_selectorELNS0_4arch9wavefront6targetE1EEEvT1_ ; -- Begin function _ZN7rocprim17ROCPRIM_400000_NS6detail17trampoline_kernelINS0_14default_configENS1_27scan_by_key_config_selectorIllEEZZNS1_16scan_by_key_implILNS1_25lookback_scan_determinismE0ELb0ES3_PKlN6hipcub16HIPCUB_304000_NS21ConstantInputIteratorIllEEPllNSB_3SumENSB_8EqualityElEE10hipError_tPvRmT2_T3_T4_T5_mT6_T7_P12ihipStream_tbENKUlT_T0_E_clISt17integral_constantIbLb0EESW_IbLb1EEEEDaSS_ST_EUlSS_E_NS1_11comp_targetILNS1_3genE3ELNS1_11target_archE908ELNS1_3gpuE7ELNS1_3repE0EEENS1_30default_config_static_selectorELNS0_4arch9wavefront6targetE1EEEvT1_
	.globl	_ZN7rocprim17ROCPRIM_400000_NS6detail17trampoline_kernelINS0_14default_configENS1_27scan_by_key_config_selectorIllEEZZNS1_16scan_by_key_implILNS1_25lookback_scan_determinismE0ELb0ES3_PKlN6hipcub16HIPCUB_304000_NS21ConstantInputIteratorIllEEPllNSB_3SumENSB_8EqualityElEE10hipError_tPvRmT2_T3_T4_T5_mT6_T7_P12ihipStream_tbENKUlT_T0_E_clISt17integral_constantIbLb0EESW_IbLb1EEEEDaSS_ST_EUlSS_E_NS1_11comp_targetILNS1_3genE3ELNS1_11target_archE908ELNS1_3gpuE7ELNS1_3repE0EEENS1_30default_config_static_selectorELNS0_4arch9wavefront6targetE1EEEvT1_
	.p2align	8
	.type	_ZN7rocprim17ROCPRIM_400000_NS6detail17trampoline_kernelINS0_14default_configENS1_27scan_by_key_config_selectorIllEEZZNS1_16scan_by_key_implILNS1_25lookback_scan_determinismE0ELb0ES3_PKlN6hipcub16HIPCUB_304000_NS21ConstantInputIteratorIllEEPllNSB_3SumENSB_8EqualityElEE10hipError_tPvRmT2_T3_T4_T5_mT6_T7_P12ihipStream_tbENKUlT_T0_E_clISt17integral_constantIbLb0EESW_IbLb1EEEEDaSS_ST_EUlSS_E_NS1_11comp_targetILNS1_3genE3ELNS1_11target_archE908ELNS1_3gpuE7ELNS1_3repE0EEENS1_30default_config_static_selectorELNS0_4arch9wavefront6targetE1EEEvT1_,@function
_ZN7rocprim17ROCPRIM_400000_NS6detail17trampoline_kernelINS0_14default_configENS1_27scan_by_key_config_selectorIllEEZZNS1_16scan_by_key_implILNS1_25lookback_scan_determinismE0ELb0ES3_PKlN6hipcub16HIPCUB_304000_NS21ConstantInputIteratorIllEEPllNSB_3SumENSB_8EqualityElEE10hipError_tPvRmT2_T3_T4_T5_mT6_T7_P12ihipStream_tbENKUlT_T0_E_clISt17integral_constantIbLb0EESW_IbLb1EEEEDaSS_ST_EUlSS_E_NS1_11comp_targetILNS1_3genE3ELNS1_11target_archE908ELNS1_3gpuE7ELNS1_3repE0EEENS1_30default_config_static_selectorELNS0_4arch9wavefront6targetE1EEEvT1_: ; @_ZN7rocprim17ROCPRIM_400000_NS6detail17trampoline_kernelINS0_14default_configENS1_27scan_by_key_config_selectorIllEEZZNS1_16scan_by_key_implILNS1_25lookback_scan_determinismE0ELb0ES3_PKlN6hipcub16HIPCUB_304000_NS21ConstantInputIteratorIllEEPllNSB_3SumENSB_8EqualityElEE10hipError_tPvRmT2_T3_T4_T5_mT6_T7_P12ihipStream_tbENKUlT_T0_E_clISt17integral_constantIbLb0EESW_IbLb1EEEEDaSS_ST_EUlSS_E_NS1_11comp_targetILNS1_3genE3ELNS1_11target_archE908ELNS1_3gpuE7ELNS1_3repE0EEENS1_30default_config_static_selectorELNS0_4arch9wavefront6targetE1EEEvT1_
; %bb.0:
	.section	.rodata,"a",@progbits
	.p2align	6, 0x0
	.amdhsa_kernel _ZN7rocprim17ROCPRIM_400000_NS6detail17trampoline_kernelINS0_14default_configENS1_27scan_by_key_config_selectorIllEEZZNS1_16scan_by_key_implILNS1_25lookback_scan_determinismE0ELb0ES3_PKlN6hipcub16HIPCUB_304000_NS21ConstantInputIteratorIllEEPllNSB_3SumENSB_8EqualityElEE10hipError_tPvRmT2_T3_T4_T5_mT6_T7_P12ihipStream_tbENKUlT_T0_E_clISt17integral_constantIbLb0EESW_IbLb1EEEEDaSS_ST_EUlSS_E_NS1_11comp_targetILNS1_3genE3ELNS1_11target_archE908ELNS1_3gpuE7ELNS1_3repE0EEENS1_30default_config_static_selectorELNS0_4arch9wavefront6targetE1EEEvT1_
		.amdhsa_group_segment_fixed_size 0
		.amdhsa_private_segment_fixed_size 0
		.amdhsa_kernarg_size 144
		.amdhsa_user_sgpr_count 2
		.amdhsa_user_sgpr_dispatch_ptr 0
		.amdhsa_user_sgpr_queue_ptr 0
		.amdhsa_user_sgpr_kernarg_segment_ptr 1
		.amdhsa_user_sgpr_dispatch_id 0
		.amdhsa_user_sgpr_kernarg_preload_length 0
		.amdhsa_user_sgpr_kernarg_preload_offset 0
		.amdhsa_user_sgpr_private_segment_size 0
		.amdhsa_uses_dynamic_stack 0
		.amdhsa_enable_private_segment 0
		.amdhsa_system_sgpr_workgroup_id_x 1
		.amdhsa_system_sgpr_workgroup_id_y 0
		.amdhsa_system_sgpr_workgroup_id_z 0
		.amdhsa_system_sgpr_workgroup_info 0
		.amdhsa_system_vgpr_workitem_id 0
		.amdhsa_next_free_vgpr 1
		.amdhsa_next_free_sgpr 0
		.amdhsa_accum_offset 4
		.amdhsa_reserve_vcc 0
		.amdhsa_float_round_mode_32 0
		.amdhsa_float_round_mode_16_64 0
		.amdhsa_float_denorm_mode_32 3
		.amdhsa_float_denorm_mode_16_64 3
		.amdhsa_dx10_clamp 1
		.amdhsa_ieee_mode 1
		.amdhsa_fp16_overflow 0
		.amdhsa_tg_split 0
		.amdhsa_exception_fp_ieee_invalid_op 0
		.amdhsa_exception_fp_denorm_src 0
		.amdhsa_exception_fp_ieee_div_zero 0
		.amdhsa_exception_fp_ieee_overflow 0
		.amdhsa_exception_fp_ieee_underflow 0
		.amdhsa_exception_fp_ieee_inexact 0
		.amdhsa_exception_int_div_zero 0
	.end_amdhsa_kernel
	.section	.text._ZN7rocprim17ROCPRIM_400000_NS6detail17trampoline_kernelINS0_14default_configENS1_27scan_by_key_config_selectorIllEEZZNS1_16scan_by_key_implILNS1_25lookback_scan_determinismE0ELb0ES3_PKlN6hipcub16HIPCUB_304000_NS21ConstantInputIteratorIllEEPllNSB_3SumENSB_8EqualityElEE10hipError_tPvRmT2_T3_T4_T5_mT6_T7_P12ihipStream_tbENKUlT_T0_E_clISt17integral_constantIbLb0EESW_IbLb1EEEEDaSS_ST_EUlSS_E_NS1_11comp_targetILNS1_3genE3ELNS1_11target_archE908ELNS1_3gpuE7ELNS1_3repE0EEENS1_30default_config_static_selectorELNS0_4arch9wavefront6targetE1EEEvT1_,"axG",@progbits,_ZN7rocprim17ROCPRIM_400000_NS6detail17trampoline_kernelINS0_14default_configENS1_27scan_by_key_config_selectorIllEEZZNS1_16scan_by_key_implILNS1_25lookback_scan_determinismE0ELb0ES3_PKlN6hipcub16HIPCUB_304000_NS21ConstantInputIteratorIllEEPllNSB_3SumENSB_8EqualityElEE10hipError_tPvRmT2_T3_T4_T5_mT6_T7_P12ihipStream_tbENKUlT_T0_E_clISt17integral_constantIbLb0EESW_IbLb1EEEEDaSS_ST_EUlSS_E_NS1_11comp_targetILNS1_3genE3ELNS1_11target_archE908ELNS1_3gpuE7ELNS1_3repE0EEENS1_30default_config_static_selectorELNS0_4arch9wavefront6targetE1EEEvT1_,comdat
.Lfunc_end131:
	.size	_ZN7rocprim17ROCPRIM_400000_NS6detail17trampoline_kernelINS0_14default_configENS1_27scan_by_key_config_selectorIllEEZZNS1_16scan_by_key_implILNS1_25lookback_scan_determinismE0ELb0ES3_PKlN6hipcub16HIPCUB_304000_NS21ConstantInputIteratorIllEEPllNSB_3SumENSB_8EqualityElEE10hipError_tPvRmT2_T3_T4_T5_mT6_T7_P12ihipStream_tbENKUlT_T0_E_clISt17integral_constantIbLb0EESW_IbLb1EEEEDaSS_ST_EUlSS_E_NS1_11comp_targetILNS1_3genE3ELNS1_11target_archE908ELNS1_3gpuE7ELNS1_3repE0EEENS1_30default_config_static_selectorELNS0_4arch9wavefront6targetE1EEEvT1_, .Lfunc_end131-_ZN7rocprim17ROCPRIM_400000_NS6detail17trampoline_kernelINS0_14default_configENS1_27scan_by_key_config_selectorIllEEZZNS1_16scan_by_key_implILNS1_25lookback_scan_determinismE0ELb0ES3_PKlN6hipcub16HIPCUB_304000_NS21ConstantInputIteratorIllEEPllNSB_3SumENSB_8EqualityElEE10hipError_tPvRmT2_T3_T4_T5_mT6_T7_P12ihipStream_tbENKUlT_T0_E_clISt17integral_constantIbLb0EESW_IbLb1EEEEDaSS_ST_EUlSS_E_NS1_11comp_targetILNS1_3genE3ELNS1_11target_archE908ELNS1_3gpuE7ELNS1_3repE0EEENS1_30default_config_static_selectorELNS0_4arch9wavefront6targetE1EEEvT1_
                                        ; -- End function
	.section	.AMDGPU.csdata,"",@progbits
; Kernel info:
; codeLenInByte = 0
; NumSgprs: 6
; NumVgprs: 0
; NumAgprs: 0
; TotalNumVgprs: 0
; ScratchSize: 0
; MemoryBound: 0
; FloatMode: 240
; IeeeMode: 1
; LDSByteSize: 0 bytes/workgroup (compile time only)
; SGPRBlocks: 0
; VGPRBlocks: 0
; NumSGPRsForWavesPerEU: 6
; NumVGPRsForWavesPerEU: 1
; AccumOffset: 4
; Occupancy: 8
; WaveLimiterHint : 0
; COMPUTE_PGM_RSRC2:SCRATCH_EN: 0
; COMPUTE_PGM_RSRC2:USER_SGPR: 2
; COMPUTE_PGM_RSRC2:TRAP_HANDLER: 0
; COMPUTE_PGM_RSRC2:TGID_X_EN: 1
; COMPUTE_PGM_RSRC2:TGID_Y_EN: 0
; COMPUTE_PGM_RSRC2:TGID_Z_EN: 0
; COMPUTE_PGM_RSRC2:TIDIG_COMP_CNT: 0
; COMPUTE_PGM_RSRC3_GFX90A:ACCUM_OFFSET: 0
; COMPUTE_PGM_RSRC3_GFX90A:TG_SPLIT: 0
	.section	.text._ZN7rocprim17ROCPRIM_400000_NS6detail17trampoline_kernelINS0_14default_configENS1_27scan_by_key_config_selectorIllEEZZNS1_16scan_by_key_implILNS1_25lookback_scan_determinismE0ELb0ES3_PKlN6hipcub16HIPCUB_304000_NS21ConstantInputIteratorIllEEPllNSB_3SumENSB_8EqualityElEE10hipError_tPvRmT2_T3_T4_T5_mT6_T7_P12ihipStream_tbENKUlT_T0_E_clISt17integral_constantIbLb0EESW_IbLb1EEEEDaSS_ST_EUlSS_E_NS1_11comp_targetILNS1_3genE2ELNS1_11target_archE906ELNS1_3gpuE6ELNS1_3repE0EEENS1_30default_config_static_selectorELNS0_4arch9wavefront6targetE1EEEvT1_,"axG",@progbits,_ZN7rocprim17ROCPRIM_400000_NS6detail17trampoline_kernelINS0_14default_configENS1_27scan_by_key_config_selectorIllEEZZNS1_16scan_by_key_implILNS1_25lookback_scan_determinismE0ELb0ES3_PKlN6hipcub16HIPCUB_304000_NS21ConstantInputIteratorIllEEPllNSB_3SumENSB_8EqualityElEE10hipError_tPvRmT2_T3_T4_T5_mT6_T7_P12ihipStream_tbENKUlT_T0_E_clISt17integral_constantIbLb0EESW_IbLb1EEEEDaSS_ST_EUlSS_E_NS1_11comp_targetILNS1_3genE2ELNS1_11target_archE906ELNS1_3gpuE6ELNS1_3repE0EEENS1_30default_config_static_selectorELNS0_4arch9wavefront6targetE1EEEvT1_,comdat
	.protected	_ZN7rocprim17ROCPRIM_400000_NS6detail17trampoline_kernelINS0_14default_configENS1_27scan_by_key_config_selectorIllEEZZNS1_16scan_by_key_implILNS1_25lookback_scan_determinismE0ELb0ES3_PKlN6hipcub16HIPCUB_304000_NS21ConstantInputIteratorIllEEPllNSB_3SumENSB_8EqualityElEE10hipError_tPvRmT2_T3_T4_T5_mT6_T7_P12ihipStream_tbENKUlT_T0_E_clISt17integral_constantIbLb0EESW_IbLb1EEEEDaSS_ST_EUlSS_E_NS1_11comp_targetILNS1_3genE2ELNS1_11target_archE906ELNS1_3gpuE6ELNS1_3repE0EEENS1_30default_config_static_selectorELNS0_4arch9wavefront6targetE1EEEvT1_ ; -- Begin function _ZN7rocprim17ROCPRIM_400000_NS6detail17trampoline_kernelINS0_14default_configENS1_27scan_by_key_config_selectorIllEEZZNS1_16scan_by_key_implILNS1_25lookback_scan_determinismE0ELb0ES3_PKlN6hipcub16HIPCUB_304000_NS21ConstantInputIteratorIllEEPllNSB_3SumENSB_8EqualityElEE10hipError_tPvRmT2_T3_T4_T5_mT6_T7_P12ihipStream_tbENKUlT_T0_E_clISt17integral_constantIbLb0EESW_IbLb1EEEEDaSS_ST_EUlSS_E_NS1_11comp_targetILNS1_3genE2ELNS1_11target_archE906ELNS1_3gpuE6ELNS1_3repE0EEENS1_30default_config_static_selectorELNS0_4arch9wavefront6targetE1EEEvT1_
	.globl	_ZN7rocprim17ROCPRIM_400000_NS6detail17trampoline_kernelINS0_14default_configENS1_27scan_by_key_config_selectorIllEEZZNS1_16scan_by_key_implILNS1_25lookback_scan_determinismE0ELb0ES3_PKlN6hipcub16HIPCUB_304000_NS21ConstantInputIteratorIllEEPllNSB_3SumENSB_8EqualityElEE10hipError_tPvRmT2_T3_T4_T5_mT6_T7_P12ihipStream_tbENKUlT_T0_E_clISt17integral_constantIbLb0EESW_IbLb1EEEEDaSS_ST_EUlSS_E_NS1_11comp_targetILNS1_3genE2ELNS1_11target_archE906ELNS1_3gpuE6ELNS1_3repE0EEENS1_30default_config_static_selectorELNS0_4arch9wavefront6targetE1EEEvT1_
	.p2align	8
	.type	_ZN7rocprim17ROCPRIM_400000_NS6detail17trampoline_kernelINS0_14default_configENS1_27scan_by_key_config_selectorIllEEZZNS1_16scan_by_key_implILNS1_25lookback_scan_determinismE0ELb0ES3_PKlN6hipcub16HIPCUB_304000_NS21ConstantInputIteratorIllEEPllNSB_3SumENSB_8EqualityElEE10hipError_tPvRmT2_T3_T4_T5_mT6_T7_P12ihipStream_tbENKUlT_T0_E_clISt17integral_constantIbLb0EESW_IbLb1EEEEDaSS_ST_EUlSS_E_NS1_11comp_targetILNS1_3genE2ELNS1_11target_archE906ELNS1_3gpuE6ELNS1_3repE0EEENS1_30default_config_static_selectorELNS0_4arch9wavefront6targetE1EEEvT1_,@function
_ZN7rocprim17ROCPRIM_400000_NS6detail17trampoline_kernelINS0_14default_configENS1_27scan_by_key_config_selectorIllEEZZNS1_16scan_by_key_implILNS1_25lookback_scan_determinismE0ELb0ES3_PKlN6hipcub16HIPCUB_304000_NS21ConstantInputIteratorIllEEPllNSB_3SumENSB_8EqualityElEE10hipError_tPvRmT2_T3_T4_T5_mT6_T7_P12ihipStream_tbENKUlT_T0_E_clISt17integral_constantIbLb0EESW_IbLb1EEEEDaSS_ST_EUlSS_E_NS1_11comp_targetILNS1_3genE2ELNS1_11target_archE906ELNS1_3gpuE6ELNS1_3repE0EEENS1_30default_config_static_selectorELNS0_4arch9wavefront6targetE1EEEvT1_: ; @_ZN7rocprim17ROCPRIM_400000_NS6detail17trampoline_kernelINS0_14default_configENS1_27scan_by_key_config_selectorIllEEZZNS1_16scan_by_key_implILNS1_25lookback_scan_determinismE0ELb0ES3_PKlN6hipcub16HIPCUB_304000_NS21ConstantInputIteratorIllEEPllNSB_3SumENSB_8EqualityElEE10hipError_tPvRmT2_T3_T4_T5_mT6_T7_P12ihipStream_tbENKUlT_T0_E_clISt17integral_constantIbLb0EESW_IbLb1EEEEDaSS_ST_EUlSS_E_NS1_11comp_targetILNS1_3genE2ELNS1_11target_archE906ELNS1_3gpuE6ELNS1_3repE0EEENS1_30default_config_static_selectorELNS0_4arch9wavefront6targetE1EEEvT1_
; %bb.0:
	.section	.rodata,"a",@progbits
	.p2align	6, 0x0
	.amdhsa_kernel _ZN7rocprim17ROCPRIM_400000_NS6detail17trampoline_kernelINS0_14default_configENS1_27scan_by_key_config_selectorIllEEZZNS1_16scan_by_key_implILNS1_25lookback_scan_determinismE0ELb0ES3_PKlN6hipcub16HIPCUB_304000_NS21ConstantInputIteratorIllEEPllNSB_3SumENSB_8EqualityElEE10hipError_tPvRmT2_T3_T4_T5_mT6_T7_P12ihipStream_tbENKUlT_T0_E_clISt17integral_constantIbLb0EESW_IbLb1EEEEDaSS_ST_EUlSS_E_NS1_11comp_targetILNS1_3genE2ELNS1_11target_archE906ELNS1_3gpuE6ELNS1_3repE0EEENS1_30default_config_static_selectorELNS0_4arch9wavefront6targetE1EEEvT1_
		.amdhsa_group_segment_fixed_size 0
		.amdhsa_private_segment_fixed_size 0
		.amdhsa_kernarg_size 144
		.amdhsa_user_sgpr_count 2
		.amdhsa_user_sgpr_dispatch_ptr 0
		.amdhsa_user_sgpr_queue_ptr 0
		.amdhsa_user_sgpr_kernarg_segment_ptr 1
		.amdhsa_user_sgpr_dispatch_id 0
		.amdhsa_user_sgpr_kernarg_preload_length 0
		.amdhsa_user_sgpr_kernarg_preload_offset 0
		.amdhsa_user_sgpr_private_segment_size 0
		.amdhsa_uses_dynamic_stack 0
		.amdhsa_enable_private_segment 0
		.amdhsa_system_sgpr_workgroup_id_x 1
		.amdhsa_system_sgpr_workgroup_id_y 0
		.amdhsa_system_sgpr_workgroup_id_z 0
		.amdhsa_system_sgpr_workgroup_info 0
		.amdhsa_system_vgpr_workitem_id 0
		.amdhsa_next_free_vgpr 1
		.amdhsa_next_free_sgpr 0
		.amdhsa_accum_offset 4
		.amdhsa_reserve_vcc 0
		.amdhsa_float_round_mode_32 0
		.amdhsa_float_round_mode_16_64 0
		.amdhsa_float_denorm_mode_32 3
		.amdhsa_float_denorm_mode_16_64 3
		.amdhsa_dx10_clamp 1
		.amdhsa_ieee_mode 1
		.amdhsa_fp16_overflow 0
		.amdhsa_tg_split 0
		.amdhsa_exception_fp_ieee_invalid_op 0
		.amdhsa_exception_fp_denorm_src 0
		.amdhsa_exception_fp_ieee_div_zero 0
		.amdhsa_exception_fp_ieee_overflow 0
		.amdhsa_exception_fp_ieee_underflow 0
		.amdhsa_exception_fp_ieee_inexact 0
		.amdhsa_exception_int_div_zero 0
	.end_amdhsa_kernel
	.section	.text._ZN7rocprim17ROCPRIM_400000_NS6detail17trampoline_kernelINS0_14default_configENS1_27scan_by_key_config_selectorIllEEZZNS1_16scan_by_key_implILNS1_25lookback_scan_determinismE0ELb0ES3_PKlN6hipcub16HIPCUB_304000_NS21ConstantInputIteratorIllEEPllNSB_3SumENSB_8EqualityElEE10hipError_tPvRmT2_T3_T4_T5_mT6_T7_P12ihipStream_tbENKUlT_T0_E_clISt17integral_constantIbLb0EESW_IbLb1EEEEDaSS_ST_EUlSS_E_NS1_11comp_targetILNS1_3genE2ELNS1_11target_archE906ELNS1_3gpuE6ELNS1_3repE0EEENS1_30default_config_static_selectorELNS0_4arch9wavefront6targetE1EEEvT1_,"axG",@progbits,_ZN7rocprim17ROCPRIM_400000_NS6detail17trampoline_kernelINS0_14default_configENS1_27scan_by_key_config_selectorIllEEZZNS1_16scan_by_key_implILNS1_25lookback_scan_determinismE0ELb0ES3_PKlN6hipcub16HIPCUB_304000_NS21ConstantInputIteratorIllEEPllNSB_3SumENSB_8EqualityElEE10hipError_tPvRmT2_T3_T4_T5_mT6_T7_P12ihipStream_tbENKUlT_T0_E_clISt17integral_constantIbLb0EESW_IbLb1EEEEDaSS_ST_EUlSS_E_NS1_11comp_targetILNS1_3genE2ELNS1_11target_archE906ELNS1_3gpuE6ELNS1_3repE0EEENS1_30default_config_static_selectorELNS0_4arch9wavefront6targetE1EEEvT1_,comdat
.Lfunc_end132:
	.size	_ZN7rocprim17ROCPRIM_400000_NS6detail17trampoline_kernelINS0_14default_configENS1_27scan_by_key_config_selectorIllEEZZNS1_16scan_by_key_implILNS1_25lookback_scan_determinismE0ELb0ES3_PKlN6hipcub16HIPCUB_304000_NS21ConstantInputIteratorIllEEPllNSB_3SumENSB_8EqualityElEE10hipError_tPvRmT2_T3_T4_T5_mT6_T7_P12ihipStream_tbENKUlT_T0_E_clISt17integral_constantIbLb0EESW_IbLb1EEEEDaSS_ST_EUlSS_E_NS1_11comp_targetILNS1_3genE2ELNS1_11target_archE906ELNS1_3gpuE6ELNS1_3repE0EEENS1_30default_config_static_selectorELNS0_4arch9wavefront6targetE1EEEvT1_, .Lfunc_end132-_ZN7rocprim17ROCPRIM_400000_NS6detail17trampoline_kernelINS0_14default_configENS1_27scan_by_key_config_selectorIllEEZZNS1_16scan_by_key_implILNS1_25lookback_scan_determinismE0ELb0ES3_PKlN6hipcub16HIPCUB_304000_NS21ConstantInputIteratorIllEEPllNSB_3SumENSB_8EqualityElEE10hipError_tPvRmT2_T3_T4_T5_mT6_T7_P12ihipStream_tbENKUlT_T0_E_clISt17integral_constantIbLb0EESW_IbLb1EEEEDaSS_ST_EUlSS_E_NS1_11comp_targetILNS1_3genE2ELNS1_11target_archE906ELNS1_3gpuE6ELNS1_3repE0EEENS1_30default_config_static_selectorELNS0_4arch9wavefront6targetE1EEEvT1_
                                        ; -- End function
	.section	.AMDGPU.csdata,"",@progbits
; Kernel info:
; codeLenInByte = 0
; NumSgprs: 6
; NumVgprs: 0
; NumAgprs: 0
; TotalNumVgprs: 0
; ScratchSize: 0
; MemoryBound: 0
; FloatMode: 240
; IeeeMode: 1
; LDSByteSize: 0 bytes/workgroup (compile time only)
; SGPRBlocks: 0
; VGPRBlocks: 0
; NumSGPRsForWavesPerEU: 6
; NumVGPRsForWavesPerEU: 1
; AccumOffset: 4
; Occupancy: 8
; WaveLimiterHint : 0
; COMPUTE_PGM_RSRC2:SCRATCH_EN: 0
; COMPUTE_PGM_RSRC2:USER_SGPR: 2
; COMPUTE_PGM_RSRC2:TRAP_HANDLER: 0
; COMPUTE_PGM_RSRC2:TGID_X_EN: 1
; COMPUTE_PGM_RSRC2:TGID_Y_EN: 0
; COMPUTE_PGM_RSRC2:TGID_Z_EN: 0
; COMPUTE_PGM_RSRC2:TIDIG_COMP_CNT: 0
; COMPUTE_PGM_RSRC3_GFX90A:ACCUM_OFFSET: 0
; COMPUTE_PGM_RSRC3_GFX90A:TG_SPLIT: 0
	.section	.text._ZN7rocprim17ROCPRIM_400000_NS6detail17trampoline_kernelINS0_14default_configENS1_27scan_by_key_config_selectorIllEEZZNS1_16scan_by_key_implILNS1_25lookback_scan_determinismE0ELb0ES3_PKlN6hipcub16HIPCUB_304000_NS21ConstantInputIteratorIllEEPllNSB_3SumENSB_8EqualityElEE10hipError_tPvRmT2_T3_T4_T5_mT6_T7_P12ihipStream_tbENKUlT_T0_E_clISt17integral_constantIbLb0EESW_IbLb1EEEEDaSS_ST_EUlSS_E_NS1_11comp_targetILNS1_3genE10ELNS1_11target_archE1200ELNS1_3gpuE4ELNS1_3repE0EEENS1_30default_config_static_selectorELNS0_4arch9wavefront6targetE1EEEvT1_,"axG",@progbits,_ZN7rocprim17ROCPRIM_400000_NS6detail17trampoline_kernelINS0_14default_configENS1_27scan_by_key_config_selectorIllEEZZNS1_16scan_by_key_implILNS1_25lookback_scan_determinismE0ELb0ES3_PKlN6hipcub16HIPCUB_304000_NS21ConstantInputIteratorIllEEPllNSB_3SumENSB_8EqualityElEE10hipError_tPvRmT2_T3_T4_T5_mT6_T7_P12ihipStream_tbENKUlT_T0_E_clISt17integral_constantIbLb0EESW_IbLb1EEEEDaSS_ST_EUlSS_E_NS1_11comp_targetILNS1_3genE10ELNS1_11target_archE1200ELNS1_3gpuE4ELNS1_3repE0EEENS1_30default_config_static_selectorELNS0_4arch9wavefront6targetE1EEEvT1_,comdat
	.protected	_ZN7rocprim17ROCPRIM_400000_NS6detail17trampoline_kernelINS0_14default_configENS1_27scan_by_key_config_selectorIllEEZZNS1_16scan_by_key_implILNS1_25lookback_scan_determinismE0ELb0ES3_PKlN6hipcub16HIPCUB_304000_NS21ConstantInputIteratorIllEEPllNSB_3SumENSB_8EqualityElEE10hipError_tPvRmT2_T3_T4_T5_mT6_T7_P12ihipStream_tbENKUlT_T0_E_clISt17integral_constantIbLb0EESW_IbLb1EEEEDaSS_ST_EUlSS_E_NS1_11comp_targetILNS1_3genE10ELNS1_11target_archE1200ELNS1_3gpuE4ELNS1_3repE0EEENS1_30default_config_static_selectorELNS0_4arch9wavefront6targetE1EEEvT1_ ; -- Begin function _ZN7rocprim17ROCPRIM_400000_NS6detail17trampoline_kernelINS0_14default_configENS1_27scan_by_key_config_selectorIllEEZZNS1_16scan_by_key_implILNS1_25lookback_scan_determinismE0ELb0ES3_PKlN6hipcub16HIPCUB_304000_NS21ConstantInputIteratorIllEEPllNSB_3SumENSB_8EqualityElEE10hipError_tPvRmT2_T3_T4_T5_mT6_T7_P12ihipStream_tbENKUlT_T0_E_clISt17integral_constantIbLb0EESW_IbLb1EEEEDaSS_ST_EUlSS_E_NS1_11comp_targetILNS1_3genE10ELNS1_11target_archE1200ELNS1_3gpuE4ELNS1_3repE0EEENS1_30default_config_static_selectorELNS0_4arch9wavefront6targetE1EEEvT1_
	.globl	_ZN7rocprim17ROCPRIM_400000_NS6detail17trampoline_kernelINS0_14default_configENS1_27scan_by_key_config_selectorIllEEZZNS1_16scan_by_key_implILNS1_25lookback_scan_determinismE0ELb0ES3_PKlN6hipcub16HIPCUB_304000_NS21ConstantInputIteratorIllEEPllNSB_3SumENSB_8EqualityElEE10hipError_tPvRmT2_T3_T4_T5_mT6_T7_P12ihipStream_tbENKUlT_T0_E_clISt17integral_constantIbLb0EESW_IbLb1EEEEDaSS_ST_EUlSS_E_NS1_11comp_targetILNS1_3genE10ELNS1_11target_archE1200ELNS1_3gpuE4ELNS1_3repE0EEENS1_30default_config_static_selectorELNS0_4arch9wavefront6targetE1EEEvT1_
	.p2align	8
	.type	_ZN7rocprim17ROCPRIM_400000_NS6detail17trampoline_kernelINS0_14default_configENS1_27scan_by_key_config_selectorIllEEZZNS1_16scan_by_key_implILNS1_25lookback_scan_determinismE0ELb0ES3_PKlN6hipcub16HIPCUB_304000_NS21ConstantInputIteratorIllEEPllNSB_3SumENSB_8EqualityElEE10hipError_tPvRmT2_T3_T4_T5_mT6_T7_P12ihipStream_tbENKUlT_T0_E_clISt17integral_constantIbLb0EESW_IbLb1EEEEDaSS_ST_EUlSS_E_NS1_11comp_targetILNS1_3genE10ELNS1_11target_archE1200ELNS1_3gpuE4ELNS1_3repE0EEENS1_30default_config_static_selectorELNS0_4arch9wavefront6targetE1EEEvT1_,@function
_ZN7rocprim17ROCPRIM_400000_NS6detail17trampoline_kernelINS0_14default_configENS1_27scan_by_key_config_selectorIllEEZZNS1_16scan_by_key_implILNS1_25lookback_scan_determinismE0ELb0ES3_PKlN6hipcub16HIPCUB_304000_NS21ConstantInputIteratorIllEEPllNSB_3SumENSB_8EqualityElEE10hipError_tPvRmT2_T3_T4_T5_mT6_T7_P12ihipStream_tbENKUlT_T0_E_clISt17integral_constantIbLb0EESW_IbLb1EEEEDaSS_ST_EUlSS_E_NS1_11comp_targetILNS1_3genE10ELNS1_11target_archE1200ELNS1_3gpuE4ELNS1_3repE0EEENS1_30default_config_static_selectorELNS0_4arch9wavefront6targetE1EEEvT1_: ; @_ZN7rocprim17ROCPRIM_400000_NS6detail17trampoline_kernelINS0_14default_configENS1_27scan_by_key_config_selectorIllEEZZNS1_16scan_by_key_implILNS1_25lookback_scan_determinismE0ELb0ES3_PKlN6hipcub16HIPCUB_304000_NS21ConstantInputIteratorIllEEPllNSB_3SumENSB_8EqualityElEE10hipError_tPvRmT2_T3_T4_T5_mT6_T7_P12ihipStream_tbENKUlT_T0_E_clISt17integral_constantIbLb0EESW_IbLb1EEEEDaSS_ST_EUlSS_E_NS1_11comp_targetILNS1_3genE10ELNS1_11target_archE1200ELNS1_3gpuE4ELNS1_3repE0EEENS1_30default_config_static_selectorELNS0_4arch9wavefront6targetE1EEEvT1_
; %bb.0:
	.section	.rodata,"a",@progbits
	.p2align	6, 0x0
	.amdhsa_kernel _ZN7rocprim17ROCPRIM_400000_NS6detail17trampoline_kernelINS0_14default_configENS1_27scan_by_key_config_selectorIllEEZZNS1_16scan_by_key_implILNS1_25lookback_scan_determinismE0ELb0ES3_PKlN6hipcub16HIPCUB_304000_NS21ConstantInputIteratorIllEEPllNSB_3SumENSB_8EqualityElEE10hipError_tPvRmT2_T3_T4_T5_mT6_T7_P12ihipStream_tbENKUlT_T0_E_clISt17integral_constantIbLb0EESW_IbLb1EEEEDaSS_ST_EUlSS_E_NS1_11comp_targetILNS1_3genE10ELNS1_11target_archE1200ELNS1_3gpuE4ELNS1_3repE0EEENS1_30default_config_static_selectorELNS0_4arch9wavefront6targetE1EEEvT1_
		.amdhsa_group_segment_fixed_size 0
		.amdhsa_private_segment_fixed_size 0
		.amdhsa_kernarg_size 144
		.amdhsa_user_sgpr_count 2
		.amdhsa_user_sgpr_dispatch_ptr 0
		.amdhsa_user_sgpr_queue_ptr 0
		.amdhsa_user_sgpr_kernarg_segment_ptr 1
		.amdhsa_user_sgpr_dispatch_id 0
		.amdhsa_user_sgpr_kernarg_preload_length 0
		.amdhsa_user_sgpr_kernarg_preload_offset 0
		.amdhsa_user_sgpr_private_segment_size 0
		.amdhsa_uses_dynamic_stack 0
		.amdhsa_enable_private_segment 0
		.amdhsa_system_sgpr_workgroup_id_x 1
		.amdhsa_system_sgpr_workgroup_id_y 0
		.amdhsa_system_sgpr_workgroup_id_z 0
		.amdhsa_system_sgpr_workgroup_info 0
		.amdhsa_system_vgpr_workitem_id 0
		.amdhsa_next_free_vgpr 1
		.amdhsa_next_free_sgpr 0
		.amdhsa_accum_offset 4
		.amdhsa_reserve_vcc 0
		.amdhsa_float_round_mode_32 0
		.amdhsa_float_round_mode_16_64 0
		.amdhsa_float_denorm_mode_32 3
		.amdhsa_float_denorm_mode_16_64 3
		.amdhsa_dx10_clamp 1
		.amdhsa_ieee_mode 1
		.amdhsa_fp16_overflow 0
		.amdhsa_tg_split 0
		.amdhsa_exception_fp_ieee_invalid_op 0
		.amdhsa_exception_fp_denorm_src 0
		.amdhsa_exception_fp_ieee_div_zero 0
		.amdhsa_exception_fp_ieee_overflow 0
		.amdhsa_exception_fp_ieee_underflow 0
		.amdhsa_exception_fp_ieee_inexact 0
		.amdhsa_exception_int_div_zero 0
	.end_amdhsa_kernel
	.section	.text._ZN7rocprim17ROCPRIM_400000_NS6detail17trampoline_kernelINS0_14default_configENS1_27scan_by_key_config_selectorIllEEZZNS1_16scan_by_key_implILNS1_25lookback_scan_determinismE0ELb0ES3_PKlN6hipcub16HIPCUB_304000_NS21ConstantInputIteratorIllEEPllNSB_3SumENSB_8EqualityElEE10hipError_tPvRmT2_T3_T4_T5_mT6_T7_P12ihipStream_tbENKUlT_T0_E_clISt17integral_constantIbLb0EESW_IbLb1EEEEDaSS_ST_EUlSS_E_NS1_11comp_targetILNS1_3genE10ELNS1_11target_archE1200ELNS1_3gpuE4ELNS1_3repE0EEENS1_30default_config_static_selectorELNS0_4arch9wavefront6targetE1EEEvT1_,"axG",@progbits,_ZN7rocprim17ROCPRIM_400000_NS6detail17trampoline_kernelINS0_14default_configENS1_27scan_by_key_config_selectorIllEEZZNS1_16scan_by_key_implILNS1_25lookback_scan_determinismE0ELb0ES3_PKlN6hipcub16HIPCUB_304000_NS21ConstantInputIteratorIllEEPllNSB_3SumENSB_8EqualityElEE10hipError_tPvRmT2_T3_T4_T5_mT6_T7_P12ihipStream_tbENKUlT_T0_E_clISt17integral_constantIbLb0EESW_IbLb1EEEEDaSS_ST_EUlSS_E_NS1_11comp_targetILNS1_3genE10ELNS1_11target_archE1200ELNS1_3gpuE4ELNS1_3repE0EEENS1_30default_config_static_selectorELNS0_4arch9wavefront6targetE1EEEvT1_,comdat
.Lfunc_end133:
	.size	_ZN7rocprim17ROCPRIM_400000_NS6detail17trampoline_kernelINS0_14default_configENS1_27scan_by_key_config_selectorIllEEZZNS1_16scan_by_key_implILNS1_25lookback_scan_determinismE0ELb0ES3_PKlN6hipcub16HIPCUB_304000_NS21ConstantInputIteratorIllEEPllNSB_3SumENSB_8EqualityElEE10hipError_tPvRmT2_T3_T4_T5_mT6_T7_P12ihipStream_tbENKUlT_T0_E_clISt17integral_constantIbLb0EESW_IbLb1EEEEDaSS_ST_EUlSS_E_NS1_11comp_targetILNS1_3genE10ELNS1_11target_archE1200ELNS1_3gpuE4ELNS1_3repE0EEENS1_30default_config_static_selectorELNS0_4arch9wavefront6targetE1EEEvT1_, .Lfunc_end133-_ZN7rocprim17ROCPRIM_400000_NS6detail17trampoline_kernelINS0_14default_configENS1_27scan_by_key_config_selectorIllEEZZNS1_16scan_by_key_implILNS1_25lookback_scan_determinismE0ELb0ES3_PKlN6hipcub16HIPCUB_304000_NS21ConstantInputIteratorIllEEPllNSB_3SumENSB_8EqualityElEE10hipError_tPvRmT2_T3_T4_T5_mT6_T7_P12ihipStream_tbENKUlT_T0_E_clISt17integral_constantIbLb0EESW_IbLb1EEEEDaSS_ST_EUlSS_E_NS1_11comp_targetILNS1_3genE10ELNS1_11target_archE1200ELNS1_3gpuE4ELNS1_3repE0EEENS1_30default_config_static_selectorELNS0_4arch9wavefront6targetE1EEEvT1_
                                        ; -- End function
	.section	.AMDGPU.csdata,"",@progbits
; Kernel info:
; codeLenInByte = 0
; NumSgprs: 6
; NumVgprs: 0
; NumAgprs: 0
; TotalNumVgprs: 0
; ScratchSize: 0
; MemoryBound: 0
; FloatMode: 240
; IeeeMode: 1
; LDSByteSize: 0 bytes/workgroup (compile time only)
; SGPRBlocks: 0
; VGPRBlocks: 0
; NumSGPRsForWavesPerEU: 6
; NumVGPRsForWavesPerEU: 1
; AccumOffset: 4
; Occupancy: 8
; WaveLimiterHint : 0
; COMPUTE_PGM_RSRC2:SCRATCH_EN: 0
; COMPUTE_PGM_RSRC2:USER_SGPR: 2
; COMPUTE_PGM_RSRC2:TRAP_HANDLER: 0
; COMPUTE_PGM_RSRC2:TGID_X_EN: 1
; COMPUTE_PGM_RSRC2:TGID_Y_EN: 0
; COMPUTE_PGM_RSRC2:TGID_Z_EN: 0
; COMPUTE_PGM_RSRC2:TIDIG_COMP_CNT: 0
; COMPUTE_PGM_RSRC3_GFX90A:ACCUM_OFFSET: 0
; COMPUTE_PGM_RSRC3_GFX90A:TG_SPLIT: 0
	.section	.text._ZN7rocprim17ROCPRIM_400000_NS6detail17trampoline_kernelINS0_14default_configENS1_27scan_by_key_config_selectorIllEEZZNS1_16scan_by_key_implILNS1_25lookback_scan_determinismE0ELb0ES3_PKlN6hipcub16HIPCUB_304000_NS21ConstantInputIteratorIllEEPllNSB_3SumENSB_8EqualityElEE10hipError_tPvRmT2_T3_T4_T5_mT6_T7_P12ihipStream_tbENKUlT_T0_E_clISt17integral_constantIbLb0EESW_IbLb1EEEEDaSS_ST_EUlSS_E_NS1_11comp_targetILNS1_3genE9ELNS1_11target_archE1100ELNS1_3gpuE3ELNS1_3repE0EEENS1_30default_config_static_selectorELNS0_4arch9wavefront6targetE1EEEvT1_,"axG",@progbits,_ZN7rocprim17ROCPRIM_400000_NS6detail17trampoline_kernelINS0_14default_configENS1_27scan_by_key_config_selectorIllEEZZNS1_16scan_by_key_implILNS1_25lookback_scan_determinismE0ELb0ES3_PKlN6hipcub16HIPCUB_304000_NS21ConstantInputIteratorIllEEPllNSB_3SumENSB_8EqualityElEE10hipError_tPvRmT2_T3_T4_T5_mT6_T7_P12ihipStream_tbENKUlT_T0_E_clISt17integral_constantIbLb0EESW_IbLb1EEEEDaSS_ST_EUlSS_E_NS1_11comp_targetILNS1_3genE9ELNS1_11target_archE1100ELNS1_3gpuE3ELNS1_3repE0EEENS1_30default_config_static_selectorELNS0_4arch9wavefront6targetE1EEEvT1_,comdat
	.protected	_ZN7rocprim17ROCPRIM_400000_NS6detail17trampoline_kernelINS0_14default_configENS1_27scan_by_key_config_selectorIllEEZZNS1_16scan_by_key_implILNS1_25lookback_scan_determinismE0ELb0ES3_PKlN6hipcub16HIPCUB_304000_NS21ConstantInputIteratorIllEEPllNSB_3SumENSB_8EqualityElEE10hipError_tPvRmT2_T3_T4_T5_mT6_T7_P12ihipStream_tbENKUlT_T0_E_clISt17integral_constantIbLb0EESW_IbLb1EEEEDaSS_ST_EUlSS_E_NS1_11comp_targetILNS1_3genE9ELNS1_11target_archE1100ELNS1_3gpuE3ELNS1_3repE0EEENS1_30default_config_static_selectorELNS0_4arch9wavefront6targetE1EEEvT1_ ; -- Begin function _ZN7rocprim17ROCPRIM_400000_NS6detail17trampoline_kernelINS0_14default_configENS1_27scan_by_key_config_selectorIllEEZZNS1_16scan_by_key_implILNS1_25lookback_scan_determinismE0ELb0ES3_PKlN6hipcub16HIPCUB_304000_NS21ConstantInputIteratorIllEEPllNSB_3SumENSB_8EqualityElEE10hipError_tPvRmT2_T3_T4_T5_mT6_T7_P12ihipStream_tbENKUlT_T0_E_clISt17integral_constantIbLb0EESW_IbLb1EEEEDaSS_ST_EUlSS_E_NS1_11comp_targetILNS1_3genE9ELNS1_11target_archE1100ELNS1_3gpuE3ELNS1_3repE0EEENS1_30default_config_static_selectorELNS0_4arch9wavefront6targetE1EEEvT1_
	.globl	_ZN7rocprim17ROCPRIM_400000_NS6detail17trampoline_kernelINS0_14default_configENS1_27scan_by_key_config_selectorIllEEZZNS1_16scan_by_key_implILNS1_25lookback_scan_determinismE0ELb0ES3_PKlN6hipcub16HIPCUB_304000_NS21ConstantInputIteratorIllEEPllNSB_3SumENSB_8EqualityElEE10hipError_tPvRmT2_T3_T4_T5_mT6_T7_P12ihipStream_tbENKUlT_T0_E_clISt17integral_constantIbLb0EESW_IbLb1EEEEDaSS_ST_EUlSS_E_NS1_11comp_targetILNS1_3genE9ELNS1_11target_archE1100ELNS1_3gpuE3ELNS1_3repE0EEENS1_30default_config_static_selectorELNS0_4arch9wavefront6targetE1EEEvT1_
	.p2align	8
	.type	_ZN7rocprim17ROCPRIM_400000_NS6detail17trampoline_kernelINS0_14default_configENS1_27scan_by_key_config_selectorIllEEZZNS1_16scan_by_key_implILNS1_25lookback_scan_determinismE0ELb0ES3_PKlN6hipcub16HIPCUB_304000_NS21ConstantInputIteratorIllEEPllNSB_3SumENSB_8EqualityElEE10hipError_tPvRmT2_T3_T4_T5_mT6_T7_P12ihipStream_tbENKUlT_T0_E_clISt17integral_constantIbLb0EESW_IbLb1EEEEDaSS_ST_EUlSS_E_NS1_11comp_targetILNS1_3genE9ELNS1_11target_archE1100ELNS1_3gpuE3ELNS1_3repE0EEENS1_30default_config_static_selectorELNS0_4arch9wavefront6targetE1EEEvT1_,@function
_ZN7rocprim17ROCPRIM_400000_NS6detail17trampoline_kernelINS0_14default_configENS1_27scan_by_key_config_selectorIllEEZZNS1_16scan_by_key_implILNS1_25lookback_scan_determinismE0ELb0ES3_PKlN6hipcub16HIPCUB_304000_NS21ConstantInputIteratorIllEEPllNSB_3SumENSB_8EqualityElEE10hipError_tPvRmT2_T3_T4_T5_mT6_T7_P12ihipStream_tbENKUlT_T0_E_clISt17integral_constantIbLb0EESW_IbLb1EEEEDaSS_ST_EUlSS_E_NS1_11comp_targetILNS1_3genE9ELNS1_11target_archE1100ELNS1_3gpuE3ELNS1_3repE0EEENS1_30default_config_static_selectorELNS0_4arch9wavefront6targetE1EEEvT1_: ; @_ZN7rocprim17ROCPRIM_400000_NS6detail17trampoline_kernelINS0_14default_configENS1_27scan_by_key_config_selectorIllEEZZNS1_16scan_by_key_implILNS1_25lookback_scan_determinismE0ELb0ES3_PKlN6hipcub16HIPCUB_304000_NS21ConstantInputIteratorIllEEPllNSB_3SumENSB_8EqualityElEE10hipError_tPvRmT2_T3_T4_T5_mT6_T7_P12ihipStream_tbENKUlT_T0_E_clISt17integral_constantIbLb0EESW_IbLb1EEEEDaSS_ST_EUlSS_E_NS1_11comp_targetILNS1_3genE9ELNS1_11target_archE1100ELNS1_3gpuE3ELNS1_3repE0EEENS1_30default_config_static_selectorELNS0_4arch9wavefront6targetE1EEEvT1_
; %bb.0:
	.section	.rodata,"a",@progbits
	.p2align	6, 0x0
	.amdhsa_kernel _ZN7rocprim17ROCPRIM_400000_NS6detail17trampoline_kernelINS0_14default_configENS1_27scan_by_key_config_selectorIllEEZZNS1_16scan_by_key_implILNS1_25lookback_scan_determinismE0ELb0ES3_PKlN6hipcub16HIPCUB_304000_NS21ConstantInputIteratorIllEEPllNSB_3SumENSB_8EqualityElEE10hipError_tPvRmT2_T3_T4_T5_mT6_T7_P12ihipStream_tbENKUlT_T0_E_clISt17integral_constantIbLb0EESW_IbLb1EEEEDaSS_ST_EUlSS_E_NS1_11comp_targetILNS1_3genE9ELNS1_11target_archE1100ELNS1_3gpuE3ELNS1_3repE0EEENS1_30default_config_static_selectorELNS0_4arch9wavefront6targetE1EEEvT1_
		.amdhsa_group_segment_fixed_size 0
		.amdhsa_private_segment_fixed_size 0
		.amdhsa_kernarg_size 144
		.amdhsa_user_sgpr_count 2
		.amdhsa_user_sgpr_dispatch_ptr 0
		.amdhsa_user_sgpr_queue_ptr 0
		.amdhsa_user_sgpr_kernarg_segment_ptr 1
		.amdhsa_user_sgpr_dispatch_id 0
		.amdhsa_user_sgpr_kernarg_preload_length 0
		.amdhsa_user_sgpr_kernarg_preload_offset 0
		.amdhsa_user_sgpr_private_segment_size 0
		.amdhsa_uses_dynamic_stack 0
		.amdhsa_enable_private_segment 0
		.amdhsa_system_sgpr_workgroup_id_x 1
		.amdhsa_system_sgpr_workgroup_id_y 0
		.amdhsa_system_sgpr_workgroup_id_z 0
		.amdhsa_system_sgpr_workgroup_info 0
		.amdhsa_system_vgpr_workitem_id 0
		.amdhsa_next_free_vgpr 1
		.amdhsa_next_free_sgpr 0
		.amdhsa_accum_offset 4
		.amdhsa_reserve_vcc 0
		.amdhsa_float_round_mode_32 0
		.amdhsa_float_round_mode_16_64 0
		.amdhsa_float_denorm_mode_32 3
		.amdhsa_float_denorm_mode_16_64 3
		.amdhsa_dx10_clamp 1
		.amdhsa_ieee_mode 1
		.amdhsa_fp16_overflow 0
		.amdhsa_tg_split 0
		.amdhsa_exception_fp_ieee_invalid_op 0
		.amdhsa_exception_fp_denorm_src 0
		.amdhsa_exception_fp_ieee_div_zero 0
		.amdhsa_exception_fp_ieee_overflow 0
		.amdhsa_exception_fp_ieee_underflow 0
		.amdhsa_exception_fp_ieee_inexact 0
		.amdhsa_exception_int_div_zero 0
	.end_amdhsa_kernel
	.section	.text._ZN7rocprim17ROCPRIM_400000_NS6detail17trampoline_kernelINS0_14default_configENS1_27scan_by_key_config_selectorIllEEZZNS1_16scan_by_key_implILNS1_25lookback_scan_determinismE0ELb0ES3_PKlN6hipcub16HIPCUB_304000_NS21ConstantInputIteratorIllEEPllNSB_3SumENSB_8EqualityElEE10hipError_tPvRmT2_T3_T4_T5_mT6_T7_P12ihipStream_tbENKUlT_T0_E_clISt17integral_constantIbLb0EESW_IbLb1EEEEDaSS_ST_EUlSS_E_NS1_11comp_targetILNS1_3genE9ELNS1_11target_archE1100ELNS1_3gpuE3ELNS1_3repE0EEENS1_30default_config_static_selectorELNS0_4arch9wavefront6targetE1EEEvT1_,"axG",@progbits,_ZN7rocprim17ROCPRIM_400000_NS6detail17trampoline_kernelINS0_14default_configENS1_27scan_by_key_config_selectorIllEEZZNS1_16scan_by_key_implILNS1_25lookback_scan_determinismE0ELb0ES3_PKlN6hipcub16HIPCUB_304000_NS21ConstantInputIteratorIllEEPllNSB_3SumENSB_8EqualityElEE10hipError_tPvRmT2_T3_T4_T5_mT6_T7_P12ihipStream_tbENKUlT_T0_E_clISt17integral_constantIbLb0EESW_IbLb1EEEEDaSS_ST_EUlSS_E_NS1_11comp_targetILNS1_3genE9ELNS1_11target_archE1100ELNS1_3gpuE3ELNS1_3repE0EEENS1_30default_config_static_selectorELNS0_4arch9wavefront6targetE1EEEvT1_,comdat
.Lfunc_end134:
	.size	_ZN7rocprim17ROCPRIM_400000_NS6detail17trampoline_kernelINS0_14default_configENS1_27scan_by_key_config_selectorIllEEZZNS1_16scan_by_key_implILNS1_25lookback_scan_determinismE0ELb0ES3_PKlN6hipcub16HIPCUB_304000_NS21ConstantInputIteratorIllEEPllNSB_3SumENSB_8EqualityElEE10hipError_tPvRmT2_T3_T4_T5_mT6_T7_P12ihipStream_tbENKUlT_T0_E_clISt17integral_constantIbLb0EESW_IbLb1EEEEDaSS_ST_EUlSS_E_NS1_11comp_targetILNS1_3genE9ELNS1_11target_archE1100ELNS1_3gpuE3ELNS1_3repE0EEENS1_30default_config_static_selectorELNS0_4arch9wavefront6targetE1EEEvT1_, .Lfunc_end134-_ZN7rocprim17ROCPRIM_400000_NS6detail17trampoline_kernelINS0_14default_configENS1_27scan_by_key_config_selectorIllEEZZNS1_16scan_by_key_implILNS1_25lookback_scan_determinismE0ELb0ES3_PKlN6hipcub16HIPCUB_304000_NS21ConstantInputIteratorIllEEPllNSB_3SumENSB_8EqualityElEE10hipError_tPvRmT2_T3_T4_T5_mT6_T7_P12ihipStream_tbENKUlT_T0_E_clISt17integral_constantIbLb0EESW_IbLb1EEEEDaSS_ST_EUlSS_E_NS1_11comp_targetILNS1_3genE9ELNS1_11target_archE1100ELNS1_3gpuE3ELNS1_3repE0EEENS1_30default_config_static_selectorELNS0_4arch9wavefront6targetE1EEEvT1_
                                        ; -- End function
	.section	.AMDGPU.csdata,"",@progbits
; Kernel info:
; codeLenInByte = 0
; NumSgprs: 6
; NumVgprs: 0
; NumAgprs: 0
; TotalNumVgprs: 0
; ScratchSize: 0
; MemoryBound: 0
; FloatMode: 240
; IeeeMode: 1
; LDSByteSize: 0 bytes/workgroup (compile time only)
; SGPRBlocks: 0
; VGPRBlocks: 0
; NumSGPRsForWavesPerEU: 6
; NumVGPRsForWavesPerEU: 1
; AccumOffset: 4
; Occupancy: 8
; WaveLimiterHint : 0
; COMPUTE_PGM_RSRC2:SCRATCH_EN: 0
; COMPUTE_PGM_RSRC2:USER_SGPR: 2
; COMPUTE_PGM_RSRC2:TRAP_HANDLER: 0
; COMPUTE_PGM_RSRC2:TGID_X_EN: 1
; COMPUTE_PGM_RSRC2:TGID_Y_EN: 0
; COMPUTE_PGM_RSRC2:TGID_Z_EN: 0
; COMPUTE_PGM_RSRC2:TIDIG_COMP_CNT: 0
; COMPUTE_PGM_RSRC3_GFX90A:ACCUM_OFFSET: 0
; COMPUTE_PGM_RSRC3_GFX90A:TG_SPLIT: 0
	.section	.text._ZN7rocprim17ROCPRIM_400000_NS6detail17trampoline_kernelINS0_14default_configENS1_27scan_by_key_config_selectorIllEEZZNS1_16scan_by_key_implILNS1_25lookback_scan_determinismE0ELb0ES3_PKlN6hipcub16HIPCUB_304000_NS21ConstantInputIteratorIllEEPllNSB_3SumENSB_8EqualityElEE10hipError_tPvRmT2_T3_T4_T5_mT6_T7_P12ihipStream_tbENKUlT_T0_E_clISt17integral_constantIbLb0EESW_IbLb1EEEEDaSS_ST_EUlSS_E_NS1_11comp_targetILNS1_3genE8ELNS1_11target_archE1030ELNS1_3gpuE2ELNS1_3repE0EEENS1_30default_config_static_selectorELNS0_4arch9wavefront6targetE1EEEvT1_,"axG",@progbits,_ZN7rocprim17ROCPRIM_400000_NS6detail17trampoline_kernelINS0_14default_configENS1_27scan_by_key_config_selectorIllEEZZNS1_16scan_by_key_implILNS1_25lookback_scan_determinismE0ELb0ES3_PKlN6hipcub16HIPCUB_304000_NS21ConstantInputIteratorIllEEPllNSB_3SumENSB_8EqualityElEE10hipError_tPvRmT2_T3_T4_T5_mT6_T7_P12ihipStream_tbENKUlT_T0_E_clISt17integral_constantIbLb0EESW_IbLb1EEEEDaSS_ST_EUlSS_E_NS1_11comp_targetILNS1_3genE8ELNS1_11target_archE1030ELNS1_3gpuE2ELNS1_3repE0EEENS1_30default_config_static_selectorELNS0_4arch9wavefront6targetE1EEEvT1_,comdat
	.protected	_ZN7rocprim17ROCPRIM_400000_NS6detail17trampoline_kernelINS0_14default_configENS1_27scan_by_key_config_selectorIllEEZZNS1_16scan_by_key_implILNS1_25lookback_scan_determinismE0ELb0ES3_PKlN6hipcub16HIPCUB_304000_NS21ConstantInputIteratorIllEEPllNSB_3SumENSB_8EqualityElEE10hipError_tPvRmT2_T3_T4_T5_mT6_T7_P12ihipStream_tbENKUlT_T0_E_clISt17integral_constantIbLb0EESW_IbLb1EEEEDaSS_ST_EUlSS_E_NS1_11comp_targetILNS1_3genE8ELNS1_11target_archE1030ELNS1_3gpuE2ELNS1_3repE0EEENS1_30default_config_static_selectorELNS0_4arch9wavefront6targetE1EEEvT1_ ; -- Begin function _ZN7rocprim17ROCPRIM_400000_NS6detail17trampoline_kernelINS0_14default_configENS1_27scan_by_key_config_selectorIllEEZZNS1_16scan_by_key_implILNS1_25lookback_scan_determinismE0ELb0ES3_PKlN6hipcub16HIPCUB_304000_NS21ConstantInputIteratorIllEEPllNSB_3SumENSB_8EqualityElEE10hipError_tPvRmT2_T3_T4_T5_mT6_T7_P12ihipStream_tbENKUlT_T0_E_clISt17integral_constantIbLb0EESW_IbLb1EEEEDaSS_ST_EUlSS_E_NS1_11comp_targetILNS1_3genE8ELNS1_11target_archE1030ELNS1_3gpuE2ELNS1_3repE0EEENS1_30default_config_static_selectorELNS0_4arch9wavefront6targetE1EEEvT1_
	.globl	_ZN7rocprim17ROCPRIM_400000_NS6detail17trampoline_kernelINS0_14default_configENS1_27scan_by_key_config_selectorIllEEZZNS1_16scan_by_key_implILNS1_25lookback_scan_determinismE0ELb0ES3_PKlN6hipcub16HIPCUB_304000_NS21ConstantInputIteratorIllEEPllNSB_3SumENSB_8EqualityElEE10hipError_tPvRmT2_T3_T4_T5_mT6_T7_P12ihipStream_tbENKUlT_T0_E_clISt17integral_constantIbLb0EESW_IbLb1EEEEDaSS_ST_EUlSS_E_NS1_11comp_targetILNS1_3genE8ELNS1_11target_archE1030ELNS1_3gpuE2ELNS1_3repE0EEENS1_30default_config_static_selectorELNS0_4arch9wavefront6targetE1EEEvT1_
	.p2align	8
	.type	_ZN7rocprim17ROCPRIM_400000_NS6detail17trampoline_kernelINS0_14default_configENS1_27scan_by_key_config_selectorIllEEZZNS1_16scan_by_key_implILNS1_25lookback_scan_determinismE0ELb0ES3_PKlN6hipcub16HIPCUB_304000_NS21ConstantInputIteratorIllEEPllNSB_3SumENSB_8EqualityElEE10hipError_tPvRmT2_T3_T4_T5_mT6_T7_P12ihipStream_tbENKUlT_T0_E_clISt17integral_constantIbLb0EESW_IbLb1EEEEDaSS_ST_EUlSS_E_NS1_11comp_targetILNS1_3genE8ELNS1_11target_archE1030ELNS1_3gpuE2ELNS1_3repE0EEENS1_30default_config_static_selectorELNS0_4arch9wavefront6targetE1EEEvT1_,@function
_ZN7rocprim17ROCPRIM_400000_NS6detail17trampoline_kernelINS0_14default_configENS1_27scan_by_key_config_selectorIllEEZZNS1_16scan_by_key_implILNS1_25lookback_scan_determinismE0ELb0ES3_PKlN6hipcub16HIPCUB_304000_NS21ConstantInputIteratorIllEEPllNSB_3SumENSB_8EqualityElEE10hipError_tPvRmT2_T3_T4_T5_mT6_T7_P12ihipStream_tbENKUlT_T0_E_clISt17integral_constantIbLb0EESW_IbLb1EEEEDaSS_ST_EUlSS_E_NS1_11comp_targetILNS1_3genE8ELNS1_11target_archE1030ELNS1_3gpuE2ELNS1_3repE0EEENS1_30default_config_static_selectorELNS0_4arch9wavefront6targetE1EEEvT1_: ; @_ZN7rocprim17ROCPRIM_400000_NS6detail17trampoline_kernelINS0_14default_configENS1_27scan_by_key_config_selectorIllEEZZNS1_16scan_by_key_implILNS1_25lookback_scan_determinismE0ELb0ES3_PKlN6hipcub16HIPCUB_304000_NS21ConstantInputIteratorIllEEPllNSB_3SumENSB_8EqualityElEE10hipError_tPvRmT2_T3_T4_T5_mT6_T7_P12ihipStream_tbENKUlT_T0_E_clISt17integral_constantIbLb0EESW_IbLb1EEEEDaSS_ST_EUlSS_E_NS1_11comp_targetILNS1_3genE8ELNS1_11target_archE1030ELNS1_3gpuE2ELNS1_3repE0EEENS1_30default_config_static_selectorELNS0_4arch9wavefront6targetE1EEEvT1_
; %bb.0:
	.section	.rodata,"a",@progbits
	.p2align	6, 0x0
	.amdhsa_kernel _ZN7rocprim17ROCPRIM_400000_NS6detail17trampoline_kernelINS0_14default_configENS1_27scan_by_key_config_selectorIllEEZZNS1_16scan_by_key_implILNS1_25lookback_scan_determinismE0ELb0ES3_PKlN6hipcub16HIPCUB_304000_NS21ConstantInputIteratorIllEEPllNSB_3SumENSB_8EqualityElEE10hipError_tPvRmT2_T3_T4_T5_mT6_T7_P12ihipStream_tbENKUlT_T0_E_clISt17integral_constantIbLb0EESW_IbLb1EEEEDaSS_ST_EUlSS_E_NS1_11comp_targetILNS1_3genE8ELNS1_11target_archE1030ELNS1_3gpuE2ELNS1_3repE0EEENS1_30default_config_static_selectorELNS0_4arch9wavefront6targetE1EEEvT1_
		.amdhsa_group_segment_fixed_size 0
		.amdhsa_private_segment_fixed_size 0
		.amdhsa_kernarg_size 144
		.amdhsa_user_sgpr_count 2
		.amdhsa_user_sgpr_dispatch_ptr 0
		.amdhsa_user_sgpr_queue_ptr 0
		.amdhsa_user_sgpr_kernarg_segment_ptr 1
		.amdhsa_user_sgpr_dispatch_id 0
		.amdhsa_user_sgpr_kernarg_preload_length 0
		.amdhsa_user_sgpr_kernarg_preload_offset 0
		.amdhsa_user_sgpr_private_segment_size 0
		.amdhsa_uses_dynamic_stack 0
		.amdhsa_enable_private_segment 0
		.amdhsa_system_sgpr_workgroup_id_x 1
		.amdhsa_system_sgpr_workgroup_id_y 0
		.amdhsa_system_sgpr_workgroup_id_z 0
		.amdhsa_system_sgpr_workgroup_info 0
		.amdhsa_system_vgpr_workitem_id 0
		.amdhsa_next_free_vgpr 1
		.amdhsa_next_free_sgpr 0
		.amdhsa_accum_offset 4
		.amdhsa_reserve_vcc 0
		.amdhsa_float_round_mode_32 0
		.amdhsa_float_round_mode_16_64 0
		.amdhsa_float_denorm_mode_32 3
		.amdhsa_float_denorm_mode_16_64 3
		.amdhsa_dx10_clamp 1
		.amdhsa_ieee_mode 1
		.amdhsa_fp16_overflow 0
		.amdhsa_tg_split 0
		.amdhsa_exception_fp_ieee_invalid_op 0
		.amdhsa_exception_fp_denorm_src 0
		.amdhsa_exception_fp_ieee_div_zero 0
		.amdhsa_exception_fp_ieee_overflow 0
		.amdhsa_exception_fp_ieee_underflow 0
		.amdhsa_exception_fp_ieee_inexact 0
		.amdhsa_exception_int_div_zero 0
	.end_amdhsa_kernel
	.section	.text._ZN7rocprim17ROCPRIM_400000_NS6detail17trampoline_kernelINS0_14default_configENS1_27scan_by_key_config_selectorIllEEZZNS1_16scan_by_key_implILNS1_25lookback_scan_determinismE0ELb0ES3_PKlN6hipcub16HIPCUB_304000_NS21ConstantInputIteratorIllEEPllNSB_3SumENSB_8EqualityElEE10hipError_tPvRmT2_T3_T4_T5_mT6_T7_P12ihipStream_tbENKUlT_T0_E_clISt17integral_constantIbLb0EESW_IbLb1EEEEDaSS_ST_EUlSS_E_NS1_11comp_targetILNS1_3genE8ELNS1_11target_archE1030ELNS1_3gpuE2ELNS1_3repE0EEENS1_30default_config_static_selectorELNS0_4arch9wavefront6targetE1EEEvT1_,"axG",@progbits,_ZN7rocprim17ROCPRIM_400000_NS6detail17trampoline_kernelINS0_14default_configENS1_27scan_by_key_config_selectorIllEEZZNS1_16scan_by_key_implILNS1_25lookback_scan_determinismE0ELb0ES3_PKlN6hipcub16HIPCUB_304000_NS21ConstantInputIteratorIllEEPllNSB_3SumENSB_8EqualityElEE10hipError_tPvRmT2_T3_T4_T5_mT6_T7_P12ihipStream_tbENKUlT_T0_E_clISt17integral_constantIbLb0EESW_IbLb1EEEEDaSS_ST_EUlSS_E_NS1_11comp_targetILNS1_3genE8ELNS1_11target_archE1030ELNS1_3gpuE2ELNS1_3repE0EEENS1_30default_config_static_selectorELNS0_4arch9wavefront6targetE1EEEvT1_,comdat
.Lfunc_end135:
	.size	_ZN7rocprim17ROCPRIM_400000_NS6detail17trampoline_kernelINS0_14default_configENS1_27scan_by_key_config_selectorIllEEZZNS1_16scan_by_key_implILNS1_25lookback_scan_determinismE0ELb0ES3_PKlN6hipcub16HIPCUB_304000_NS21ConstantInputIteratorIllEEPllNSB_3SumENSB_8EqualityElEE10hipError_tPvRmT2_T3_T4_T5_mT6_T7_P12ihipStream_tbENKUlT_T0_E_clISt17integral_constantIbLb0EESW_IbLb1EEEEDaSS_ST_EUlSS_E_NS1_11comp_targetILNS1_3genE8ELNS1_11target_archE1030ELNS1_3gpuE2ELNS1_3repE0EEENS1_30default_config_static_selectorELNS0_4arch9wavefront6targetE1EEEvT1_, .Lfunc_end135-_ZN7rocprim17ROCPRIM_400000_NS6detail17trampoline_kernelINS0_14default_configENS1_27scan_by_key_config_selectorIllEEZZNS1_16scan_by_key_implILNS1_25lookback_scan_determinismE0ELb0ES3_PKlN6hipcub16HIPCUB_304000_NS21ConstantInputIteratorIllEEPllNSB_3SumENSB_8EqualityElEE10hipError_tPvRmT2_T3_T4_T5_mT6_T7_P12ihipStream_tbENKUlT_T0_E_clISt17integral_constantIbLb0EESW_IbLb1EEEEDaSS_ST_EUlSS_E_NS1_11comp_targetILNS1_3genE8ELNS1_11target_archE1030ELNS1_3gpuE2ELNS1_3repE0EEENS1_30default_config_static_selectorELNS0_4arch9wavefront6targetE1EEEvT1_
                                        ; -- End function
	.section	.AMDGPU.csdata,"",@progbits
; Kernel info:
; codeLenInByte = 0
; NumSgprs: 6
; NumVgprs: 0
; NumAgprs: 0
; TotalNumVgprs: 0
; ScratchSize: 0
; MemoryBound: 0
; FloatMode: 240
; IeeeMode: 1
; LDSByteSize: 0 bytes/workgroup (compile time only)
; SGPRBlocks: 0
; VGPRBlocks: 0
; NumSGPRsForWavesPerEU: 6
; NumVGPRsForWavesPerEU: 1
; AccumOffset: 4
; Occupancy: 8
; WaveLimiterHint : 0
; COMPUTE_PGM_RSRC2:SCRATCH_EN: 0
; COMPUTE_PGM_RSRC2:USER_SGPR: 2
; COMPUTE_PGM_RSRC2:TRAP_HANDLER: 0
; COMPUTE_PGM_RSRC2:TGID_X_EN: 1
; COMPUTE_PGM_RSRC2:TGID_Y_EN: 0
; COMPUTE_PGM_RSRC2:TGID_Z_EN: 0
; COMPUTE_PGM_RSRC2:TIDIG_COMP_CNT: 0
; COMPUTE_PGM_RSRC3_GFX90A:ACCUM_OFFSET: 0
; COMPUTE_PGM_RSRC3_GFX90A:TG_SPLIT: 0
	.section	.text._ZN7rocprim17ROCPRIM_400000_NS6detail30init_device_scan_by_key_kernelINS1_19lookback_scan_stateINS0_5tupleIJlbEEELb0ELb0EEEN6thrust23THRUST_200600_302600_NS16reverse_iteratorIPKlEEjNS1_16block_id_wrapperIjLb0EEEEEvT_jjPNSF_10value_typeET0_PNSt15iterator_traitsISI_E10value_typeEmT1_T2_,"axG",@progbits,_ZN7rocprim17ROCPRIM_400000_NS6detail30init_device_scan_by_key_kernelINS1_19lookback_scan_stateINS0_5tupleIJlbEEELb0ELb0EEEN6thrust23THRUST_200600_302600_NS16reverse_iteratorIPKlEEjNS1_16block_id_wrapperIjLb0EEEEEvT_jjPNSF_10value_typeET0_PNSt15iterator_traitsISI_E10value_typeEmT1_T2_,comdat
	.protected	_ZN7rocprim17ROCPRIM_400000_NS6detail30init_device_scan_by_key_kernelINS1_19lookback_scan_stateINS0_5tupleIJlbEEELb0ELb0EEEN6thrust23THRUST_200600_302600_NS16reverse_iteratorIPKlEEjNS1_16block_id_wrapperIjLb0EEEEEvT_jjPNSF_10value_typeET0_PNSt15iterator_traitsISI_E10value_typeEmT1_T2_ ; -- Begin function _ZN7rocprim17ROCPRIM_400000_NS6detail30init_device_scan_by_key_kernelINS1_19lookback_scan_stateINS0_5tupleIJlbEEELb0ELb0EEEN6thrust23THRUST_200600_302600_NS16reverse_iteratorIPKlEEjNS1_16block_id_wrapperIjLb0EEEEEvT_jjPNSF_10value_typeET0_PNSt15iterator_traitsISI_E10value_typeEmT1_T2_
	.globl	_ZN7rocprim17ROCPRIM_400000_NS6detail30init_device_scan_by_key_kernelINS1_19lookback_scan_stateINS0_5tupleIJlbEEELb0ELb0EEEN6thrust23THRUST_200600_302600_NS16reverse_iteratorIPKlEEjNS1_16block_id_wrapperIjLb0EEEEEvT_jjPNSF_10value_typeET0_PNSt15iterator_traitsISI_E10value_typeEmT1_T2_
	.p2align	8
	.type	_ZN7rocprim17ROCPRIM_400000_NS6detail30init_device_scan_by_key_kernelINS1_19lookback_scan_stateINS0_5tupleIJlbEEELb0ELb0EEEN6thrust23THRUST_200600_302600_NS16reverse_iteratorIPKlEEjNS1_16block_id_wrapperIjLb0EEEEEvT_jjPNSF_10value_typeET0_PNSt15iterator_traitsISI_E10value_typeEmT1_T2_,@function
_ZN7rocprim17ROCPRIM_400000_NS6detail30init_device_scan_by_key_kernelINS1_19lookback_scan_stateINS0_5tupleIJlbEEELb0ELb0EEEN6thrust23THRUST_200600_302600_NS16reverse_iteratorIPKlEEjNS1_16block_id_wrapperIjLb0EEEEEvT_jjPNSF_10value_typeET0_PNSt15iterator_traitsISI_E10value_typeEmT1_T2_: ; @_ZN7rocprim17ROCPRIM_400000_NS6detail30init_device_scan_by_key_kernelINS1_19lookback_scan_stateINS0_5tupleIJlbEEELb0ELb0EEEN6thrust23THRUST_200600_302600_NS16reverse_iteratorIPKlEEjNS1_16block_id_wrapperIjLb0EEEEEvT_jjPNSF_10value_typeET0_PNSt15iterator_traitsISI_E10value_typeEmT1_T2_
; %bb.0:
	s_load_dword s3, s[0:1], 0x54
	s_load_dwordx8 s[4:11], s[0:1], 0x10
	s_load_dword s20, s[0:1], 0x48
	s_waitcnt lgkmcnt(0)
	s_and_b32 s21, s3, 0xffff
	s_mul_i32 s2, s2, s21
	s_cmp_eq_u64 s[8:9], 0
	v_add_u32_e32 v0, s2, v0
	s_cbranch_scc1 .LBB136_7
; %bb.1:
	s_cmp_lt_u32 s7, s6
	s_cselect_b32 s2, s7, 0
	s_mov_b32 s17, 0
	v_cmp_eq_u32_e32 vcc, s2, v0
	s_and_saveexec_b64 s[2:3], vcc
	s_cbranch_execz .LBB136_6
; %bb.2:
	s_add_i32 s16, s7, 64
	v_mov_b32_e32 v1, s16
	global_load_ubyte v1, v1, s[4:5] sc1
	s_load_dwordx4 s[12:15], s[0:1], 0x0
	s_add_u32 s18, s4, s16
	s_addc_u32 s19, s5, 0
	s_waitcnt vmcnt(0)
	v_cmp_ne_u16_e32 vcc, 0, v1
	v_readfirstlane_b32 s7, v1
	s_cbranch_vccnz .LBB136_5
; %bb.3:
	v_mov_b32_e32 v1, 0
.LBB136_4:                              ; =>This Inner Loop Header: Depth=1
	global_load_ubyte v2, v1, s[18:19] sc1
	s_waitcnt vmcnt(0)
	v_cmp_eq_u16_e32 vcc, 0, v2
	v_readfirstlane_b32 s7, v2
	s_cbranch_vccnz .LBB136_4
.LBB136_5:
	s_and_b32 s7, 0xffff, s7
	s_cmp_eq_u32 s7, 1
	s_waitcnt lgkmcnt(0)
	s_cselect_b32 s7, s13, s15
	s_cselect_b32 s14, s12, s14
	s_lshl_b64 s[12:13], s[16:17], 4
	s_add_u32 s12, s14, s12
	s_addc_u32 s13, s7, s13
	v_mov_b32_e32 v1, 0
	s_waitcnt vmcnt(0)
	global_load_dword v2, v1, s[12:13] sc1
	global_load_dword v3, v1, s[12:13] offset:4 sc1
	global_load_dword v4, v1, s[12:13] offset:8 sc1
	;; [unrolled: 1-line block ×3, first 2 shown]
	s_waitcnt vmcnt(2)
	global_store_dwordx2 v1, v[2:3], s[8:9]
	s_waitcnt vmcnt(2)
	global_store_byte v1, v4, s[8:9] offset:8
.LBB136_6:
	s_or_b64 exec, exec, s[2:3]
.LBB136_7:
	v_cmp_gt_u32_e32 vcc, s6, v0
	s_and_saveexec_b64 s[2:3], vcc
	s_cbranch_execz .LBB136_9
; %bb.8:
	v_add_u32_e32 v1, 64, v0
	v_mov_b32_e32 v2, 0
	global_store_byte v1, v2, s[4:5]
.LBB136_9:
	s_or_b64 exec, exec, s[2:3]
	v_cmp_gt_u32_e32 vcc, 64, v0
	v_mov_b32_e32 v1, 0
	s_and_saveexec_b64 s[2:3], vcc
	s_cbranch_execz .LBB136_11
; %bb.10:
	v_lshl_add_u64 v[2:3], s[4:5], 0, v[0:1]
	v_mov_b32_e32 v4, 0xff
	global_store_byte v[2:3], v4, off
.LBB136_11:
	s_or_b64 exec, exec, s[2:3]
	s_load_dwordx2 s[2:3], s[0:1], 0x38
	s_waitcnt lgkmcnt(0)
	v_cmp_gt_u64_e32 vcc, s[2:3], v[0:1]
	s_and_saveexec_b64 s[4:5], vcc
	s_cbranch_execz .LBB136_14
; %bb.12:
	s_load_dword s6, s[0:1], 0x40
	s_load_dwordx2 s[8:9], s[0:1], 0x30
	v_mov_b32_e32 v3, 0
	s_mul_i32 s0, s20, s21
	v_mov_b32_e32 v4, s11
	s_waitcnt lgkmcnt(0)
	s_add_i32 s4, s6, -1
	v_mov_b32_e32 v2, s4
	v_mad_u64_u32 v[2:3], s[4:5], s6, v0, v[2:3]
	v_lshlrev_b64 v[2:3], 3, v[2:3]
	s_mul_hi_u32 s5, s6, s0
	s_mul_i32 s4, s6, s0
	v_sub_co_u32_e32 v2, vcc, s10, v2
	s_lshl_b64 s[6:7], s[4:5], 3
	s_mov_b32 s1, 0
	v_subb_co_u32_e32 v3, vcc, v4, v3, vcc
	s_sub_u32 s6, 0, s6
	v_lshl_add_u64 v[2:3], v[2:3], 0, -8
	s_mov_b64 s[4:5], 0
	s_subb_u32 s7, 0, s7
	s_waitcnt vmcnt(2)
	v_lshl_add_u64 v[4:5], v[0:1], 3, s[8:9]
	s_lshl_b64 s[8:9], s[0:1], 3
.LBB136_13:                             ; =>This Inner Loop Header: Depth=1
	global_load_dwordx2 v[6:7], v[2:3], off
	v_lshl_add_u64 v[0:1], v[0:1], 0, s[0:1]
	v_cmp_le_u64_e32 vcc, s[2:3], v[0:1]
	v_lshl_add_u64 v[2:3], v[2:3], 0, s[6:7]
	s_or_b64 s[4:5], vcc, s[4:5]
	s_waitcnt vmcnt(0)
	global_store_dwordx2 v[4:5], v[6:7], off
	v_lshl_add_u64 v[4:5], v[4:5], 0, s[8:9]
	s_andn2_b64 exec, exec, s[4:5]
	s_cbranch_execnz .LBB136_13
.LBB136_14:
	s_endpgm
	.section	.rodata,"a",@progbits
	.p2align	6, 0x0
	.amdhsa_kernel _ZN7rocprim17ROCPRIM_400000_NS6detail30init_device_scan_by_key_kernelINS1_19lookback_scan_stateINS0_5tupleIJlbEEELb0ELb0EEEN6thrust23THRUST_200600_302600_NS16reverse_iteratorIPKlEEjNS1_16block_id_wrapperIjLb0EEEEEvT_jjPNSF_10value_typeET0_PNSt15iterator_traitsISI_E10value_typeEmT1_T2_
		.amdhsa_group_segment_fixed_size 0
		.amdhsa_private_segment_fixed_size 0
		.amdhsa_kernarg_size 328
		.amdhsa_user_sgpr_count 2
		.amdhsa_user_sgpr_dispatch_ptr 0
		.amdhsa_user_sgpr_queue_ptr 0
		.amdhsa_user_sgpr_kernarg_segment_ptr 1
		.amdhsa_user_sgpr_dispatch_id 0
		.amdhsa_user_sgpr_kernarg_preload_length 0
		.amdhsa_user_sgpr_kernarg_preload_offset 0
		.amdhsa_user_sgpr_private_segment_size 0
		.amdhsa_uses_dynamic_stack 0
		.amdhsa_enable_private_segment 0
		.amdhsa_system_sgpr_workgroup_id_x 1
		.amdhsa_system_sgpr_workgroup_id_y 0
		.amdhsa_system_sgpr_workgroup_id_z 0
		.amdhsa_system_sgpr_workgroup_info 0
		.amdhsa_system_vgpr_workitem_id 0
		.amdhsa_next_free_vgpr 8
		.amdhsa_next_free_sgpr 22
		.amdhsa_accum_offset 8
		.amdhsa_reserve_vcc 1
		.amdhsa_float_round_mode_32 0
		.amdhsa_float_round_mode_16_64 0
		.amdhsa_float_denorm_mode_32 3
		.amdhsa_float_denorm_mode_16_64 3
		.amdhsa_dx10_clamp 1
		.amdhsa_ieee_mode 1
		.amdhsa_fp16_overflow 0
		.amdhsa_tg_split 0
		.amdhsa_exception_fp_ieee_invalid_op 0
		.amdhsa_exception_fp_denorm_src 0
		.amdhsa_exception_fp_ieee_div_zero 0
		.amdhsa_exception_fp_ieee_overflow 0
		.amdhsa_exception_fp_ieee_underflow 0
		.amdhsa_exception_fp_ieee_inexact 0
		.amdhsa_exception_int_div_zero 0
	.end_amdhsa_kernel
	.section	.text._ZN7rocprim17ROCPRIM_400000_NS6detail30init_device_scan_by_key_kernelINS1_19lookback_scan_stateINS0_5tupleIJlbEEELb0ELb0EEEN6thrust23THRUST_200600_302600_NS16reverse_iteratorIPKlEEjNS1_16block_id_wrapperIjLb0EEEEEvT_jjPNSF_10value_typeET0_PNSt15iterator_traitsISI_E10value_typeEmT1_T2_,"axG",@progbits,_ZN7rocprim17ROCPRIM_400000_NS6detail30init_device_scan_by_key_kernelINS1_19lookback_scan_stateINS0_5tupleIJlbEEELb0ELb0EEEN6thrust23THRUST_200600_302600_NS16reverse_iteratorIPKlEEjNS1_16block_id_wrapperIjLb0EEEEEvT_jjPNSF_10value_typeET0_PNSt15iterator_traitsISI_E10value_typeEmT1_T2_,comdat
.Lfunc_end136:
	.size	_ZN7rocprim17ROCPRIM_400000_NS6detail30init_device_scan_by_key_kernelINS1_19lookback_scan_stateINS0_5tupleIJlbEEELb0ELb0EEEN6thrust23THRUST_200600_302600_NS16reverse_iteratorIPKlEEjNS1_16block_id_wrapperIjLb0EEEEEvT_jjPNSF_10value_typeET0_PNSt15iterator_traitsISI_E10value_typeEmT1_T2_, .Lfunc_end136-_ZN7rocprim17ROCPRIM_400000_NS6detail30init_device_scan_by_key_kernelINS1_19lookback_scan_stateINS0_5tupleIJlbEEELb0ELb0EEEN6thrust23THRUST_200600_302600_NS16reverse_iteratorIPKlEEjNS1_16block_id_wrapperIjLb0EEEEEvT_jjPNSF_10value_typeET0_PNSt15iterator_traitsISI_E10value_typeEmT1_T2_
                                        ; -- End function
	.section	.AMDGPU.csdata,"",@progbits
; Kernel info:
; codeLenInByte = 536
; NumSgprs: 28
; NumVgprs: 8
; NumAgprs: 0
; TotalNumVgprs: 8
; ScratchSize: 0
; MemoryBound: 0
; FloatMode: 240
; IeeeMode: 1
; LDSByteSize: 0 bytes/workgroup (compile time only)
; SGPRBlocks: 3
; VGPRBlocks: 0
; NumSGPRsForWavesPerEU: 28
; NumVGPRsForWavesPerEU: 8
; AccumOffset: 8
; Occupancy: 8
; WaveLimiterHint : 0
; COMPUTE_PGM_RSRC2:SCRATCH_EN: 0
; COMPUTE_PGM_RSRC2:USER_SGPR: 2
; COMPUTE_PGM_RSRC2:TRAP_HANDLER: 0
; COMPUTE_PGM_RSRC2:TGID_X_EN: 1
; COMPUTE_PGM_RSRC2:TGID_Y_EN: 0
; COMPUTE_PGM_RSRC2:TGID_Z_EN: 0
; COMPUTE_PGM_RSRC2:TIDIG_COMP_CNT: 0
; COMPUTE_PGM_RSRC3_GFX90A:ACCUM_OFFSET: 1
; COMPUTE_PGM_RSRC3_GFX90A:TG_SPLIT: 0
	.section	.text._ZN7rocprim17ROCPRIM_400000_NS6detail17trampoline_kernelINS0_14default_configENS1_27scan_by_key_config_selectorIllEEZZNS1_16scan_by_key_implILNS1_25lookback_scan_determinismE0ELb0ES3_N6thrust23THRUST_200600_302600_NS16reverse_iteratorIPKlEESD_NSA_IPlEElN6hipcub16HIPCUB_304000_NS3MaxENSH_8EqualityElEE10hipError_tPvRmT2_T3_T4_T5_mT6_T7_P12ihipStream_tbENKUlT_T0_E_clISt17integral_constantIbLb0EES10_EEDaSV_SW_EUlSV_E_NS1_11comp_targetILNS1_3genE0ELNS1_11target_archE4294967295ELNS1_3gpuE0ELNS1_3repE0EEENS1_30default_config_static_selectorELNS0_4arch9wavefront6targetE1EEEvT1_,"axG",@progbits,_ZN7rocprim17ROCPRIM_400000_NS6detail17trampoline_kernelINS0_14default_configENS1_27scan_by_key_config_selectorIllEEZZNS1_16scan_by_key_implILNS1_25lookback_scan_determinismE0ELb0ES3_N6thrust23THRUST_200600_302600_NS16reverse_iteratorIPKlEESD_NSA_IPlEElN6hipcub16HIPCUB_304000_NS3MaxENSH_8EqualityElEE10hipError_tPvRmT2_T3_T4_T5_mT6_T7_P12ihipStream_tbENKUlT_T0_E_clISt17integral_constantIbLb0EES10_EEDaSV_SW_EUlSV_E_NS1_11comp_targetILNS1_3genE0ELNS1_11target_archE4294967295ELNS1_3gpuE0ELNS1_3repE0EEENS1_30default_config_static_selectorELNS0_4arch9wavefront6targetE1EEEvT1_,comdat
	.protected	_ZN7rocprim17ROCPRIM_400000_NS6detail17trampoline_kernelINS0_14default_configENS1_27scan_by_key_config_selectorIllEEZZNS1_16scan_by_key_implILNS1_25lookback_scan_determinismE0ELb0ES3_N6thrust23THRUST_200600_302600_NS16reverse_iteratorIPKlEESD_NSA_IPlEElN6hipcub16HIPCUB_304000_NS3MaxENSH_8EqualityElEE10hipError_tPvRmT2_T3_T4_T5_mT6_T7_P12ihipStream_tbENKUlT_T0_E_clISt17integral_constantIbLb0EES10_EEDaSV_SW_EUlSV_E_NS1_11comp_targetILNS1_3genE0ELNS1_11target_archE4294967295ELNS1_3gpuE0ELNS1_3repE0EEENS1_30default_config_static_selectorELNS0_4arch9wavefront6targetE1EEEvT1_ ; -- Begin function _ZN7rocprim17ROCPRIM_400000_NS6detail17trampoline_kernelINS0_14default_configENS1_27scan_by_key_config_selectorIllEEZZNS1_16scan_by_key_implILNS1_25lookback_scan_determinismE0ELb0ES3_N6thrust23THRUST_200600_302600_NS16reverse_iteratorIPKlEESD_NSA_IPlEElN6hipcub16HIPCUB_304000_NS3MaxENSH_8EqualityElEE10hipError_tPvRmT2_T3_T4_T5_mT6_T7_P12ihipStream_tbENKUlT_T0_E_clISt17integral_constantIbLb0EES10_EEDaSV_SW_EUlSV_E_NS1_11comp_targetILNS1_3genE0ELNS1_11target_archE4294967295ELNS1_3gpuE0ELNS1_3repE0EEENS1_30default_config_static_selectorELNS0_4arch9wavefront6targetE1EEEvT1_
	.globl	_ZN7rocprim17ROCPRIM_400000_NS6detail17trampoline_kernelINS0_14default_configENS1_27scan_by_key_config_selectorIllEEZZNS1_16scan_by_key_implILNS1_25lookback_scan_determinismE0ELb0ES3_N6thrust23THRUST_200600_302600_NS16reverse_iteratorIPKlEESD_NSA_IPlEElN6hipcub16HIPCUB_304000_NS3MaxENSH_8EqualityElEE10hipError_tPvRmT2_T3_T4_T5_mT6_T7_P12ihipStream_tbENKUlT_T0_E_clISt17integral_constantIbLb0EES10_EEDaSV_SW_EUlSV_E_NS1_11comp_targetILNS1_3genE0ELNS1_11target_archE4294967295ELNS1_3gpuE0ELNS1_3repE0EEENS1_30default_config_static_selectorELNS0_4arch9wavefront6targetE1EEEvT1_
	.p2align	8
	.type	_ZN7rocprim17ROCPRIM_400000_NS6detail17trampoline_kernelINS0_14default_configENS1_27scan_by_key_config_selectorIllEEZZNS1_16scan_by_key_implILNS1_25lookback_scan_determinismE0ELb0ES3_N6thrust23THRUST_200600_302600_NS16reverse_iteratorIPKlEESD_NSA_IPlEElN6hipcub16HIPCUB_304000_NS3MaxENSH_8EqualityElEE10hipError_tPvRmT2_T3_T4_T5_mT6_T7_P12ihipStream_tbENKUlT_T0_E_clISt17integral_constantIbLb0EES10_EEDaSV_SW_EUlSV_E_NS1_11comp_targetILNS1_3genE0ELNS1_11target_archE4294967295ELNS1_3gpuE0ELNS1_3repE0EEENS1_30default_config_static_selectorELNS0_4arch9wavefront6targetE1EEEvT1_,@function
_ZN7rocprim17ROCPRIM_400000_NS6detail17trampoline_kernelINS0_14default_configENS1_27scan_by_key_config_selectorIllEEZZNS1_16scan_by_key_implILNS1_25lookback_scan_determinismE0ELb0ES3_N6thrust23THRUST_200600_302600_NS16reverse_iteratorIPKlEESD_NSA_IPlEElN6hipcub16HIPCUB_304000_NS3MaxENSH_8EqualityElEE10hipError_tPvRmT2_T3_T4_T5_mT6_T7_P12ihipStream_tbENKUlT_T0_E_clISt17integral_constantIbLb0EES10_EEDaSV_SW_EUlSV_E_NS1_11comp_targetILNS1_3genE0ELNS1_11target_archE4294967295ELNS1_3gpuE0ELNS1_3repE0EEENS1_30default_config_static_selectorELNS0_4arch9wavefront6targetE1EEEvT1_: ; @_ZN7rocprim17ROCPRIM_400000_NS6detail17trampoline_kernelINS0_14default_configENS1_27scan_by_key_config_selectorIllEEZZNS1_16scan_by_key_implILNS1_25lookback_scan_determinismE0ELb0ES3_N6thrust23THRUST_200600_302600_NS16reverse_iteratorIPKlEESD_NSA_IPlEElN6hipcub16HIPCUB_304000_NS3MaxENSH_8EqualityElEE10hipError_tPvRmT2_T3_T4_T5_mT6_T7_P12ihipStream_tbENKUlT_T0_E_clISt17integral_constantIbLb0EES10_EEDaSV_SW_EUlSV_E_NS1_11comp_targetILNS1_3genE0ELNS1_11target_archE4294967295ELNS1_3gpuE0ELNS1_3repE0EEENS1_30default_config_static_selectorELNS0_4arch9wavefront6targetE1EEEvT1_
; %bb.0:
	.section	.rodata,"a",@progbits
	.p2align	6, 0x0
	.amdhsa_kernel _ZN7rocprim17ROCPRIM_400000_NS6detail17trampoline_kernelINS0_14default_configENS1_27scan_by_key_config_selectorIllEEZZNS1_16scan_by_key_implILNS1_25lookback_scan_determinismE0ELb0ES3_N6thrust23THRUST_200600_302600_NS16reverse_iteratorIPKlEESD_NSA_IPlEElN6hipcub16HIPCUB_304000_NS3MaxENSH_8EqualityElEE10hipError_tPvRmT2_T3_T4_T5_mT6_T7_P12ihipStream_tbENKUlT_T0_E_clISt17integral_constantIbLb0EES10_EEDaSV_SW_EUlSV_E_NS1_11comp_targetILNS1_3genE0ELNS1_11target_archE4294967295ELNS1_3gpuE0ELNS1_3repE0EEENS1_30default_config_static_selectorELNS0_4arch9wavefront6targetE1EEEvT1_
		.amdhsa_group_segment_fixed_size 0
		.amdhsa_private_segment_fixed_size 0
		.amdhsa_kernarg_size 136
		.amdhsa_user_sgpr_count 2
		.amdhsa_user_sgpr_dispatch_ptr 0
		.amdhsa_user_sgpr_queue_ptr 0
		.amdhsa_user_sgpr_kernarg_segment_ptr 1
		.amdhsa_user_sgpr_dispatch_id 0
		.amdhsa_user_sgpr_kernarg_preload_length 0
		.amdhsa_user_sgpr_kernarg_preload_offset 0
		.amdhsa_user_sgpr_private_segment_size 0
		.amdhsa_uses_dynamic_stack 0
		.amdhsa_enable_private_segment 0
		.amdhsa_system_sgpr_workgroup_id_x 1
		.amdhsa_system_sgpr_workgroup_id_y 0
		.amdhsa_system_sgpr_workgroup_id_z 0
		.amdhsa_system_sgpr_workgroup_info 0
		.amdhsa_system_vgpr_workitem_id 0
		.amdhsa_next_free_vgpr 1
		.amdhsa_next_free_sgpr 0
		.amdhsa_accum_offset 4
		.amdhsa_reserve_vcc 0
		.amdhsa_float_round_mode_32 0
		.amdhsa_float_round_mode_16_64 0
		.amdhsa_float_denorm_mode_32 3
		.amdhsa_float_denorm_mode_16_64 3
		.amdhsa_dx10_clamp 1
		.amdhsa_ieee_mode 1
		.amdhsa_fp16_overflow 0
		.amdhsa_tg_split 0
		.amdhsa_exception_fp_ieee_invalid_op 0
		.amdhsa_exception_fp_denorm_src 0
		.amdhsa_exception_fp_ieee_div_zero 0
		.amdhsa_exception_fp_ieee_overflow 0
		.amdhsa_exception_fp_ieee_underflow 0
		.amdhsa_exception_fp_ieee_inexact 0
		.amdhsa_exception_int_div_zero 0
	.end_amdhsa_kernel
	.section	.text._ZN7rocprim17ROCPRIM_400000_NS6detail17trampoline_kernelINS0_14default_configENS1_27scan_by_key_config_selectorIllEEZZNS1_16scan_by_key_implILNS1_25lookback_scan_determinismE0ELb0ES3_N6thrust23THRUST_200600_302600_NS16reverse_iteratorIPKlEESD_NSA_IPlEElN6hipcub16HIPCUB_304000_NS3MaxENSH_8EqualityElEE10hipError_tPvRmT2_T3_T4_T5_mT6_T7_P12ihipStream_tbENKUlT_T0_E_clISt17integral_constantIbLb0EES10_EEDaSV_SW_EUlSV_E_NS1_11comp_targetILNS1_3genE0ELNS1_11target_archE4294967295ELNS1_3gpuE0ELNS1_3repE0EEENS1_30default_config_static_selectorELNS0_4arch9wavefront6targetE1EEEvT1_,"axG",@progbits,_ZN7rocprim17ROCPRIM_400000_NS6detail17trampoline_kernelINS0_14default_configENS1_27scan_by_key_config_selectorIllEEZZNS1_16scan_by_key_implILNS1_25lookback_scan_determinismE0ELb0ES3_N6thrust23THRUST_200600_302600_NS16reverse_iteratorIPKlEESD_NSA_IPlEElN6hipcub16HIPCUB_304000_NS3MaxENSH_8EqualityElEE10hipError_tPvRmT2_T3_T4_T5_mT6_T7_P12ihipStream_tbENKUlT_T0_E_clISt17integral_constantIbLb0EES10_EEDaSV_SW_EUlSV_E_NS1_11comp_targetILNS1_3genE0ELNS1_11target_archE4294967295ELNS1_3gpuE0ELNS1_3repE0EEENS1_30default_config_static_selectorELNS0_4arch9wavefront6targetE1EEEvT1_,comdat
.Lfunc_end137:
	.size	_ZN7rocprim17ROCPRIM_400000_NS6detail17trampoline_kernelINS0_14default_configENS1_27scan_by_key_config_selectorIllEEZZNS1_16scan_by_key_implILNS1_25lookback_scan_determinismE0ELb0ES3_N6thrust23THRUST_200600_302600_NS16reverse_iteratorIPKlEESD_NSA_IPlEElN6hipcub16HIPCUB_304000_NS3MaxENSH_8EqualityElEE10hipError_tPvRmT2_T3_T4_T5_mT6_T7_P12ihipStream_tbENKUlT_T0_E_clISt17integral_constantIbLb0EES10_EEDaSV_SW_EUlSV_E_NS1_11comp_targetILNS1_3genE0ELNS1_11target_archE4294967295ELNS1_3gpuE0ELNS1_3repE0EEENS1_30default_config_static_selectorELNS0_4arch9wavefront6targetE1EEEvT1_, .Lfunc_end137-_ZN7rocprim17ROCPRIM_400000_NS6detail17trampoline_kernelINS0_14default_configENS1_27scan_by_key_config_selectorIllEEZZNS1_16scan_by_key_implILNS1_25lookback_scan_determinismE0ELb0ES3_N6thrust23THRUST_200600_302600_NS16reverse_iteratorIPKlEESD_NSA_IPlEElN6hipcub16HIPCUB_304000_NS3MaxENSH_8EqualityElEE10hipError_tPvRmT2_T3_T4_T5_mT6_T7_P12ihipStream_tbENKUlT_T0_E_clISt17integral_constantIbLb0EES10_EEDaSV_SW_EUlSV_E_NS1_11comp_targetILNS1_3genE0ELNS1_11target_archE4294967295ELNS1_3gpuE0ELNS1_3repE0EEENS1_30default_config_static_selectorELNS0_4arch9wavefront6targetE1EEEvT1_
                                        ; -- End function
	.section	.AMDGPU.csdata,"",@progbits
; Kernel info:
; codeLenInByte = 0
; NumSgprs: 6
; NumVgprs: 0
; NumAgprs: 0
; TotalNumVgprs: 0
; ScratchSize: 0
; MemoryBound: 0
; FloatMode: 240
; IeeeMode: 1
; LDSByteSize: 0 bytes/workgroup (compile time only)
; SGPRBlocks: 0
; VGPRBlocks: 0
; NumSGPRsForWavesPerEU: 6
; NumVGPRsForWavesPerEU: 1
; AccumOffset: 4
; Occupancy: 8
; WaveLimiterHint : 0
; COMPUTE_PGM_RSRC2:SCRATCH_EN: 0
; COMPUTE_PGM_RSRC2:USER_SGPR: 2
; COMPUTE_PGM_RSRC2:TRAP_HANDLER: 0
; COMPUTE_PGM_RSRC2:TGID_X_EN: 1
; COMPUTE_PGM_RSRC2:TGID_Y_EN: 0
; COMPUTE_PGM_RSRC2:TGID_Z_EN: 0
; COMPUTE_PGM_RSRC2:TIDIG_COMP_CNT: 0
; COMPUTE_PGM_RSRC3_GFX90A:ACCUM_OFFSET: 0
; COMPUTE_PGM_RSRC3_GFX90A:TG_SPLIT: 0
	.section	.text._ZN7rocprim17ROCPRIM_400000_NS6detail17trampoline_kernelINS0_14default_configENS1_27scan_by_key_config_selectorIllEEZZNS1_16scan_by_key_implILNS1_25lookback_scan_determinismE0ELb0ES3_N6thrust23THRUST_200600_302600_NS16reverse_iteratorIPKlEESD_NSA_IPlEElN6hipcub16HIPCUB_304000_NS3MaxENSH_8EqualityElEE10hipError_tPvRmT2_T3_T4_T5_mT6_T7_P12ihipStream_tbENKUlT_T0_E_clISt17integral_constantIbLb0EES10_EEDaSV_SW_EUlSV_E_NS1_11comp_targetILNS1_3genE10ELNS1_11target_archE1201ELNS1_3gpuE5ELNS1_3repE0EEENS1_30default_config_static_selectorELNS0_4arch9wavefront6targetE1EEEvT1_,"axG",@progbits,_ZN7rocprim17ROCPRIM_400000_NS6detail17trampoline_kernelINS0_14default_configENS1_27scan_by_key_config_selectorIllEEZZNS1_16scan_by_key_implILNS1_25lookback_scan_determinismE0ELb0ES3_N6thrust23THRUST_200600_302600_NS16reverse_iteratorIPKlEESD_NSA_IPlEElN6hipcub16HIPCUB_304000_NS3MaxENSH_8EqualityElEE10hipError_tPvRmT2_T3_T4_T5_mT6_T7_P12ihipStream_tbENKUlT_T0_E_clISt17integral_constantIbLb0EES10_EEDaSV_SW_EUlSV_E_NS1_11comp_targetILNS1_3genE10ELNS1_11target_archE1201ELNS1_3gpuE5ELNS1_3repE0EEENS1_30default_config_static_selectorELNS0_4arch9wavefront6targetE1EEEvT1_,comdat
	.protected	_ZN7rocprim17ROCPRIM_400000_NS6detail17trampoline_kernelINS0_14default_configENS1_27scan_by_key_config_selectorIllEEZZNS1_16scan_by_key_implILNS1_25lookback_scan_determinismE0ELb0ES3_N6thrust23THRUST_200600_302600_NS16reverse_iteratorIPKlEESD_NSA_IPlEElN6hipcub16HIPCUB_304000_NS3MaxENSH_8EqualityElEE10hipError_tPvRmT2_T3_T4_T5_mT6_T7_P12ihipStream_tbENKUlT_T0_E_clISt17integral_constantIbLb0EES10_EEDaSV_SW_EUlSV_E_NS1_11comp_targetILNS1_3genE10ELNS1_11target_archE1201ELNS1_3gpuE5ELNS1_3repE0EEENS1_30default_config_static_selectorELNS0_4arch9wavefront6targetE1EEEvT1_ ; -- Begin function _ZN7rocprim17ROCPRIM_400000_NS6detail17trampoline_kernelINS0_14default_configENS1_27scan_by_key_config_selectorIllEEZZNS1_16scan_by_key_implILNS1_25lookback_scan_determinismE0ELb0ES3_N6thrust23THRUST_200600_302600_NS16reverse_iteratorIPKlEESD_NSA_IPlEElN6hipcub16HIPCUB_304000_NS3MaxENSH_8EqualityElEE10hipError_tPvRmT2_T3_T4_T5_mT6_T7_P12ihipStream_tbENKUlT_T0_E_clISt17integral_constantIbLb0EES10_EEDaSV_SW_EUlSV_E_NS1_11comp_targetILNS1_3genE10ELNS1_11target_archE1201ELNS1_3gpuE5ELNS1_3repE0EEENS1_30default_config_static_selectorELNS0_4arch9wavefront6targetE1EEEvT1_
	.globl	_ZN7rocprim17ROCPRIM_400000_NS6detail17trampoline_kernelINS0_14default_configENS1_27scan_by_key_config_selectorIllEEZZNS1_16scan_by_key_implILNS1_25lookback_scan_determinismE0ELb0ES3_N6thrust23THRUST_200600_302600_NS16reverse_iteratorIPKlEESD_NSA_IPlEElN6hipcub16HIPCUB_304000_NS3MaxENSH_8EqualityElEE10hipError_tPvRmT2_T3_T4_T5_mT6_T7_P12ihipStream_tbENKUlT_T0_E_clISt17integral_constantIbLb0EES10_EEDaSV_SW_EUlSV_E_NS1_11comp_targetILNS1_3genE10ELNS1_11target_archE1201ELNS1_3gpuE5ELNS1_3repE0EEENS1_30default_config_static_selectorELNS0_4arch9wavefront6targetE1EEEvT1_
	.p2align	8
	.type	_ZN7rocprim17ROCPRIM_400000_NS6detail17trampoline_kernelINS0_14default_configENS1_27scan_by_key_config_selectorIllEEZZNS1_16scan_by_key_implILNS1_25lookback_scan_determinismE0ELb0ES3_N6thrust23THRUST_200600_302600_NS16reverse_iteratorIPKlEESD_NSA_IPlEElN6hipcub16HIPCUB_304000_NS3MaxENSH_8EqualityElEE10hipError_tPvRmT2_T3_T4_T5_mT6_T7_P12ihipStream_tbENKUlT_T0_E_clISt17integral_constantIbLb0EES10_EEDaSV_SW_EUlSV_E_NS1_11comp_targetILNS1_3genE10ELNS1_11target_archE1201ELNS1_3gpuE5ELNS1_3repE0EEENS1_30default_config_static_selectorELNS0_4arch9wavefront6targetE1EEEvT1_,@function
_ZN7rocprim17ROCPRIM_400000_NS6detail17trampoline_kernelINS0_14default_configENS1_27scan_by_key_config_selectorIllEEZZNS1_16scan_by_key_implILNS1_25lookback_scan_determinismE0ELb0ES3_N6thrust23THRUST_200600_302600_NS16reverse_iteratorIPKlEESD_NSA_IPlEElN6hipcub16HIPCUB_304000_NS3MaxENSH_8EqualityElEE10hipError_tPvRmT2_T3_T4_T5_mT6_T7_P12ihipStream_tbENKUlT_T0_E_clISt17integral_constantIbLb0EES10_EEDaSV_SW_EUlSV_E_NS1_11comp_targetILNS1_3genE10ELNS1_11target_archE1201ELNS1_3gpuE5ELNS1_3repE0EEENS1_30default_config_static_selectorELNS0_4arch9wavefront6targetE1EEEvT1_: ; @_ZN7rocprim17ROCPRIM_400000_NS6detail17trampoline_kernelINS0_14default_configENS1_27scan_by_key_config_selectorIllEEZZNS1_16scan_by_key_implILNS1_25lookback_scan_determinismE0ELb0ES3_N6thrust23THRUST_200600_302600_NS16reverse_iteratorIPKlEESD_NSA_IPlEElN6hipcub16HIPCUB_304000_NS3MaxENSH_8EqualityElEE10hipError_tPvRmT2_T3_T4_T5_mT6_T7_P12ihipStream_tbENKUlT_T0_E_clISt17integral_constantIbLb0EES10_EEDaSV_SW_EUlSV_E_NS1_11comp_targetILNS1_3genE10ELNS1_11target_archE1201ELNS1_3gpuE5ELNS1_3repE0EEENS1_30default_config_static_selectorELNS0_4arch9wavefront6targetE1EEEvT1_
; %bb.0:
	.section	.rodata,"a",@progbits
	.p2align	6, 0x0
	.amdhsa_kernel _ZN7rocprim17ROCPRIM_400000_NS6detail17trampoline_kernelINS0_14default_configENS1_27scan_by_key_config_selectorIllEEZZNS1_16scan_by_key_implILNS1_25lookback_scan_determinismE0ELb0ES3_N6thrust23THRUST_200600_302600_NS16reverse_iteratorIPKlEESD_NSA_IPlEElN6hipcub16HIPCUB_304000_NS3MaxENSH_8EqualityElEE10hipError_tPvRmT2_T3_T4_T5_mT6_T7_P12ihipStream_tbENKUlT_T0_E_clISt17integral_constantIbLb0EES10_EEDaSV_SW_EUlSV_E_NS1_11comp_targetILNS1_3genE10ELNS1_11target_archE1201ELNS1_3gpuE5ELNS1_3repE0EEENS1_30default_config_static_selectorELNS0_4arch9wavefront6targetE1EEEvT1_
		.amdhsa_group_segment_fixed_size 0
		.amdhsa_private_segment_fixed_size 0
		.amdhsa_kernarg_size 136
		.amdhsa_user_sgpr_count 2
		.amdhsa_user_sgpr_dispatch_ptr 0
		.amdhsa_user_sgpr_queue_ptr 0
		.amdhsa_user_sgpr_kernarg_segment_ptr 1
		.amdhsa_user_sgpr_dispatch_id 0
		.amdhsa_user_sgpr_kernarg_preload_length 0
		.amdhsa_user_sgpr_kernarg_preload_offset 0
		.amdhsa_user_sgpr_private_segment_size 0
		.amdhsa_uses_dynamic_stack 0
		.amdhsa_enable_private_segment 0
		.amdhsa_system_sgpr_workgroup_id_x 1
		.amdhsa_system_sgpr_workgroup_id_y 0
		.amdhsa_system_sgpr_workgroup_id_z 0
		.amdhsa_system_sgpr_workgroup_info 0
		.amdhsa_system_vgpr_workitem_id 0
		.amdhsa_next_free_vgpr 1
		.amdhsa_next_free_sgpr 0
		.amdhsa_accum_offset 4
		.amdhsa_reserve_vcc 0
		.amdhsa_float_round_mode_32 0
		.amdhsa_float_round_mode_16_64 0
		.amdhsa_float_denorm_mode_32 3
		.amdhsa_float_denorm_mode_16_64 3
		.amdhsa_dx10_clamp 1
		.amdhsa_ieee_mode 1
		.amdhsa_fp16_overflow 0
		.amdhsa_tg_split 0
		.amdhsa_exception_fp_ieee_invalid_op 0
		.amdhsa_exception_fp_denorm_src 0
		.amdhsa_exception_fp_ieee_div_zero 0
		.amdhsa_exception_fp_ieee_overflow 0
		.amdhsa_exception_fp_ieee_underflow 0
		.amdhsa_exception_fp_ieee_inexact 0
		.amdhsa_exception_int_div_zero 0
	.end_amdhsa_kernel
	.section	.text._ZN7rocprim17ROCPRIM_400000_NS6detail17trampoline_kernelINS0_14default_configENS1_27scan_by_key_config_selectorIllEEZZNS1_16scan_by_key_implILNS1_25lookback_scan_determinismE0ELb0ES3_N6thrust23THRUST_200600_302600_NS16reverse_iteratorIPKlEESD_NSA_IPlEElN6hipcub16HIPCUB_304000_NS3MaxENSH_8EqualityElEE10hipError_tPvRmT2_T3_T4_T5_mT6_T7_P12ihipStream_tbENKUlT_T0_E_clISt17integral_constantIbLb0EES10_EEDaSV_SW_EUlSV_E_NS1_11comp_targetILNS1_3genE10ELNS1_11target_archE1201ELNS1_3gpuE5ELNS1_3repE0EEENS1_30default_config_static_selectorELNS0_4arch9wavefront6targetE1EEEvT1_,"axG",@progbits,_ZN7rocprim17ROCPRIM_400000_NS6detail17trampoline_kernelINS0_14default_configENS1_27scan_by_key_config_selectorIllEEZZNS1_16scan_by_key_implILNS1_25lookback_scan_determinismE0ELb0ES3_N6thrust23THRUST_200600_302600_NS16reverse_iteratorIPKlEESD_NSA_IPlEElN6hipcub16HIPCUB_304000_NS3MaxENSH_8EqualityElEE10hipError_tPvRmT2_T3_T4_T5_mT6_T7_P12ihipStream_tbENKUlT_T0_E_clISt17integral_constantIbLb0EES10_EEDaSV_SW_EUlSV_E_NS1_11comp_targetILNS1_3genE10ELNS1_11target_archE1201ELNS1_3gpuE5ELNS1_3repE0EEENS1_30default_config_static_selectorELNS0_4arch9wavefront6targetE1EEEvT1_,comdat
.Lfunc_end138:
	.size	_ZN7rocprim17ROCPRIM_400000_NS6detail17trampoline_kernelINS0_14default_configENS1_27scan_by_key_config_selectorIllEEZZNS1_16scan_by_key_implILNS1_25lookback_scan_determinismE0ELb0ES3_N6thrust23THRUST_200600_302600_NS16reverse_iteratorIPKlEESD_NSA_IPlEElN6hipcub16HIPCUB_304000_NS3MaxENSH_8EqualityElEE10hipError_tPvRmT2_T3_T4_T5_mT6_T7_P12ihipStream_tbENKUlT_T0_E_clISt17integral_constantIbLb0EES10_EEDaSV_SW_EUlSV_E_NS1_11comp_targetILNS1_3genE10ELNS1_11target_archE1201ELNS1_3gpuE5ELNS1_3repE0EEENS1_30default_config_static_selectorELNS0_4arch9wavefront6targetE1EEEvT1_, .Lfunc_end138-_ZN7rocprim17ROCPRIM_400000_NS6detail17trampoline_kernelINS0_14default_configENS1_27scan_by_key_config_selectorIllEEZZNS1_16scan_by_key_implILNS1_25lookback_scan_determinismE0ELb0ES3_N6thrust23THRUST_200600_302600_NS16reverse_iteratorIPKlEESD_NSA_IPlEElN6hipcub16HIPCUB_304000_NS3MaxENSH_8EqualityElEE10hipError_tPvRmT2_T3_T4_T5_mT6_T7_P12ihipStream_tbENKUlT_T0_E_clISt17integral_constantIbLb0EES10_EEDaSV_SW_EUlSV_E_NS1_11comp_targetILNS1_3genE10ELNS1_11target_archE1201ELNS1_3gpuE5ELNS1_3repE0EEENS1_30default_config_static_selectorELNS0_4arch9wavefront6targetE1EEEvT1_
                                        ; -- End function
	.section	.AMDGPU.csdata,"",@progbits
; Kernel info:
; codeLenInByte = 0
; NumSgprs: 6
; NumVgprs: 0
; NumAgprs: 0
; TotalNumVgprs: 0
; ScratchSize: 0
; MemoryBound: 0
; FloatMode: 240
; IeeeMode: 1
; LDSByteSize: 0 bytes/workgroup (compile time only)
; SGPRBlocks: 0
; VGPRBlocks: 0
; NumSGPRsForWavesPerEU: 6
; NumVGPRsForWavesPerEU: 1
; AccumOffset: 4
; Occupancy: 8
; WaveLimiterHint : 0
; COMPUTE_PGM_RSRC2:SCRATCH_EN: 0
; COMPUTE_PGM_RSRC2:USER_SGPR: 2
; COMPUTE_PGM_RSRC2:TRAP_HANDLER: 0
; COMPUTE_PGM_RSRC2:TGID_X_EN: 1
; COMPUTE_PGM_RSRC2:TGID_Y_EN: 0
; COMPUTE_PGM_RSRC2:TGID_Z_EN: 0
; COMPUTE_PGM_RSRC2:TIDIG_COMP_CNT: 0
; COMPUTE_PGM_RSRC3_GFX90A:ACCUM_OFFSET: 0
; COMPUTE_PGM_RSRC3_GFX90A:TG_SPLIT: 0
	.section	.text._ZN7rocprim17ROCPRIM_400000_NS6detail17trampoline_kernelINS0_14default_configENS1_27scan_by_key_config_selectorIllEEZZNS1_16scan_by_key_implILNS1_25lookback_scan_determinismE0ELb0ES3_N6thrust23THRUST_200600_302600_NS16reverse_iteratorIPKlEESD_NSA_IPlEElN6hipcub16HIPCUB_304000_NS3MaxENSH_8EqualityElEE10hipError_tPvRmT2_T3_T4_T5_mT6_T7_P12ihipStream_tbENKUlT_T0_E_clISt17integral_constantIbLb0EES10_EEDaSV_SW_EUlSV_E_NS1_11comp_targetILNS1_3genE5ELNS1_11target_archE942ELNS1_3gpuE9ELNS1_3repE0EEENS1_30default_config_static_selectorELNS0_4arch9wavefront6targetE1EEEvT1_,"axG",@progbits,_ZN7rocprim17ROCPRIM_400000_NS6detail17trampoline_kernelINS0_14default_configENS1_27scan_by_key_config_selectorIllEEZZNS1_16scan_by_key_implILNS1_25lookback_scan_determinismE0ELb0ES3_N6thrust23THRUST_200600_302600_NS16reverse_iteratorIPKlEESD_NSA_IPlEElN6hipcub16HIPCUB_304000_NS3MaxENSH_8EqualityElEE10hipError_tPvRmT2_T3_T4_T5_mT6_T7_P12ihipStream_tbENKUlT_T0_E_clISt17integral_constantIbLb0EES10_EEDaSV_SW_EUlSV_E_NS1_11comp_targetILNS1_3genE5ELNS1_11target_archE942ELNS1_3gpuE9ELNS1_3repE0EEENS1_30default_config_static_selectorELNS0_4arch9wavefront6targetE1EEEvT1_,comdat
	.protected	_ZN7rocprim17ROCPRIM_400000_NS6detail17trampoline_kernelINS0_14default_configENS1_27scan_by_key_config_selectorIllEEZZNS1_16scan_by_key_implILNS1_25lookback_scan_determinismE0ELb0ES3_N6thrust23THRUST_200600_302600_NS16reverse_iteratorIPKlEESD_NSA_IPlEElN6hipcub16HIPCUB_304000_NS3MaxENSH_8EqualityElEE10hipError_tPvRmT2_T3_T4_T5_mT6_T7_P12ihipStream_tbENKUlT_T0_E_clISt17integral_constantIbLb0EES10_EEDaSV_SW_EUlSV_E_NS1_11comp_targetILNS1_3genE5ELNS1_11target_archE942ELNS1_3gpuE9ELNS1_3repE0EEENS1_30default_config_static_selectorELNS0_4arch9wavefront6targetE1EEEvT1_ ; -- Begin function _ZN7rocprim17ROCPRIM_400000_NS6detail17trampoline_kernelINS0_14default_configENS1_27scan_by_key_config_selectorIllEEZZNS1_16scan_by_key_implILNS1_25lookback_scan_determinismE0ELb0ES3_N6thrust23THRUST_200600_302600_NS16reverse_iteratorIPKlEESD_NSA_IPlEElN6hipcub16HIPCUB_304000_NS3MaxENSH_8EqualityElEE10hipError_tPvRmT2_T3_T4_T5_mT6_T7_P12ihipStream_tbENKUlT_T0_E_clISt17integral_constantIbLb0EES10_EEDaSV_SW_EUlSV_E_NS1_11comp_targetILNS1_3genE5ELNS1_11target_archE942ELNS1_3gpuE9ELNS1_3repE0EEENS1_30default_config_static_selectorELNS0_4arch9wavefront6targetE1EEEvT1_
	.globl	_ZN7rocprim17ROCPRIM_400000_NS6detail17trampoline_kernelINS0_14default_configENS1_27scan_by_key_config_selectorIllEEZZNS1_16scan_by_key_implILNS1_25lookback_scan_determinismE0ELb0ES3_N6thrust23THRUST_200600_302600_NS16reverse_iteratorIPKlEESD_NSA_IPlEElN6hipcub16HIPCUB_304000_NS3MaxENSH_8EqualityElEE10hipError_tPvRmT2_T3_T4_T5_mT6_T7_P12ihipStream_tbENKUlT_T0_E_clISt17integral_constantIbLb0EES10_EEDaSV_SW_EUlSV_E_NS1_11comp_targetILNS1_3genE5ELNS1_11target_archE942ELNS1_3gpuE9ELNS1_3repE0EEENS1_30default_config_static_selectorELNS0_4arch9wavefront6targetE1EEEvT1_
	.p2align	8
	.type	_ZN7rocprim17ROCPRIM_400000_NS6detail17trampoline_kernelINS0_14default_configENS1_27scan_by_key_config_selectorIllEEZZNS1_16scan_by_key_implILNS1_25lookback_scan_determinismE0ELb0ES3_N6thrust23THRUST_200600_302600_NS16reverse_iteratorIPKlEESD_NSA_IPlEElN6hipcub16HIPCUB_304000_NS3MaxENSH_8EqualityElEE10hipError_tPvRmT2_T3_T4_T5_mT6_T7_P12ihipStream_tbENKUlT_T0_E_clISt17integral_constantIbLb0EES10_EEDaSV_SW_EUlSV_E_NS1_11comp_targetILNS1_3genE5ELNS1_11target_archE942ELNS1_3gpuE9ELNS1_3repE0EEENS1_30default_config_static_selectorELNS0_4arch9wavefront6targetE1EEEvT1_,@function
_ZN7rocprim17ROCPRIM_400000_NS6detail17trampoline_kernelINS0_14default_configENS1_27scan_by_key_config_selectorIllEEZZNS1_16scan_by_key_implILNS1_25lookback_scan_determinismE0ELb0ES3_N6thrust23THRUST_200600_302600_NS16reverse_iteratorIPKlEESD_NSA_IPlEElN6hipcub16HIPCUB_304000_NS3MaxENSH_8EqualityElEE10hipError_tPvRmT2_T3_T4_T5_mT6_T7_P12ihipStream_tbENKUlT_T0_E_clISt17integral_constantIbLb0EES10_EEDaSV_SW_EUlSV_E_NS1_11comp_targetILNS1_3genE5ELNS1_11target_archE942ELNS1_3gpuE9ELNS1_3repE0EEENS1_30default_config_static_selectorELNS0_4arch9wavefront6targetE1EEEvT1_: ; @_ZN7rocprim17ROCPRIM_400000_NS6detail17trampoline_kernelINS0_14default_configENS1_27scan_by_key_config_selectorIllEEZZNS1_16scan_by_key_implILNS1_25lookback_scan_determinismE0ELb0ES3_N6thrust23THRUST_200600_302600_NS16reverse_iteratorIPKlEESD_NSA_IPlEElN6hipcub16HIPCUB_304000_NS3MaxENSH_8EqualityElEE10hipError_tPvRmT2_T3_T4_T5_mT6_T7_P12ihipStream_tbENKUlT_T0_E_clISt17integral_constantIbLb0EES10_EEDaSV_SW_EUlSV_E_NS1_11comp_targetILNS1_3genE5ELNS1_11target_archE942ELNS1_3gpuE9ELNS1_3repE0EEENS1_30default_config_static_selectorELNS0_4arch9wavefront6targetE1EEEvT1_
; %bb.0:
	s_load_dwordx8 s[44:51], s[0:1], 0x0
	s_load_dwordx8 s[36:43], s[0:1], 0x30
	s_load_dwordx2 s[62:63], s[0:1], 0x50
	s_load_dword s3, s[0:1], 0x58
	s_load_dwordx8 s[52:59], s[0:1], 0x60
	s_waitcnt lgkmcnt(0)
	s_sub_u32 s60, 0, s46
	s_subb_u32 s61, 0, s47
	s_lshl_b64 s[0:1], s[46:47], 3
	s_sub_u32 s4, s44, s0
	s_subb_u32 s5, s45, s1
	s_sub_u32 s6, s48, s0
	s_subb_u32 s7, s49, s1
	s_mul_i32 s0, s63, s3
	s_mul_hi_u32 s1, s62, s3
	s_add_i32 s8, s1, s0
	s_cmp_eq_u64 s[56:57], 0
	s_mul_i32 s0, s2, 0xe00
	s_cselect_b64 s[46:47], -1, 0
	s_mov_b32 s1, 0
	s_sub_u32 s44, 0, s0
	s_subb_u32 s45, 0, 0
	s_lshl_b64 s[0:1], s[0:1], 3
	s_mul_i32 s9, s62, s3
	s_sub_u32 s3, s4, s0
	s_subb_u32 s43, s5, s1
	s_sub_u32 s34, s6, s0
	s_subb_u32 s35, s7, s1
	s_add_u32 s48, s9, s2
	s_addc_u32 s49, s8, 0
	s_add_u32 s4, s52, -1
	s_addc_u32 s5, s53, -1
	v_mov_b64_e32 v[2:3], s[4:5]
	v_cmp_ge_u64_e64 s[0:1], s[48:49], v[2:3]
	s_mov_b64 s[12:13], 0
	s_mov_b64 s[6:7], -1
	s_and_b64 vcc, exec, s[0:1]
	s_mul_i32 s33, s4, 0xfffff200
	s_barrier
	s_cbranch_vccz .LBB139_74
; %bb.1:
	v_mov_b32_e32 v1, s43
	v_add_co_u32_e64 v2, vcc, -8, s3
	s_add_i32 s65, s33, s42
	s_nop 0
	v_addc_co_u32_e32 v3, vcc, -1, v1, vcc
	flat_load_dwordx2 v[2:3], v[2:3]
	s_add_u32 s56, s3, -8
	s_addc_u32 s57, s43, -1
	v_cmp_gt_u32_e32 vcc, s65, v0
	s_waitcnt vmcnt(0) lgkmcnt(0)
	v_mov_b64_e32 v[4:5], v[2:3]
	s_and_saveexec_b64 s[6:7], vcc
	s_cbranch_execz .LBB139_3
; %bb.2:
	v_lshlrev_b32_e32 v1, 3, v0
	v_mov_b32_e32 v5, s57
	v_sub_co_u32_e64 v4, s[4:5], s56, v1
	s_nop 1
	v_subbrev_co_u32_e64 v5, s[4:5], 0, v5, s[4:5]
	flat_load_dwordx2 v[4:5], v[4:5]
.LBB139_3:
	s_or_b64 exec, exec, s[6:7]
	v_or_b32_e32 v1, 0x100, v0
	v_cmp_gt_u32_e64 s[28:29], s65, v1
	v_lshlrev_b32_e32 v1, 3, v1
	v_mov_b64_e32 v[6:7], v[2:3]
	s_and_saveexec_b64 s[6:7], s[28:29]
	s_cbranch_execz .LBB139_5
; %bb.4:
	v_mov_b32_e32 v7, s57
	v_sub_co_u32_e64 v6, s[4:5], s56, v1
	s_nop 1
	v_subbrev_co_u32_e64 v7, s[4:5], 0, v7, s[4:5]
	flat_load_dwordx2 v[6:7], v[6:7]
.LBB139_5:
	s_or_b64 exec, exec, s[6:7]
	v_or_b32_e32 v8, 0x200, v0
	v_cmp_gt_u32_e64 s[4:5], s65, v8
	v_lshlrev_b32_e32 v30, 3, v8
	v_mov_b64_e32 v[8:9], v[2:3]
	s_and_saveexec_b64 s[8:9], s[4:5]
	s_cbranch_execz .LBB139_7
; %bb.6:
	v_mov_b32_e32 v9, s57
	v_sub_co_u32_e64 v8, s[6:7], s56, v30
	s_nop 1
	v_subbrev_co_u32_e64 v9, s[6:7], 0, v9, s[6:7]
	flat_load_dwordx2 v[8:9], v[8:9]
.LBB139_7:
	;; [unrolled: 14-line block ×12, first 2 shown]
	s_or_b64 exec, exec, s[30:31]
	v_or_b32_e32 v36, 0xd00, v0
	v_cmp_gt_u32_e64 s[26:27], s65, v36
	v_lshlrev_b32_e32 v42, 3, v36
	s_and_saveexec_b64 s[52:53], s[26:27]
	s_cbranch_execz .LBB139_29
; %bb.28:
	v_mov_b32_e32 v3, s57
	v_sub_co_u32_e64 v2, s[30:31], s56, v42
	s_nop 1
	v_subbrev_co_u32_e64 v3, s[30:31], 0, v3, s[30:31]
	flat_load_dwordx2 v[2:3], v[2:3]
.LBB139_29:
	s_or_b64 exec, exec, s[52:53]
	s_lshl_b64 s[30:31], s[48:49], 3
	s_add_u32 s30, s58, s30
	s_addc_u32 s31, s59, s31
	s_add_u32 s52, s30, -8
	s_addc_u32 s53, s31, -1
	s_and_b64 s[30:31], s[46:47], exec
	s_cselect_b32 s30, s3, s52
	s_cselect_b32 s31, s43, s53
	s_cmp_eq_u64 s[48:49], 0
	v_lshlrev_b32_e32 v43, 3, v0
	s_cselect_b32 s31, s57, s31
	s_cselect_b32 s30, s56, s30
	s_waitcnt vmcnt(0) lgkmcnt(0)
	ds_write2st64_b64 v43, v[4:5], v[6:7] offset1:4
	ds_write2st64_b64 v43, v[8:9], v[10:11] offset0:8 offset1:12
	ds_write2st64_b64 v43, v[12:13], v[14:15] offset0:16 offset1:20
	;; [unrolled: 1-line block ×6, first 2 shown]
	v_mov_b32_e32 v2, s30
	v_mov_b32_e32 v3, s31
	s_waitcnt lgkmcnt(0)
	s_barrier
	flat_load_dwordx2 v[4:5], v[2:3]
	s_movk_i32 s30, 0x68
	v_mad_u32_u24 v36, v0, s30, v43
	ds_read_b128 v[74:77], v36
	ds_read_b128 v[70:73], v36 offset:16
	ds_read_b128 v[66:69], v36 offset:32
	;; [unrolled: 1-line block ×6, first 2 shown]
	s_movk_i32 s30, 0xff98
	v_mad_i32_i24 v2, v0, s30, v36
	v_cmp_ne_u32_e64 s[30:31], 0, v0
	s_waitcnt lgkmcnt(0)
	ds_write_b64 v2, v[56:57] offset:28672
	s_waitcnt lgkmcnt(0)
	s_barrier
	s_and_saveexec_b64 s[52:53], s[30:31]
	s_cbranch_execz .LBB139_31
; %bb.30:
	v_mul_i32_i24_e32 v2, 0xffffff98, v0
	v_add_u32_e32 v2, v36, v2
	s_waitcnt vmcnt(0)
	ds_read_b64 v[4:5], v2 offset:28664
.LBB139_31:
	s_or_b64 exec, exec, s[52:53]
	s_add_u32 s52, s34, -8
	s_addc_u32 s53, s35, -1
	s_waitcnt lgkmcnt(0)
	s_barrier
	s_waitcnt lgkmcnt(0)
                                        ; implicit-def: $vgpr2_vgpr3
	s_and_saveexec_b64 s[30:31], vcc
	s_cbranch_execz .LBB139_147
; %bb.32:
	v_mov_b32_e32 v3, s53
	v_sub_co_u32_e32 v2, vcc, s52, v43
	s_nop 1
	v_subbrev_co_u32_e32 v3, vcc, 0, v3, vcc
	flat_load_dwordx2 v[2:3], v[2:3]
	s_or_b64 exec, exec, s[30:31]
                                        ; implicit-def: $vgpr6_vgpr7
	s_and_saveexec_b64 s[30:31], s[28:29]
	s_cbranch_execnz .LBB139_148
.LBB139_33:
	s_or_b64 exec, exec, s[30:31]
                                        ; implicit-def: $vgpr8_vgpr9
	s_and_saveexec_b64 s[28:29], s[4:5]
	s_cbranch_execz .LBB139_149
.LBB139_34:
	v_mov_b32_e32 v1, s53
	v_sub_co_u32_e32 v8, vcc, s52, v30
	s_nop 1
	v_subbrev_co_u32_e32 v9, vcc, 0, v1, vcc
	flat_load_dwordx2 v[8:9], v[8:9]
	s_or_b64 exec, exec, s[28:29]
                                        ; implicit-def: $vgpr10_vgpr11
	s_and_saveexec_b64 s[4:5], s[6:7]
	s_cbranch_execnz .LBB139_150
.LBB139_35:
	s_or_b64 exec, exec, s[4:5]
                                        ; implicit-def: $vgpr12_vgpr13
	s_and_saveexec_b64 s[4:5], s[8:9]
	s_cbranch_execz .LBB139_151
.LBB139_36:
	v_mov_b32_e32 v1, s53
	v_sub_co_u32_e32 v12, vcc, s52, v32
	s_nop 1
	v_subbrev_co_u32_e32 v13, vcc, 0, v1, vcc
	flat_load_dwordx2 v[12:13], v[12:13]
	s_or_b64 exec, exec, s[4:5]
                                        ; implicit-def: $vgpr14_vgpr15
	s_and_saveexec_b64 s[4:5], s[10:11]
	s_cbranch_execnz .LBB139_152
.LBB139_37:
	s_or_b64 exec, exec, s[4:5]
                                        ; implicit-def: $vgpr16_vgpr17
	s_and_saveexec_b64 s[4:5], s[12:13]
	s_cbranch_execz .LBB139_153
.LBB139_38:
	v_mov_b32_e32 v1, s53
	v_sub_co_u32_e32 v16, vcc, s52, v34
	s_nop 1
	v_subbrev_co_u32_e32 v17, vcc, 0, v1, vcc
	flat_load_dwordx2 v[16:17], v[16:17]
	s_or_b64 exec, exec, s[4:5]
                                        ; implicit-def: $vgpr18_vgpr19
	s_and_saveexec_b64 s[4:5], s[14:15]
	s_cbranch_execnz .LBB139_154
.LBB139_39:
	s_or_b64 exec, exec, s[4:5]
                                        ; implicit-def: $vgpr20_vgpr21
	s_and_saveexec_b64 s[4:5], s[16:17]
	s_cbranch_execz .LBB139_155
.LBB139_40:
	v_mov_b32_e32 v1, s53
	v_sub_co_u32_e32 v20, vcc, s52, v37
	s_nop 1
	v_subbrev_co_u32_e32 v21, vcc, 0, v1, vcc
	flat_load_dwordx2 v[20:21], v[20:21]
	s_or_b64 exec, exec, s[4:5]
                                        ; implicit-def: $vgpr22_vgpr23
	s_and_saveexec_b64 s[4:5], s[18:19]
	s_cbranch_execnz .LBB139_156
.LBB139_41:
	s_or_b64 exec, exec, s[4:5]
                                        ; implicit-def: $vgpr24_vgpr25
	s_and_saveexec_b64 s[4:5], s[20:21]
	s_cbranch_execz .LBB139_157
.LBB139_42:
	v_mov_b32_e32 v1, s53
	v_sub_co_u32_e32 v24, vcc, s52, v39
	s_nop 1
	v_subbrev_co_u32_e32 v25, vcc, 0, v1, vcc
	flat_load_dwordx2 v[24:25], v[24:25]
	s_or_b64 exec, exec, s[4:5]
                                        ; implicit-def: $vgpr26_vgpr27
	s_and_saveexec_b64 s[4:5], s[22:23]
	s_cbranch_execnz .LBB139_158
.LBB139_43:
	s_or_b64 exec, exec, s[4:5]
                                        ; implicit-def: $vgpr28_vgpr29
	s_and_saveexec_b64 s[4:5], s[24:25]
	s_cbranch_execz .LBB139_45
.LBB139_44:
	v_mov_b32_e32 v1, s53
	v_sub_co_u32_e32 v28, vcc, s52, v41
	s_nop 1
	v_subbrev_co_u32_e32 v29, vcc, 0, v1, vcc
	flat_load_dwordx2 v[28:29], v[28:29]
.LBB139_45:
	s_or_b64 exec, exec, s[4:5]
	v_mul_u32_u24_e32 v37, 14, v0
                                        ; implicit-def: $vgpr30_vgpr31
	s_and_saveexec_b64 s[4:5], s[26:27]
	s_cbranch_execz .LBB139_47
; %bb.46:
	v_mov_b32_e32 v1, s53
	v_sub_co_u32_e32 v30, vcc, s52, v42
	s_nop 1
	v_subbrev_co_u32_e32 v31, vcc, 0, v1, vcc
	flat_load_dwordx2 v[30:31], v[30:31]
.LBB139_47:
	s_or_b64 exec, exec, s[4:5]
	v_mov_b64_e32 v[78:79], 0
	s_waitcnt vmcnt(0) lgkmcnt(0)
	ds_write2st64_b64 v43, v[2:3], v[6:7] offset1:4
	ds_write2st64_b64 v43, v[8:9], v[10:11] offset0:8 offset1:12
	ds_write2st64_b64 v43, v[12:13], v[14:15] offset0:16 offset1:20
	;; [unrolled: 1-line block ×6, first 2 shown]
	v_cmp_gt_u32_e32 vcc, s65, v37
	s_mov_b64 s[12:13], 0
	s_mov_b64 s[6:7], 0
	s_mov_b32 s64, 0
	v_mov_b32_e32 v80, 0
	v_mov_b32_e32 v91, 0
	v_mov_b64_e32 v[46:47], v[78:79]
	v_mov_b32_e32 v90, 0
	v_mov_b64_e32 v[34:35], v[78:79]
	;; [unrolled: 2-line block ×12, first 2 shown]
	s_waitcnt lgkmcnt(0)
	s_barrier
	s_waitcnt lgkmcnt(0)
                                        ; implicit-def: $sgpr10_sgpr11
                                        ; implicit-def: $vgpr52_vgpr53
	s_and_saveexec_b64 s[8:9], vcc
	s_cbranch_execz .LBB139_73
; %bb.48:
	ds_read_b64 v[2:3], v36
	v_cmp_ne_u64_e32 vcc, v[4:5], v[74:75]
	v_or_b32_e32 v4, 1, v37
	v_mov_b64_e32 v[78:79], 0
	v_cndmask_b32_e64 v1, 0, 1, vcc
	v_cmp_gt_u32_e32 vcc, s65, v4
	s_mov_b64 s[4:5], 0
	v_mov_b32_e32 v80, 0
	v_mov_b32_e32 v91, 0
	v_mov_b64_e32 v[46:47], v[78:79]
	v_mov_b32_e32 v90, 0
	v_mov_b64_e32 v[34:35], v[78:79]
	;; [unrolled: 2-line block ×11, first 2 shown]
                                        ; implicit-def: $sgpr14_sgpr15
                                        ; implicit-def: $vgpr52_vgpr53
	s_and_saveexec_b64 s[10:11], vcc
	s_cbranch_execz .LBB139_72
; %bb.49:
	ds_read2_b64 v[14:17], v36 offset0:1 offset1:2
	v_add_u32_e32 v4, 2, v37
	v_cmp_ne_u64_e32 vcc, v[74:75], v[76:77]
	v_mov_b64_e32 v[78:79], 0
	s_mov_b64 s[16:17], 0
	v_cndmask_b32_e64 v82, 0, 1, vcc
	v_cmp_gt_u32_e32 vcc, s65, v4
	v_mov_b32_e32 v80, 0
	v_mov_b32_e32 v91, 0
	v_mov_b64_e32 v[46:47], v[78:79]
	v_mov_b32_e32 v90, 0
	v_mov_b64_e32 v[34:35], v[78:79]
	;; [unrolled: 2-line block ×10, first 2 shown]
                                        ; implicit-def: $sgpr14_sgpr15
                                        ; implicit-def: $vgpr52_vgpr53
	s_and_saveexec_b64 s[12:13], vcc
	s_cbranch_execz .LBB139_71
; %bb.50:
	v_add_u32_e32 v4, 3, v37
	v_cmp_ne_u64_e32 vcc, v[76:77], v[70:71]
	v_mov_b64_e32 v[78:79], 0
	s_waitcnt lgkmcnt(0)
	v_mov_b32_e32 v6, v16
	v_mov_b32_e32 v7, v17
	v_cndmask_b32_e64 v81, 0, 1, vcc
	v_cmp_gt_u32_e32 vcc, s65, v4
	v_mov_b32_e32 v80, 0
	v_mov_b32_e32 v91, 0
	v_mov_b64_e32 v[46:47], v[78:79]
	v_mov_b32_e32 v90, 0
	v_mov_b64_e32 v[34:35], v[78:79]
	;; [unrolled: 2-line block ×9, first 2 shown]
                                        ; implicit-def: $sgpr18_sgpr19
                                        ; implicit-def: $vgpr52_vgpr53
	s_and_saveexec_b64 s[14:15], vcc
	s_cbranch_execz .LBB139_70
; %bb.51:
	ds_read2_b64 v[22:25], v36 offset0:3 offset1:4
	v_add_u32_e32 v4, 4, v37
	v_cmp_ne_u64_e32 vcc, v[70:71], v[72:73]
	v_mov_b64_e32 v[78:79], 0
	s_mov_b64 s[20:21], 0
	v_cndmask_b32_e64 v83, 0, 1, vcc
	v_cmp_gt_u32_e32 vcc, s65, v4
	v_mov_b32_e32 v80, 0
	v_mov_b32_e32 v91, 0
	v_mov_b64_e32 v[46:47], v[78:79]
	v_mov_b32_e32 v90, 0
	v_mov_b64_e32 v[34:35], v[78:79]
	;; [unrolled: 2-line block ×8, first 2 shown]
                                        ; implicit-def: $sgpr18_sgpr19
                                        ; implicit-def: $vgpr52_vgpr53
	s_and_saveexec_b64 s[16:17], vcc
	s_cbranch_execz .LBB139_69
; %bb.52:
	v_add_u32_e32 v4, 5, v37
	v_cmp_ne_u64_e32 vcc, v[72:73], v[66:67]
	v_mov_b64_e32 v[78:79], 0
	s_waitcnt lgkmcnt(0)
	v_mov_b32_e32 v10, v24
	v_mov_b32_e32 v11, v25
	v_cndmask_b32_e64 v84, 0, 1, vcc
	v_cmp_gt_u32_e32 vcc, s65, v4
	v_mov_b32_e32 v80, 0
	v_mov_b32_e32 v91, 0
	v_mov_b64_e32 v[46:47], v[78:79]
	v_mov_b32_e32 v90, 0
	v_mov_b64_e32 v[34:35], v[78:79]
	;; [unrolled: 2-line block ×7, first 2 shown]
                                        ; implicit-def: $sgpr22_sgpr23
                                        ; implicit-def: $vgpr52_vgpr53
	s_and_saveexec_b64 s[18:19], vcc
	s_cbranch_execz .LBB139_68
; %bb.53:
	ds_read2_b64 v[30:33], v36 offset0:5 offset1:6
	v_add_u32_e32 v4, 6, v37
	v_cmp_ne_u64_e32 vcc, v[66:67], v[68:69]
	v_mov_b64_e32 v[78:79], 0
	s_mov_b64 s[24:25], 0
	v_cndmask_b32_e64 v85, 0, 1, vcc
	v_cmp_gt_u32_e32 vcc, s65, v4
	v_mov_b32_e32 v80, 0
	v_mov_b32_e32 v91, 0
	v_mov_b64_e32 v[46:47], v[78:79]
	v_mov_b32_e32 v90, 0
	v_mov_b64_e32 v[34:35], v[78:79]
	;; [unrolled: 2-line block ×6, first 2 shown]
                                        ; implicit-def: $sgpr22_sgpr23
                                        ; implicit-def: $vgpr52_vgpr53
	s_and_saveexec_b64 s[20:21], vcc
	s_cbranch_execz .LBB139_67
; %bb.54:
	v_add_u32_e32 v4, 7, v37
	v_cmp_ne_u64_e32 vcc, v[68:69], v[62:63]
	v_mov_b64_e32 v[78:79], 0
	s_waitcnt lgkmcnt(0)
	v_mov_b32_e32 v18, v32
	v_mov_b32_e32 v19, v33
	v_cndmask_b32_e64 v86, 0, 1, vcc
	v_cmp_gt_u32_e32 vcc, s65, v4
	v_mov_b32_e32 v80, 0
	v_mov_b32_e32 v91, 0
	v_mov_b64_e32 v[46:47], v[78:79]
	v_mov_b32_e32 v90, 0
	v_mov_b64_e32 v[34:35], v[78:79]
	;; [unrolled: 2-line block ×5, first 2 shown]
                                        ; implicit-def: $sgpr26_sgpr27
                                        ; implicit-def: $vgpr52_vgpr53
	s_and_saveexec_b64 s[22:23], vcc
	s_cbranch_execz .LBB139_66
; %bb.55:
	ds_read2_b64 v[38:41], v36 offset0:7 offset1:8
	v_add_u32_e32 v4, 8, v37
	v_cmp_ne_u64_e32 vcc, v[62:63], v[64:65]
	v_mov_b64_e32 v[78:79], 0
	s_mov_b64 s[28:29], 0
	v_cndmask_b32_e64 v87, 0, 1, vcc
	v_cmp_gt_u32_e32 vcc, s65, v4
	v_mov_b32_e32 v80, 0
	v_mov_b32_e32 v91, 0
	v_mov_b64_e32 v[46:47], v[78:79]
	v_mov_b32_e32 v90, 0
	v_mov_b64_e32 v[34:35], v[78:79]
	;; [unrolled: 2-line block ×4, first 2 shown]
                                        ; implicit-def: $sgpr26_sgpr27
                                        ; implicit-def: $vgpr52_vgpr53
	s_and_saveexec_b64 s[24:25], vcc
	s_cbranch_execz .LBB139_65
; %bb.56:
	v_add_u32_e32 v4, 9, v37
	v_cmp_ne_u64_e32 vcc, v[64:65], v[48:49]
	v_mov_b64_e32 v[78:79], 0
	s_waitcnt lgkmcnt(0)
	v_mov_b32_e32 v26, v40
	v_mov_b32_e32 v27, v41
	v_cndmask_b32_e64 v88, 0, 1, vcc
	v_cmp_gt_u32_e32 vcc, s65, v4
	v_mov_b32_e32 v80, 0
	v_mov_b32_e32 v91, 0
	v_mov_b64_e32 v[46:47], v[78:79]
	v_mov_b32_e32 v90, 0
	v_mov_b64_e32 v[34:35], v[78:79]
	;; [unrolled: 2-line block ×3, first 2 shown]
                                        ; implicit-def: $sgpr30_sgpr31
                                        ; implicit-def: $vgpr52_vgpr53
	s_and_saveexec_b64 s[26:27], vcc
	s_cbranch_execz .LBB139_64
; %bb.57:
	ds_read2_b64 v[42:45], v36 offset0:9 offset1:10
	v_add_u32_e32 v4, 10, v37
	v_cmp_ne_u64_e32 vcc, v[48:49], v[50:51]
	v_mov_b64_e32 v[78:79], 0
	s_mov_b64 s[52:53], 0
	v_cndmask_b32_e64 v89, 0, 1, vcc
	v_cmp_gt_u32_e32 vcc, s65, v4
	v_mov_b32_e32 v80, 0
	v_mov_b32_e32 v91, 0
	v_mov_b64_e32 v[46:47], v[78:79]
	v_mov_b32_e32 v90, 0
	v_mov_b64_e32 v[34:35], v[78:79]
                                        ; implicit-def: $sgpr30_sgpr31
                                        ; implicit-def: $vgpr52_vgpr53
	s_and_saveexec_b64 s[28:29], vcc
	s_cbranch_execz .LBB139_63
; %bb.58:
	v_add_u32_e32 v4, 11, v37
	v_cmp_ne_u64_e32 vcc, v[50:51], v[58:59]
	v_mov_b64_e32 v[78:79], 0
	s_waitcnt lgkmcnt(0)
	v_mov_b32_e32 v34, v44
	v_mov_b32_e32 v35, v45
	v_cndmask_b32_e64 v90, 0, 1, vcc
	v_cmp_gt_u32_e32 vcc, s65, v4
	v_mov_b32_e32 v80, 0
	v_mov_b32_e32 v91, 0
	v_mov_b64_e32 v[46:47], v[78:79]
                                        ; implicit-def: $sgpr56_sgpr57
                                        ; implicit-def: $vgpr52_vgpr53
	s_and_saveexec_b64 s[30:31], vcc
	s_cbranch_execz .LBB139_62
; %bb.59:
	ds_read2_b64 v[46:49], v36 offset0:11 offset1:12
	v_add_u32_e32 v4, 12, v37
	v_cmp_ne_u64_e32 vcc, v[58:59], v[60:61]
	v_mov_b32_e32 v80, 0
	v_mov_b64_e32 v[78:79], 0
	v_cndmask_b32_e64 v91, 0, 1, vcc
	v_cmp_gt_u32_e32 vcc, s65, v4
                                        ; implicit-def: $sgpr52_sgpr53
                                        ; implicit-def: $vgpr52_vgpr53
	s_and_saveexec_b64 s[56:57], vcc
	s_xor_b64 s[56:57], exec, s[56:57]
	s_cbranch_execz .LBB139_61
; %bb.60:
	ds_read_b64 v[52:53], v36 offset:104
	v_add_u32_e32 v4, 13, v37
	v_cmp_ne_u64_e64 s[4:5], v[60:61], v[54:55]
	v_cmp_ne_u64_e32 vcc, v[54:55], v[56:57]
	s_and_b64 s[52:53], vcc, exec
	v_cndmask_b32_e64 v80, 0, 1, s[4:5]
	v_cmp_gt_u32_e64 s[4:5], s65, v4
	s_and_b64 s[4:5], s[4:5], exec
	s_waitcnt lgkmcnt(1)
	v_mov_b64_e32 v[50:51], v[48:49]
	v_mov_b64_e32 v[78:79], v[48:49]
.LBB139_61:
	s_or_b64 exec, exec, s[56:57]
	s_and_b64 s[56:57], s[52:53], exec
	s_and_b64 s[52:53], s[4:5], exec
.LBB139_62:
	s_or_b64 exec, exec, s[30:31]
	s_and_b64 s[30:31], s[56:57], exec
	s_and_b64 s[4:5], s[52:53], exec
	s_waitcnt lgkmcnt(0)
	v_mov_b64_e32 v[36:37], v[46:47]
	v_mov_b64_e32 v[28:29], v[42:43]
	;; [unrolled: 1-line block ×6, first 2 shown]
.LBB139_63:
	s_or_b64 exec, exec, s[28:29]
	s_and_b64 s[30:31], s[30:31], exec
	s_and_b64 s[28:29], s[4:5], exec
.LBB139_64:
	s_or_b64 exec, exec, s[26:27]
	s_and_b64 s[26:27], s[30:31], exec
	s_and_b64 s[4:5], s[28:29], exec
.LBB139_65:
	s_or_b64 exec, exec, s[24:25]
	s_and_b64 s[26:27], s[26:27], exec
	s_and_b64 s[24:25], s[4:5], exec
.LBB139_66:
	s_or_b64 exec, exec, s[22:23]
	s_and_b64 s[22:23], s[26:27], exec
	s_and_b64 s[4:5], s[24:25], exec
.LBB139_67:
	s_or_b64 exec, exec, s[20:21]
	s_and_b64 s[22:23], s[22:23], exec
	s_and_b64 s[20:21], s[4:5], exec
.LBB139_68:
	s_or_b64 exec, exec, s[18:19]
	s_and_b64 s[18:19], s[22:23], exec
	s_and_b64 s[4:5], s[20:21], exec
.LBB139_69:
	s_or_b64 exec, exec, s[16:17]
	s_and_b64 s[18:19], s[18:19], exec
	s_and_b64 s[16:17], s[4:5], exec
.LBB139_70:
	s_or_b64 exec, exec, s[14:15]
	s_and_b64 s[14:15], s[18:19], exec
	s_and_b64 s[4:5], s[16:17], exec
.LBB139_71:
	s_or_b64 exec, exec, s[12:13]
	s_and_b64 s[14:15], s[14:15], exec
	s_and_b64 s[12:13], s[4:5], exec
.LBB139_72:
	s_or_b64 exec, exec, s[10:11]
	s_and_b64 s[10:11], s[14:15], exec
	s_and_b64 s[12:13], s[12:13], exec
.LBB139_73:
	s_or_b64 exec, exec, s[8:9]
	s_mov_b64 s[8:9], 0
	s_and_b64 vcc, exec, s[6:7]
	s_waitcnt lgkmcnt(0)
	v_lshlrev_b32_e32 v40, 3, v0
	v_cmp_ne_u32_e64 s[4:5], 0, v0
	s_cbranch_vccnz .LBB139_75
	s_branch .LBB139_78
.LBB139_74:
                                        ; implicit-def: $sgpr10_sgpr11
                                        ; implicit-def: $vgpr52_vgpr53
                                        ; implicit-def: $vgpr80
                                        ; implicit-def: $vgpr91
                                        ; implicit-def: $vgpr36_vgpr37
                                        ; implicit-def: $vgpr90
                                        ; implicit-def: $vgpr89
                                        ; implicit-def: $vgpr28_vgpr29
                                        ; implicit-def: $vgpr88
                                        ; implicit-def: $vgpr87
                                        ; implicit-def: $vgpr20_vgpr21
                                        ; implicit-def: $vgpr86
                                        ; implicit-def: $vgpr85
                                        ; implicit-def: $vgpr12_vgpr13
                                        ; implicit-def: $vgpr84
                                        ; implicit-def: $vgpr83
                                        ; implicit-def: $vgpr8_vgpr9
                                        ; implicit-def: $vgpr81
                                        ; implicit-def: $vgpr82
                                        ; implicit-def: $vgpr4_vgpr5
                                        ; implicit-def: $vgpr1
                                        ; implicit-def: $sgpr64
                                        ; implicit-def: $sgpr8_sgpr9
                                        ; implicit-def: $vgpr78_vgpr79
                                        ; implicit-def: $vgpr46_vgpr47
                                        ; implicit-def: $vgpr42_vgpr43
                                        ; implicit-def: $vgpr38_vgpr39
                                        ; implicit-def: $vgpr30_vgpr31
                                        ; implicit-def: $vgpr22_vgpr23
                                        ; implicit-def: $vgpr14_vgpr15
	s_and_b64 vcc, exec, s[6:7]
	v_lshlrev_b32_e32 v40, 3, v0
	v_cmp_ne_u32_e64 s[4:5], 0, v0
	s_cbranch_vccz .LBB139_78
.LBB139_75:
	v_mov_b32_e32 v1, s43
	v_sub_co_u32_e32 v34, vcc, s3, v40
	s_add_u32 s8, s3, -8
	s_nop 0
	v_subbrev_co_u32_e32 v1, vcc, 0, v1, vcc
	v_add_co_u32_e32 v2, vcc, -8, v34
	s_addc_u32 s9, s43, -1
	s_nop 0
	v_addc_co_u32_e32 v3, vcc, -1, v1, vcc
	v_add_co_u32_e32 v4, vcc, 0xfffff7f8, v34
	s_lshl_b64 s[6:7], s[48:49], 3
	s_nop 0
	v_addc_co_u32_e32 v5, vcc, -1, v1, vcc
	v_add_co_u32_e32 v6, vcc, 0xffffeff8, v34
	s_add_u32 s6, s58, s6
	s_nop 0
	v_addc_co_u32_e32 v7, vcc, -1, v1, vcc
	v_add_co_u32_e32 v8, vcc, 0xffffe7f8, v34
	s_addc_u32 s7, s59, s7
	s_nop 0
	v_addc_co_u32_e32 v9, vcc, -1, v1, vcc
	flat_load_dwordx2 v[10:11], v[2:3]
	flat_load_dwordx2 v[12:13], v[4:5]
	;; [unrolled: 1-line block ×4, first 2 shown]
	v_add_co_u32_e32 v2, vcc, 0xffffdff8, v34
	s_add_u32 s10, s6, -8
	s_nop 0
	v_addc_co_u32_e32 v3, vcc, -1, v1, vcc
	v_add_co_u32_e32 v4, vcc, 0xffffd7f8, v34
	s_addc_u32 s11, s7, -1
	s_nop 0
	v_addc_co_u32_e32 v5, vcc, -1, v1, vcc
	v_add_co_u32_e32 v6, vcc, 0xffffcff8, v34
	s_and_b64 s[6:7], s[46:47], exec
	s_nop 0
	v_addc_co_u32_e32 v7, vcc, -1, v1, vcc
	v_add_co_u32_e32 v8, vcc, 0xffffc7f8, v34
	s_cselect_b32 s3, s3, s10
	s_nop 0
	v_addc_co_u32_e32 v9, vcc, -1, v1, vcc
	flat_load_dwordx2 v[18:19], v[2:3]
	flat_load_dwordx2 v[20:21], v[4:5]
	;; [unrolled: 1-line block ×4, first 2 shown]
	v_add_co_u32_e32 v2, vcc, 0xffffbff8, v34
	s_cselect_b32 s6, s43, s11
	s_nop 0
	v_addc_co_u32_e32 v3, vcc, -1, v1, vcc
	v_add_co_u32_e32 v4, vcc, 0xffffb7f8, v34
	s_cmp_eq_u64 s[48:49], 0
	s_nop 0
	v_addc_co_u32_e32 v5, vcc, -1, v1, vcc
	v_add_co_u32_e32 v6, vcc, 0xffffaff8, v34
	s_cselect_b32 s6, s9, s6
	s_nop 0
	v_addc_co_u32_e32 v7, vcc, -1, v1, vcc
	v_add_co_u32_e32 v8, vcc, 0xffffa7f8, v34
	s_cselect_b32 s3, s8, s3
	s_nop 0
	v_addc_co_u32_e32 v9, vcc, -1, v1, vcc
	flat_load_dwordx2 v[26:27], v[2:3]
	flat_load_dwordx2 v[28:29], v[4:5]
	;; [unrolled: 1-line block ×4, first 2 shown]
	v_add_co_u32_e32 v2, vcc, 0xffff9ff8, v34
	s_movk_i32 s13, 0xf7f8
	s_nop 0
	v_addc_co_u32_e32 v3, vcc, -1, v1, vcc
	v_add_co_u32_e32 v4, vcc, 0xffff97f8, v34
	s_movk_i32 s12, 0xe7f8
	s_nop 0
	v_addc_co_u32_e32 v5, vcc, -1, v1, vcc
	flat_load_dwordx2 v[6:7], v[2:3]
	flat_load_dwordx2 v[8:9], v[4:5]
	v_mov_b32_e32 v2, s3
	v_mov_b32_e32 v3, s6
	s_movk_i32 s11, 0xd7f8
	s_movk_i32 s10, 0xc7f8
	s_movk_i32 s9, 0xb7f8
	s_movk_i32 s8, 0xa7f8
	s_movk_i32 s3, 0x97f8
	s_waitcnt vmcnt(0) lgkmcnt(0)
	ds_write2st64_b64 v40, v[10:11], v[12:13] offset1:4
	ds_write2st64_b64 v40, v[14:15], v[16:17] offset0:8 offset1:12
	ds_write2st64_b64 v40, v[18:19], v[20:21] offset0:16 offset1:20
	;; [unrolled: 1-line block ×6, first 2 shown]
	s_waitcnt lgkmcnt(0)
	s_barrier
	flat_load_dwordx2 v[30:31], v[2:3]
	v_sub_co_u32_e32 v32, vcc, 0, v0
	s_nop 1
	v_subb_co_u32_e64 v33, s[6:7], 0, 0, vcc
	s_movk_i32 s6, 0x68
	s_nop 0
	v_mad_u32_u24 v1, v0, s6, v40
	ds_read_b128 v[14:17], v1
	ds_read_b128 v[2:5], v1 offset:16
	ds_read_b128 v[6:9], v1 offset:32
	;; [unrolled: 1-line block ×6, first 2 shown]
	s_movk_i32 s6, 0xff98
	v_mad_i32_i24 v34, v0, s6, v1
	s_waitcnt lgkmcnt(0)
	ds_write_b64 v34, v[28:29] offset:28672
	s_waitcnt lgkmcnt(0)
	s_barrier
	s_and_saveexec_b64 s[6:7], s[4:5]
	s_cbranch_execz .LBB139_77
; %bb.76:
	s_waitcnt vmcnt(0)
	v_mul_i32_i24_e32 v30, 0xffffff98, v0
	v_add_u32_e32 v30, v1, v30
	ds_read_b64 v[30:31], v30 offset:28664
.LBB139_77:
	s_or_b64 exec, exec, s[6:7]
	v_lshl_add_u64 v[32:33], v[32:33], 3, s[34:35]
	v_add_co_u32_e32 v34, vcc, s13, v32
	s_waitcnt lgkmcnt(0)
	s_nop 0
	v_addc_co_u32_e32 v35, vcc, -1, v33, vcc
	v_add_co_u32_e32 v36, vcc, s12, v32
	s_barrier
	s_nop 0
	v_addc_co_u32_e32 v37, vcc, -1, v33, vcc
	flat_load_dwordx2 v[38:39], v[36:37] offset:2048
	flat_load_dwordx2 v[42:43], v[36:37]
	flat_load_dwordx2 v[44:45], v[34:35] offset:2048
	flat_load_dwordx2 v[46:47], v[34:35]
	v_add_co_u32_e32 v34, vcc, s11, v32
	s_mov_b64 s[12:13], -1
	s_nop 0
	v_addc_co_u32_e32 v35, vcc, -1, v33, vcc
	v_add_co_u32_e32 v36, vcc, s10, v32
	v_cmp_ne_u64_e64 s[10:11], v[26:27], v[28:29]
	s_nop 0
	v_addc_co_u32_e32 v37, vcc, -1, v33, vcc
	flat_load_dwordx2 v[48:49], v[36:37] offset:2048
	flat_load_dwordx2 v[50:51], v[36:37]
	flat_load_dwordx2 v[52:53], v[34:35] offset:2048
	flat_load_dwordx2 v[54:55], v[34:35]
	v_add_co_u32_e32 v34, vcc, s9, v32
                                        ; implicit-def: $sgpr64
                                        ; implicit-def: $vgpr78_vgpr79
	s_nop 1
	v_addc_co_u32_e32 v35, vcc, -1, v33, vcc
	v_add_co_u32_e32 v36, vcc, s8, v32
                                        ; implicit-def: $sgpr8_sgpr9
	s_nop 1
	v_addc_co_u32_e32 v37, vcc, -1, v33, vcc
	v_add_co_u32_e32 v32, vcc, s3, v32
	flat_load_dwordx2 v[56:57], v[36:37] offset:2048
	flat_load_dwordx2 v[58:59], v[36:37]
	flat_load_dwordx2 v[60:61], v[34:35] offset:2048
	flat_load_dwordx2 v[62:63], v[34:35]
	v_addc_co_u32_e32 v33, vcc, -1, v33, vcc
	flat_load_dwordx2 v[34:35], v[32:33] offset:2048
	flat_load_dwordx2 v[36:37], v[32:33]
	v_cmp_ne_u64_e32 vcc, v[24:25], v[26:27]
	s_waitcnt vmcnt(0) lgkmcnt(0)
	ds_write2st64_b64 v40, v[44:45], v[46:47] offset1:4
	ds_write2st64_b64 v40, v[38:39], v[42:43] offset0:8 offset1:12
	ds_write2st64_b64 v40, v[52:53], v[54:55] offset0:16 offset1:20
	;; [unrolled: 1-line block ×6, first 2 shown]
	v_cndmask_b32_e64 v80, 0, 1, vcc
	v_cmp_ne_u64_e32 vcc, v[22:23], v[24:25]
	s_waitcnt lgkmcnt(0)
	s_barrier
	v_cndmask_b32_e64 v91, 0, 1, vcc
	v_cmp_ne_u64_e32 vcc, v[20:21], v[22:23]
	s_waitcnt lgkmcnt(0)
                                        ; implicit-def: $vgpr46_vgpr47
                                        ; implicit-def: $vgpr42_vgpr43
                                        ; implicit-def: $vgpr38_vgpr39
                                        ; implicit-def: $vgpr22_vgpr23
	s_nop 0
	v_cndmask_b32_e64 v90, 0, 1, vcc
	v_cmp_ne_u64_e32 vcc, v[18:19], v[20:21]
	s_nop 1
	v_cndmask_b32_e64 v89, 0, 1, vcc
	v_cmp_ne_u64_e32 vcc, v[12:13], v[18:19]
	;; [unrolled: 3-line block ×8, first 2 shown]
	ds_read_b128 v[2:5], v1
	ds_read_b128 v[6:9], v1 offset:16
	ds_read_b128 v[10:13], v1 offset:32
	;; [unrolled: 1-line block ×6, first 2 shown]
	v_cndmask_b32_e64 v81, 0, 1, vcc
	v_cmp_ne_u64_e32 vcc, v[14:15], v[16:17]
	s_nop 1
	v_cndmask_b32_e64 v82, 0, 1, vcc
	v_cmp_ne_u64_e32 vcc, v[30:31], v[14:15]
                                        ; implicit-def: $vgpr30_vgpr31
                                        ; implicit-def: $vgpr14_vgpr15
	s_nop 1
	v_cndmask_b32_e64 v1, 0, 1, vcc
.LBB139_78:
	v_mov_b64_e32 v[16:17], s[8:9]
	v_mov_b32_e32 v32, s64
	s_and_saveexec_b64 s[4:5], s[12:13]
	s_cbranch_execz .LBB139_80
; %bb.79:
	v_cndmask_b32_e64 v32, 0, 1, s[10:11]
	s_waitcnt lgkmcnt(6)
	v_mov_b64_e32 v[14:15], v[4:5]
	s_waitcnt lgkmcnt(5)
	v_mov_b64_e32 v[22:23], v[8:9]
	;; [unrolled: 2-line block ×7, first 2 shown]
	v_mov_b64_e32 v[16:17], v[52:53]
.LBB139_80:
	s_or_b64 exec, exec, s[4:5]
	s_waitcnt lgkmcnt(6)
	v_or_b32_e32 v4, v32, v80
	s_cmp_lg_u32 s2, 0
	s_waitcnt lgkmcnt(1)
	v_or_b32_e32 v36, v4, v91
	v_mbcnt_lo_u32_b32 v33, -1, 0
	s_waitcnt lgkmcnt(0)
	s_barrier
	s_cbranch_scc0 .LBB139_159
; %bb.81:
	v_mov_b32_e32 v8, 0
	v_cmp_gt_i64_e32 vcc, v[14:15], v[2:3]
	v_cmp_eq_u16_sdwa s[30:31], v82, v8 src0_sel:BYTE_0 src1_sel:DWORD
	v_cmp_eq_u16_sdwa s[4:5], v81, v8 src0_sel:BYTE_0 src1_sel:DWORD
	v_cndmask_b32_e32 v4, v2, v14, vcc
	v_cndmask_b32_e32 v5, v3, v15, vcc
	v_cndmask_b32_e64 v5, v15, v5, s[30:31]
	v_cndmask_b32_e64 v4, v14, v4, s[30:31]
	v_cmp_gt_i64_e32 vcc, v[6:7], v[4:5]
	v_cmp_eq_u16_sdwa s[6:7], v83, v8 src0_sel:BYTE_0 src1_sel:DWORD
	v_cmp_eq_u16_sdwa s[8:9], v84, v8 src0_sel:BYTE_0 src1_sel:DWORD
	v_cndmask_b32_e32 v4, v4, v6, vcc
	v_cndmask_b32_e32 v5, v5, v7, vcc
	v_cndmask_b32_e64 v5, v7, v5, s[4:5]
	v_cndmask_b32_e64 v4, v6, v4, s[4:5]
	v_cmp_gt_i64_e32 vcc, v[22:23], v[4:5]
	v_cmp_eq_u16_sdwa s[10:11], v85, v8 src0_sel:BYTE_0 src1_sel:DWORD
	v_cmp_eq_u16_sdwa s[12:13], v86, v8 src0_sel:BYTE_0 src1_sel:DWORD
	v_cndmask_b32_e32 v4, v4, v22, vcc
	v_cndmask_b32_e32 v5, v5, v23, vcc
	v_cndmask_b32_e64 v5, v23, v5, s[6:7]
	v_cndmask_b32_e64 v4, v22, v4, s[6:7]
	v_cmp_gt_i64_e32 vcc, v[10:11], v[4:5]
	v_cmp_eq_u16_sdwa s[14:15], v87, v8 src0_sel:BYTE_0 src1_sel:DWORD
	v_cmp_eq_u16_sdwa s[16:17], v88, v8 src0_sel:BYTE_0 src1_sel:DWORD
	v_cndmask_b32_e32 v4, v4, v10, vcc
	v_cndmask_b32_e32 v5, v5, v11, vcc
	v_cndmask_b32_e64 v5, v11, v5, s[8:9]
	v_cndmask_b32_e64 v4, v10, v4, s[8:9]
	v_cmp_gt_i64_e32 vcc, v[30:31], v[4:5]
	v_cmp_eq_u16_sdwa s[18:19], v89, v8 src0_sel:BYTE_0 src1_sel:DWORD
	v_cmp_eq_u16_sdwa s[20:21], v90, v8 src0_sel:BYTE_0 src1_sel:DWORD
	v_cndmask_b32_e32 v4, v4, v30, vcc
	v_cndmask_b32_e32 v5, v5, v31, vcc
	v_cndmask_b32_e64 v5, v31, v5, s[10:11]
	v_cndmask_b32_e64 v4, v30, v4, s[10:11]
	v_cmp_gt_i64_e32 vcc, v[18:19], v[4:5]
	v_cmp_eq_u16_sdwa s[22:23], v91, v8 src0_sel:BYTE_0 src1_sel:DWORD
	v_cmp_eq_u16_sdwa s[24:25], v80, v8 src0_sel:BYTE_0 src1_sel:DWORD
	v_cndmask_b32_e32 v4, v4, v18, vcc
	v_cndmask_b32_e32 v5, v5, v19, vcc
	v_cndmask_b32_e64 v5, v19, v5, s[12:13]
	v_cndmask_b32_e64 v4, v18, v4, s[12:13]
	v_cmp_gt_i64_e32 vcc, v[38:39], v[4:5]
	v_cmp_eq_u16_sdwa s[26:27], v32, v8 src0_sel:BYTE_0 src1_sel:DWORD
	v_and_b32_e32 v12, 0xff, v1
	v_cndmask_b32_e32 v4, v4, v38, vcc
	v_cndmask_b32_e32 v5, v5, v39, vcc
	v_cndmask_b32_e64 v5, v39, v5, s[14:15]
	v_cndmask_b32_e64 v4, v38, v4, s[14:15]
	v_cmp_gt_i64_e32 vcc, v[26:27], v[4:5]
	v_mbcnt_hi_u32_b32 v28, -1, v33
	s_nop 0
	v_cndmask_b32_e32 v4, v4, v26, vcc
	v_cndmask_b32_e32 v5, v5, v27, vcc
	v_cndmask_b32_e64 v5, v27, v5, s[16:17]
	v_cndmask_b32_e64 v4, v26, v4, s[16:17]
	v_cmp_gt_i64_e32 vcc, v[42:43], v[4:5]
	s_nop 1
	v_cndmask_b32_e32 v4, v4, v42, vcc
	v_cndmask_b32_e32 v5, v5, v43, vcc
	v_cndmask_b32_e64 v5, v43, v5, s[18:19]
	v_cndmask_b32_e64 v4, v42, v4, s[18:19]
	v_cmp_gt_i64_e32 vcc, v[34:35], v[4:5]
	;; [unrolled: 6-line block ×5, first 2 shown]
	s_nop 1
	v_cndmask_b32_e32 v4, v4, v16, vcc
	v_cndmask_b32_e64 v8, v16, v4, s[26:27]
	v_or_b32_e32 v4, v36, v90
	v_or_b32_e32 v4, v4, v89
	v_or_b32_e32 v4, v4, v88
	v_or_b32_e32 v4, v4, v87
	v_or_b32_e32 v4, v4, v86
	v_or_b32_e32 v4, v4, v85
	v_or_b32_e32 v4, v4, v84
	v_or_b32_e32 v4, v4, v83
	v_or_b32_e32 v4, v4, v81
	v_or_b32_e32 v4, v4, v82
	v_and_b32_e32 v4, 1, v4
	v_cndmask_b32_e32 v5, v5, v17, vcc
	v_cmp_eq_u32_e32 vcc, 1, v4
	v_cndmask_b32_e64 v9, v17, v5, s[26:27]
	v_mov_b32_dpp v4, v8 row_shr:1 row_mask:0xf bank_mask:0xf
	v_cndmask_b32_e64 v20, v12, 1, vcc
	v_and_b32_e32 v12, 15, v28
	v_mov_b32_dpp v5, v9 row_shr:1 row_mask:0xf bank_mask:0xf
	v_mov_b32_dpp v13, v20 row_shr:1 row_mask:0xf bank_mask:0xf
	v_cmp_ne_u32_e32 vcc, 0, v12
	s_and_saveexec_b64 s[28:29], vcc
; %bb.82:
	v_cmp_gt_i64_e32 vcc, v[8:9], v[4:5]
	s_nop 1
	v_cndmask_b32_e32 v4, v4, v8, vcc
	v_cndmask_b32_e32 v5, v5, v9, vcc
	v_cmp_eq_u32_e32 vcc, 0, v20
	v_and_or_b32 v20, v13, 1, v20
	s_nop 0
	v_cndmask_b32_e32 v9, v9, v5, vcc
	v_cndmask_b32_e32 v8, v8, v4, vcc
; %bb.83:
	s_or_b64 exec, exec, s[28:29]
	s_nop 0
	v_mov_b32_dpp v4, v8 row_shr:2 row_mask:0xf bank_mask:0xf
	v_mov_b32_dpp v5, v9 row_shr:2 row_mask:0xf bank_mask:0xf
	v_mov_b32_dpp v13, v20 row_shr:2 row_mask:0xf bank_mask:0xf
	v_cmp_lt_u32_e32 vcc, 1, v12
	s_and_saveexec_b64 s[28:29], vcc
; %bb.84:
	v_cmp_gt_i64_e32 vcc, v[8:9], v[4:5]
	s_nop 1
	v_cndmask_b32_e32 v4, v4, v8, vcc
	v_cndmask_b32_e32 v5, v5, v9, vcc
	v_cmp_eq_u32_e32 vcc, 0, v20
	s_nop 1
	v_cndmask_b32_e32 v8, v8, v4, vcc
	v_or_b32_e32 v4, v13, v20
	v_cndmask_b32_e32 v9, v9, v5, vcc
	v_and_b32_e32 v20, 1, v4
; %bb.85:
	s_or_b64 exec, exec, s[28:29]
	v_mov_b32_dpp v4, v8 row_shr:4 row_mask:0xf bank_mask:0xf
	v_mov_b32_dpp v5, v9 row_shr:4 row_mask:0xf bank_mask:0xf
	v_mov_b32_dpp v13, v20 row_shr:4 row_mask:0xf bank_mask:0xf
	v_cmp_lt_u32_e32 vcc, 3, v12
	s_and_saveexec_b64 s[28:29], vcc
; %bb.86:
	v_cmp_gt_i64_e32 vcc, v[8:9], v[4:5]
	s_nop 1
	v_cndmask_b32_e32 v4, v4, v8, vcc
	v_cndmask_b32_e32 v5, v5, v9, vcc
	v_cmp_eq_u32_e32 vcc, 0, v20
	s_nop 1
	v_cndmask_b32_e32 v8, v8, v4, vcc
	v_or_b32_e32 v4, v13, v20
	v_cndmask_b32_e32 v9, v9, v5, vcc
	v_and_b32_e32 v20, 1, v4
; %bb.87:
	s_or_b64 exec, exec, s[28:29]
	;; [unrolled: 18-line block ×3, first 2 shown]
	v_and_b32_e32 v13, 16, v28
	v_mov_b32_dpp v4, v8 row_bcast:15 row_mask:0xf bank_mask:0xf
	v_mov_b32_dpp v5, v9 row_bcast:15 row_mask:0xf bank_mask:0xf
	;; [unrolled: 1-line block ×3, first 2 shown]
	v_cmp_ne_u32_e32 vcc, 0, v13
	s_and_saveexec_b64 s[28:29], vcc
; %bb.90:
	v_cmp_gt_i64_e32 vcc, v[8:9], v[4:5]
	s_nop 1
	v_cndmask_b32_e32 v4, v4, v8, vcc
	v_cndmask_b32_e32 v5, v5, v9, vcc
	v_cmp_eq_u32_e32 vcc, 0, v20
	s_nop 1
	v_cndmask_b32_e32 v8, v8, v4, vcc
	v_or_b32_e32 v4, v12, v20
	v_cndmask_b32_e32 v9, v9, v5, vcc
	v_and_b32_e32 v20, 1, v4
; %bb.91:
	s_or_b64 exec, exec, s[28:29]
	v_mov_b32_dpp v4, v8 row_bcast:31 row_mask:0xf bank_mask:0xf
	v_mov_b32_dpp v5, v9 row_bcast:31 row_mask:0xf bank_mask:0xf
	;; [unrolled: 1-line block ×3, first 2 shown]
	v_cmp_lt_u32_e32 vcc, 31, v28
	v_mov_b32_e32 v12, v20
	s_and_saveexec_b64 s[28:29], vcc
; %bb.92:
	v_cmp_gt_i64_e32 vcc, v[8:9], v[4:5]
	s_nop 1
	v_cndmask_b32_e32 v4, v4, v8, vcc
	v_cndmask_b32_e32 v5, v5, v9, vcc
	v_cmp_eq_u32_e32 vcc, 0, v20
	s_nop 1
	v_cndmask_b32_e32 v8, v8, v4, vcc
	v_or_b32_e32 v4, v13, v20
	v_cndmask_b32_e32 v9, v9, v5, vcc
	v_and_b32_e32 v12, 1, v4
	v_and_b32_e32 v20, 1, v4
; %bb.93:
	s_or_b64 exec, exec, s[28:29]
	v_or_b32_e32 v4, 63, v0
	v_lshrrev_b32_e32 v21, 6, v0
	v_cmp_eq_u32_e32 vcc, v4, v0
	s_and_saveexec_b64 s[28:29], vcc
	s_cbranch_execz .LBB139_95
; %bb.94:
	v_lshlrev_b32_e32 v4, 4, v21
	ds_write_b64 v4, v[8:9]
	ds_write_b8 v4, v12 offset:8
.LBB139_95:
	s_or_b64 exec, exec, s[28:29]
	v_cmp_gt_u32_e32 vcc, 4, v0
	s_waitcnt lgkmcnt(0)
	s_barrier
	s_and_saveexec_b64 s[34:35], vcc
	s_cbranch_execz .LBB139_101
; %bb.96:
	v_lshlrev_b32_e32 v24, 4, v0
	ds_read_b64 v[4:5], v24
	ds_read_b32 v25, v24 offset:8
	v_and_b32_e32 v29, 3, v28
	v_cmp_ne_u32_e32 vcc, 0, v29
	s_waitcnt lgkmcnt(1)
	v_mov_b32_dpp v12, v4 row_shr:1 row_mask:0xf bank_mask:0xf
	v_mov_b32_dpp v13, v5 row_shr:1 row_mask:0xf bank_mask:0xf
	s_waitcnt lgkmcnt(0)
	v_mov_b32_dpp v44, v25 row_shr:1 row_mask:0xf bank_mask:0xf
	v_mov_b32_e32 v41, v25
	v_mov_b32_e32 v37, v25
	s_and_saveexec_b64 s[28:29], vcc
	s_cbranch_execz .LBB139_98
; %bb.97:
	v_mov_b32_e32 v37, 0
	v_cmp_gt_i64_e32 vcc, v[4:5], v[12:13]
	s_movk_i32 s3, 0xff00
	s_nop 0
	v_cndmask_b32_e32 v12, v12, v4, vcc
	v_cndmask_b32_e32 v13, v13, v5, vcc
	v_cmp_eq_u16_sdwa vcc, v25, v37 src0_sel:BYTE_0 src1_sel:DWORD
	s_nop 1
	v_cndmask_b32_e32 v4, v4, v12, vcc
	v_or_b32_e32 v12, v44, v25
	v_and_b32_e32 v37, 1, v12
	v_cndmask_b32_e32 v5, v5, v13, vcc
	v_and_b32_e32 v41, 1, v12
	v_and_or_b32 v25, v25, s3, v37
.LBB139_98:
	s_or_b64 exec, exec, s[28:29]
	v_mov_b32_dpp v12, v4 row_shr:2 row_mask:0xf bank_mask:0xf
	v_mov_b32_dpp v13, v5 row_shr:2 row_mask:0xf bank_mask:0xf
	;; [unrolled: 1-line block ×3, first 2 shown]
	v_cmp_lt_u32_e32 vcc, 1, v29
	s_and_saveexec_b64 s[46:47], vcc
	s_cbranch_execz .LBB139_100
; %bb.99:
	v_mov_b32_e32 v29, 0
	v_cmp_gt_i64_e32 vcc, v[4:5], v[12:13]
	s_nop 1
	v_cndmask_b32_e32 v12, v12, v4, vcc
	v_cndmask_b32_e32 v13, v13, v5, vcc
	v_cmp_eq_u16_sdwa vcc, v37, v29 src0_sel:BYTE_0 src1_sel:DWORD
	s_nop 1
	v_cndmask_b32_e32 v4, v4, v12, vcc
	v_and_b32_e32 v12, 1, v37
	v_cndmask_b32_e32 v5, v5, v13, vcc
	v_cmp_eq_u32_e32 vcc, 1, v12
	v_and_b32_e32 v12, 1, v25
	v_cmp_eq_u32_e64 s[28:29], 1, v12
	s_or_b64 s[28:29], vcc, s[28:29]
	s_nop 0
	v_cndmask_b32_e64 v41, 0, 1, s[28:29]
.LBB139_100:
	s_or_b64 exec, exec, s[46:47]
	ds_write_b64 v24, v[4:5]
	ds_write_b8 v24, v41 offset:8
.LBB139_101:
	s_or_b64 exec, exec, s[34:35]
	v_cmp_gt_u32_e32 vcc, 64, v0
	v_cmp_lt_u32_e64 s[28:29], 63, v0
	v_mov_b32_e32 v37, 0
	v_mov_b64_e32 v[4:5], 0
	s_waitcnt lgkmcnt(0)
	s_barrier
	s_and_saveexec_b64 s[34:35], s[28:29]
	s_cbranch_execz .LBB139_103
; %bb.102:
	v_lshl_add_u32 v12, v21, 4, -16
	ds_read_b64 v[4:5], v12
	ds_read_u8 v37, v12 offset:8
	s_waitcnt lgkmcnt(1)
	v_cmp_gt_i64_e64 s[28:29], v[8:9], v[4:5]
	s_nop 1
	v_cndmask_b32_e64 v12, v4, v8, s[28:29]
	v_cndmask_b32_e64 v13, v5, v9, s[28:29]
	v_cmp_eq_u32_e64 s[28:29], 0, v20
	s_nop 1
	v_cndmask_b32_e64 v8, v8, v12, s[28:29]
	v_and_b32_e32 v12, 1, v20
	v_cndmask_b32_e64 v9, v9, v13, s[28:29]
	v_cmp_eq_u32_e64 s[28:29], 1, v12
	s_waitcnt lgkmcnt(0)
	s_nop 0
	v_cndmask_b32_e64 v20, v37, 1, s[28:29]
.LBB139_103:
	s_or_b64 exec, exec, s[34:35]
	v_add_u32_e32 v12, -1, v28
	v_and_b32_e32 v13, 64, v28
	v_cmp_lt_i32_e64 s[28:29], v12, v13
	s_nop 1
	v_cndmask_b32_e64 v12, v12, v28, s[28:29]
	v_lshlrev_b32_e32 v12, 2, v12
	ds_bpermute_b32 v41, v12, v8
	ds_bpermute_b32 v44, v12, v9
	;; [unrolled: 1-line block ×3, first 2 shown]
	v_cmp_eq_u32_e64 s[28:29], 0, v28
	s_and_saveexec_b64 s[46:47], vcc
	s_cbranch_execz .LBB139_146
; %bb.104:
	v_mov_b32_e32 v13, 0
	ds_read2_b64 v[48:51], v13 offset0:6 offset1:7
	s_and_saveexec_b64 s[34:35], s[28:29]
	s_cbranch_execz .LBB139_106
; %bb.105:
	s_add_i32 s48, s2, 64
	s_mov_b32 s49, 0
	s_lshl_b64 s[52:53], s[48:49], 4
	s_add_u32 s52, s36, s52
	s_addc_u32 s53, s37, s53
	v_mov_b32_e32 v8, s48
	v_mov_b32_e32 v9, 1
	s_waitcnt lgkmcnt(0)
	global_store_dword v13, v48, s[52:53] sc1
	global_store_dword v13, v49, s[52:53] offset:4 sc1
	global_store_dword v13, v50, s[52:53] offset:8 sc1
	;; [unrolled: 1-line block ×3, first 2 shown]
	s_waitcnt vmcnt(0)
	global_store_byte v8, v9, s[40:41] sc1
.LBB139_106:
	s_or_b64 exec, exec, s[34:35]
	v_xad_u32 v8, v28, -1, s2
	v_add_u32_e32 v12, 64, v8
	s_waitcnt lgkmcnt(0)
	global_load_ubyte v51, v12, s[40:41] sc1
	s_waitcnt vmcnt(0)
	v_cmp_eq_u16_e32 vcc, 0, v51
	s_and_saveexec_b64 s[34:35], vcc
	s_cbranch_execz .LBB139_110
; %bb.107:
	v_lshl_add_u64 v[20:21], s[40:41], 0, v[12:13]
	s_mov_b64 s[48:49], 0
.LBB139_108:                            ; =>This Inner Loop Header: Depth=1
	global_load_ubyte v51, v[20:21], off sc1
	s_waitcnt vmcnt(0)
	v_cmp_ne_u16_e32 vcc, 0, v51
	s_or_b64 s[48:49], vcc, s[48:49]
	s_andn2_b64 exec, exec, s[48:49]
	s_cbranch_execnz .LBB139_108
; %bb.109:
	s_or_b64 exec, exec, s[48:49]
.LBB139_110:
	s_or_b64 exec, exec, s[34:35]
	v_mov_b32_e32 v9, s39
	v_mov_b32_e32 v20, s37
	v_cmp_eq_u16_e32 vcc, 1, v51
	s_waitcnt vmcnt(0)
	s_nop 0
	v_cndmask_b32_e32 v21, v9, v20, vcc
	v_mov_b32_e32 v9, s38
	v_mov_b32_e32 v20, s36
	v_cndmask_b32_e32 v20, v9, v20, vcc
	v_lshl_add_u64 v[12:13], v[12:13], 4, v[20:21]
	global_load_dword v24, v[12:13], off sc1
	global_load_dword v25, v[12:13], off offset:4 sc1
	global_load_dword v29, v[12:13], off offset:8 sc1
	;; [unrolled: 1-line block ×3, first 2 shown]
	v_cmp_eq_u16_e32 vcc, 2, v51
	v_lshlrev_b64 v[12:13], v28, -1
	v_and_b32_e32 v52, 63, v28
	s_waitcnt vmcnt(0)
	v_and_b32_e32 v9, vcc_hi, v13
	v_and_b32_e32 v55, vcc_lo, v12
	v_cmp_ne_u32_e32 vcc, 63, v52
	v_or_b32_e32 v9, 0x80000000, v9
	v_ffbl_b32_e32 v9, v9
	v_addc_co_u32_e32 v20, vcc, 0, v28, vcc
	v_lshlrev_b32_e32 v53, 2, v20
	v_add_u32_e32 v9, 32, v9
	v_ffbl_b32_e32 v55, v55
	v_min_u32_e32 v9, v55, v9
	v_cmp_lt_u32_e32 vcc, v52, v9
	ds_bpermute_b32 v20, v53, v24
	ds_bpermute_b32 v21, v53, v25
	v_and_b32_e32 v62, 0xff, v29
	ds_bpermute_b32 v54, v53, v62
	s_and_saveexec_b64 s[34:35], vcc
	s_cbranch_execz .LBB139_112
; %bb.111:
	v_mov_b32_e32 v55, 0
	s_waitcnt lgkmcnt(1)
	v_cmp_gt_i64_e32 vcc, v[24:25], v[20:21]
	s_nop 1
	v_cndmask_b32_e32 v20, v20, v24, vcc
	v_cndmask_b32_e32 v21, v21, v25, vcc
	v_cmp_eq_u16_sdwa vcc, v29, v55 src0_sel:BYTE_0 src1_sel:DWORD
	s_nop 1
	v_cndmask_b32_e32 v24, v24, v20, vcc
	s_waitcnt lgkmcnt(0)
	v_or_b32_e32 v20, v54, v29
	v_cndmask_b32_e32 v25, v25, v21, vcc
	v_and_b32_e32 v29, 1, v20
	v_and_b32_e32 v62, 1, v20
.LBB139_112:
	s_or_b64 exec, exec, s[34:35]
	v_cmp_gt_u32_e32 vcc, 62, v52
	v_add_u32_e32 v55, 2, v52
	s_waitcnt lgkmcnt(2)
	v_cndmask_b32_e64 v20, 0, 1, vcc
	v_lshlrev_b32_e32 v20, 1, v20
	s_waitcnt lgkmcnt(0)
	v_add_lshl_u32 v54, v20, v28, 2
	ds_bpermute_b32 v20, v54, v24
	ds_bpermute_b32 v21, v54, v25
	ds_bpermute_b32 v56, v54, v62
	v_cmp_le_u32_e32 vcc, v55, v9
	s_and_saveexec_b64 s[48:49], vcc
	s_cbranch_execz .LBB139_114
; %bb.113:
	v_mov_b32_e32 v57, 0
	s_waitcnt lgkmcnt(1)
	v_cmp_gt_i64_e32 vcc, v[24:25], v[20:21]
	s_nop 1
	v_cndmask_b32_e32 v20, v20, v24, vcc
	v_cndmask_b32_e32 v21, v21, v25, vcc
	v_cmp_eq_u16_sdwa vcc, v29, v57 src0_sel:BYTE_0 src1_sel:DWORD
	s_nop 1
	v_cndmask_b32_e32 v24, v24, v20, vcc
	v_and_b32_e32 v20, 1, v29
	v_cndmask_b32_e32 v25, v25, v21, vcc
	v_cmp_eq_u32_e32 vcc, 1, v20
	s_waitcnt lgkmcnt(0)
	v_and_b32_e32 v20, 1, v56
	v_cmp_eq_u32_e64 s[34:35], 1, v20
	s_or_b64 s[34:35], vcc, s[34:35]
	s_nop 0
	v_cndmask_b32_e64 v29, 0, 1, s[34:35]
	v_cndmask_b32_e64 v62, 0, 1, s[34:35]
.LBB139_114:
	s_or_b64 exec, exec, s[48:49]
	v_cmp_gt_u32_e32 vcc, 60, v52
	v_add_u32_e32 v57, 4, v52
	s_waitcnt lgkmcnt(2)
	v_cndmask_b32_e64 v20, 0, 1, vcc
	v_lshlrev_b32_e32 v20, 2, v20
	s_waitcnt lgkmcnt(0)
	v_add_lshl_u32 v56, v20, v28, 2
	ds_bpermute_b32 v20, v56, v24
	ds_bpermute_b32 v21, v56, v25
	ds_bpermute_b32 v58, v56, v62
	v_cmp_le_u32_e32 vcc, v57, v9
	s_and_saveexec_b64 s[48:49], vcc
	s_cbranch_execz .LBB139_116
; %bb.115:
	v_mov_b32_e32 v59, 0
	s_waitcnt lgkmcnt(1)
	v_cmp_gt_i64_e32 vcc, v[24:25], v[20:21]
	s_nop 1
	v_cndmask_b32_e32 v20, v20, v24, vcc
	v_cndmask_b32_e32 v21, v21, v25, vcc
	v_cmp_eq_u16_sdwa vcc, v29, v59 src0_sel:BYTE_0 src1_sel:DWORD
	s_nop 1
	v_cndmask_b32_e32 v24, v24, v20, vcc
	v_and_b32_e32 v20, 1, v29
	v_cndmask_b32_e32 v25, v25, v21, vcc
	v_cmp_eq_u32_e32 vcc, 1, v20
	s_waitcnt lgkmcnt(0)
	v_and_b32_e32 v20, 1, v58
	v_cmp_eq_u32_e64 s[34:35], 1, v20
	s_or_b64 s[34:35], vcc, s[34:35]
	s_nop 0
	v_cndmask_b32_e64 v29, 0, 1, s[34:35]
	v_cndmask_b32_e64 v62, 0, 1, s[34:35]
.LBB139_116:
	;; [unrolled: 35-line block ×4, first 2 shown]
	s_or_b64 exec, exec, s[48:49]
	v_cmp_gt_u32_e32 vcc, 32, v52
	v_add_u32_e32 v64, 32, v52
	s_waitcnt lgkmcnt(2)
	v_cndmask_b32_e64 v20, 0, 1, vcc
	v_lshlrev_b32_e32 v20, 5, v20
	s_waitcnt lgkmcnt(0)
	v_add_lshl_u32 v63, v20, v28, 2
	ds_bpermute_b32 v20, v63, v24
	ds_bpermute_b32 v21, v63, v25
	;; [unrolled: 1-line block ×3, first 2 shown]
	v_cmp_le_u32_e32 vcc, v64, v9
	s_and_saveexec_b64 s[48:49], vcc
	s_cbranch_execz .LBB139_122
; %bb.121:
	v_mov_b32_e32 v9, 0
	s_waitcnt lgkmcnt(1)
	v_cmp_gt_i64_e32 vcc, v[24:25], v[20:21]
	s_nop 1
	v_cndmask_b32_e32 v20, v20, v24, vcc
	v_cndmask_b32_e32 v21, v21, v25, vcc
	v_cmp_eq_u16_sdwa vcc, v29, v9 src0_sel:BYTE_0 src1_sel:DWORD
	v_and_b32_e32 v9, 1, v29
	s_nop 0
	v_cndmask_b32_e32 v25, v25, v21, vcc
	v_cndmask_b32_e32 v24, v24, v20, vcc
	v_cmp_eq_u32_e32 vcc, 1, v9
	s_waitcnt lgkmcnt(0)
	v_and_b32_e32 v9, 1, v28
	v_cmp_eq_u32_e64 s[34:35], 1, v9
	s_or_b64 s[34:35], vcc, s[34:35]
	s_nop 0
	v_cndmask_b32_e64 v29, 0, 1, s[34:35]
.LBB139_122:
	s_or_b64 exec, exec, s[48:49]
	v_mov_b32_e32 v9, 0
	v_mov_b32_e32 v65, 2
	s_branch .LBB139_124
.LBB139_123:                            ;   in Loop: Header=BB139_124 Depth=1
	s_or_b64 exec, exec, s[52:53]
	v_cmp_gt_i64_e32 vcc, v[20:21], v[24:25]
	s_waitcnt lgkmcnt(2)
	v_and_b32_e32 v28, 1, v62
	v_subrev_u32_e32 v8, 64, v8
	v_cndmask_b32_e32 v24, v24, v20, vcc
	v_cndmask_b32_e32 v25, v25, v21, vcc
	v_cmp_eq_u16_sdwa vcc, v62, v9 src0_sel:BYTE_0 src1_sel:DWORD
	s_nop 1
	v_cndmask_b32_e32 v25, v21, v25, vcc
	v_cndmask_b32_e32 v24, v20, v24, vcc
	v_cmp_eq_u32_e32 vcc, 1, v28
	s_or_b64 s[34:35], vcc, s[48:49]
	s_waitcnt lgkmcnt(1)
	v_cndmask_b32_e64 v29, 0, 1, s[34:35]
.LBB139_124:                            ; =>This Loop Header: Depth=1
                                        ;     Child Loop BB139_127 Depth 2
	v_cmp_ne_u16_sdwa s[34:35], v51, v65 src0_sel:BYTE_0 src1_sel:DWORD
	v_mov_b32_e32 v62, v29
	s_waitcnt lgkmcnt(2)
	v_cndmask_b32_e64 v20, 0, 1, s[34:35]
	;;#ASMSTART
	;;#ASMEND
	s_nop 0
	v_cmp_ne_u32_e32 vcc, 0, v20
	s_cmp_lg_u64 vcc, exec
	s_waitcnt lgkmcnt(1)
	v_mov_b64_e32 v[20:21], v[24:25]
	s_cbranch_scc1 .LBB139_141
; %bb.125:                              ;   in Loop: Header=BB139_124 Depth=1
	global_load_ubyte v51, v8, s[40:41] sc1
	s_waitcnt vmcnt(0)
	v_cmp_eq_u16_e32 vcc, 0, v51
	s_and_saveexec_b64 s[34:35], vcc
	s_cbranch_execz .LBB139_129
; %bb.126:                              ;   in Loop: Header=BB139_124 Depth=1
	v_lshl_add_u64 v[24:25], s[40:41], 0, v[8:9]
	s_mov_b64 s[48:49], 0
.LBB139_127:                            ;   Parent Loop BB139_124 Depth=1
                                        ; =>  This Inner Loop Header: Depth=2
	global_load_ubyte v51, v[24:25], off sc1
	s_waitcnt vmcnt(0)
	v_cmp_ne_u16_e32 vcc, 0, v51
	s_or_b64 s[48:49], vcc, s[48:49]
	s_andn2_b64 exec, exec, s[48:49]
	s_cbranch_execnz .LBB139_127
; %bb.128:                              ;   in Loop: Header=BB139_124 Depth=1
	s_or_b64 exec, exec, s[48:49]
.LBB139_129:                            ;   in Loop: Header=BB139_124 Depth=1
	s_or_b64 exec, exec, s[34:35]
	v_mov_b32_e32 v24, s39
	v_mov_b32_e32 v25, s37
	v_cmp_eq_u16_e32 vcc, 1, v51
	s_waitcnt lgkmcnt(0)
	v_mov_b32_e32 v28, s36
	s_waitcnt vmcnt(0)
	v_cndmask_b32_e32 v25, v24, v25, vcc
	v_mov_b32_e32 v24, s38
	v_cndmask_b32_e32 v24, v24, v28, vcc
	v_lshl_add_u64 v[28:29], v[8:9], 4, v[24:25]
	global_load_dword v24, v[28:29], off sc1
	global_load_dword v25, v[28:29], off offset:4 sc1
	global_load_dword v66, v[28:29], off offset:8 sc1
	s_nop 0
	global_load_dword v28, v[28:29], off offset:12 sc1
	v_cmp_eq_u16_e32 vcc, 2, v51
	s_waitcnt vmcnt(2)
	ds_bpermute_b32 v29, v53, v25
	s_waitcnt vmcnt(0)
	v_and_b32_e32 v28, vcc_hi, v13
	v_or_b32_e32 v28, 0x80000000, v28
	v_and_b32_e32 v68, 0xff, v66
	v_ffbl_b32_e32 v70, v28
	ds_bpermute_b32 v28, v53, v24
	ds_bpermute_b32 v69, v53, v68
	v_and_b32_e32 v67, vcc_lo, v12
	v_add_u32_e32 v70, 32, v70
	v_ffbl_b32_e32 v67, v67
	v_min_u32_e32 v67, v67, v70
	v_cmp_lt_u32_e32 vcc, v52, v67
	s_and_saveexec_b64 s[34:35], vcc
	s_cbranch_execz .LBB139_131
; %bb.130:                              ;   in Loop: Header=BB139_124 Depth=1
	s_waitcnt lgkmcnt(1)
	v_cmp_gt_i64_e32 vcc, v[24:25], v[28:29]
	s_nop 1
	v_cndmask_b32_e32 v28, v28, v24, vcc
	v_cndmask_b32_e32 v29, v29, v25, vcc
	v_cmp_eq_u16_sdwa vcc, v66, v9 src0_sel:BYTE_0 src1_sel:DWORD
	s_nop 1
	v_cndmask_b32_e32 v24, v24, v28, vcc
	s_waitcnt lgkmcnt(0)
	v_or_b32_e32 v28, v69, v66
	v_cndmask_b32_e32 v25, v25, v29, vcc
	v_and_b32_e32 v66, 1, v28
	v_and_b32_e32 v68, 1, v28
.LBB139_131:                            ;   in Loop: Header=BB139_124 Depth=1
	s_or_b64 exec, exec, s[34:35]
	s_waitcnt lgkmcnt(1)
	ds_bpermute_b32 v28, v54, v24
	ds_bpermute_b32 v29, v54, v25
	s_waitcnt lgkmcnt(2)
	ds_bpermute_b32 v69, v54, v68
	v_and_b32_e32 v70, 1, v66
	v_cmp_le_u32_e32 vcc, v55, v67
	v_cmp_eq_u32_e64 s[48:49], 1, v70
	s_and_saveexec_b64 s[34:35], vcc
	s_cbranch_execz .LBB139_133
; %bb.132:                              ;   in Loop: Header=BB139_124 Depth=1
	s_waitcnt lgkmcnt(1)
	v_cmp_gt_i64_e32 vcc, v[24:25], v[28:29]
	s_nop 1
	v_cndmask_b32_e32 v28, v28, v24, vcc
	v_cndmask_b32_e32 v29, v29, v25, vcc
	v_cmp_eq_u16_sdwa vcc, v66, v9 src0_sel:BYTE_0 src1_sel:DWORD
	s_nop 1
	v_cndmask_b32_e32 v24, v24, v28, vcc
	s_waitcnt lgkmcnt(0)
	v_and_b32_e32 v28, 1, v69
	v_cndmask_b32_e32 v25, v25, v29, vcc
	v_cmp_eq_u32_e32 vcc, 1, v28
	s_or_b64 s[52:53], s[48:49], vcc
	v_cndmask_b32_e64 v66, 0, 1, s[52:53]
	v_cndmask_b32_e64 v68, 0, 1, s[52:53]
	s_andn2_b64 s[48:49], s[48:49], exec
	s_and_b64 s[52:53], s[52:53], exec
	s_or_b64 s[48:49], s[48:49], s[52:53]
.LBB139_133:                            ;   in Loop: Header=BB139_124 Depth=1
	s_or_b64 exec, exec, s[34:35]
	s_waitcnt lgkmcnt(2)
	ds_bpermute_b32 v28, v56, v24
	s_waitcnt lgkmcnt(2)
	ds_bpermute_b32 v29, v56, v25
	s_waitcnt lgkmcnt(2)
	ds_bpermute_b32 v69, v56, v68
	v_cmp_le_u32_e32 vcc, v57, v67
	s_and_saveexec_b64 s[52:53], vcc
	s_cbranch_execz .LBB139_135
; %bb.134:                              ;   in Loop: Header=BB139_124 Depth=1
	s_waitcnt lgkmcnt(1)
	v_cmp_gt_i64_e32 vcc, v[24:25], v[28:29]
	s_andn2_b64 s[48:49], s[48:49], exec
	s_nop 0
	v_cndmask_b32_e32 v28, v28, v24, vcc
	v_cndmask_b32_e32 v29, v29, v25, vcc
	v_cmp_eq_u16_sdwa vcc, v66, v9 src0_sel:BYTE_0 src1_sel:DWORD
	s_nop 1
	v_cndmask_b32_e32 v24, v24, v28, vcc
	v_and_b32_e32 v28, 1, v66
	v_cndmask_b32_e32 v25, v25, v29, vcc
	v_cmp_eq_u32_e32 vcc, 1, v28
	s_waitcnt lgkmcnt(0)
	v_and_b32_e32 v28, 1, v69
	v_cmp_eq_u32_e64 s[34:35], 1, v28
	s_or_b64 s[34:35], vcc, s[34:35]
	s_nop 0
	v_cndmask_b32_e64 v66, 0, 1, s[34:35]
	v_cndmask_b32_e64 v68, 0, 1, s[34:35]
	s_and_b64 s[34:35], s[34:35], exec
	s_or_b64 s[48:49], s[48:49], s[34:35]
.LBB139_135:                            ;   in Loop: Header=BB139_124 Depth=1
	s_or_b64 exec, exec, s[52:53]
	s_waitcnt lgkmcnt(2)
	ds_bpermute_b32 v28, v58, v24
	s_waitcnt lgkmcnt(2)
	ds_bpermute_b32 v29, v58, v25
	s_waitcnt lgkmcnt(2)
	ds_bpermute_b32 v69, v58, v68
	v_cmp_le_u32_e32 vcc, v59, v67
	s_and_saveexec_b64 s[52:53], vcc
	s_cbranch_execz .LBB139_137
; %bb.136:                              ;   in Loop: Header=BB139_124 Depth=1
	s_waitcnt lgkmcnt(1)
	v_cmp_gt_i64_e32 vcc, v[24:25], v[28:29]
	s_andn2_b64 s[48:49], s[48:49], exec
	s_nop 0
	v_cndmask_b32_e32 v28, v28, v24, vcc
	v_cndmask_b32_e32 v29, v29, v25, vcc
	v_cmp_eq_u16_sdwa vcc, v66, v9 src0_sel:BYTE_0 src1_sel:DWORD
	s_nop 1
	v_cndmask_b32_e32 v24, v24, v28, vcc
	v_and_b32_e32 v28, 1, v66
	v_cndmask_b32_e32 v25, v25, v29, vcc
	v_cmp_eq_u32_e32 vcc, 1, v28
	s_waitcnt lgkmcnt(0)
	v_and_b32_e32 v28, 1, v69
	v_cmp_eq_u32_e64 s[34:35], 1, v28
	s_or_b64 s[34:35], vcc, s[34:35]
	s_nop 0
	v_cndmask_b32_e64 v66, 0, 1, s[34:35]
	v_cndmask_b32_e64 v68, 0, 1, s[34:35]
	s_and_b64 s[34:35], s[34:35], exec
	s_or_b64 s[48:49], s[48:49], s[34:35]
.LBB139_137:                            ;   in Loop: Header=BB139_124 Depth=1
	;; [unrolled: 33-line block ×3, first 2 shown]
	s_or_b64 exec, exec, s[52:53]
	s_waitcnt lgkmcnt(2)
	ds_bpermute_b32 v28, v63, v24
	s_waitcnt lgkmcnt(2)
	ds_bpermute_b32 v29, v63, v25
	ds_bpermute_b32 v68, v63, v68
	v_cmp_le_u32_e32 vcc, v64, v67
	s_and_saveexec_b64 s[52:53], vcc
	s_cbranch_execz .LBB139_123
; %bb.140:                              ;   in Loop: Header=BB139_124 Depth=1
	s_waitcnt lgkmcnt(1)
	v_cmp_gt_i64_e32 vcc, v[24:25], v[28:29]
	s_andn2_b64 s[48:49], s[48:49], exec
	s_nop 0
	v_cndmask_b32_e32 v28, v28, v24, vcc
	v_cndmask_b32_e32 v29, v29, v25, vcc
	v_cmp_eq_u16_sdwa vcc, v66, v9 src0_sel:BYTE_0 src1_sel:DWORD
	s_nop 1
	v_cndmask_b32_e32 v24, v24, v28, vcc
	v_and_b32_e32 v28, 1, v66
	v_cndmask_b32_e32 v25, v25, v29, vcc
	v_cmp_eq_u32_e32 vcc, 1, v28
	s_waitcnt lgkmcnt(0)
	v_and_b32_e32 v28, 1, v68
	v_cmp_eq_u32_e64 s[34:35], 1, v28
	s_or_b64 s[34:35], vcc, s[34:35]
	s_and_b64 s[34:35], s[34:35], exec
	s_or_b64 s[48:49], s[48:49], s[34:35]
	s_branch .LBB139_123
.LBB139_141:                            ;   in Loop: Header=BB139_124 Depth=1
                                        ; implicit-def: $vgpr29
                                        ; implicit-def: $vgpr24_vgpr25
                                        ; implicit-def: $vgpr51
	s_cbranch_execz .LBB139_124
; %bb.142:
	s_and_saveexec_b64 s[34:35], s[28:29]
	s_cbranch_execz .LBB139_144
; %bb.143:
	s_mov_b32 s3, 0
	s_add_i32 s2, s2, 64
	v_mov_b32_e32 v8, 0
	v_cmp_gt_i64_e32 vcc, v[48:49], v[20:21]
	s_lshl_b64 s[36:37], s[2:3], 4
	v_and_b32_e32 v13, 1, v50
	v_cndmask_b32_e32 v9, v20, v48, vcc
	v_cndmask_b32_e32 v12, v21, v49, vcc
	v_cmp_eq_u32_sdwa vcc, v50, v8 src0_sel:BYTE_0 src1_sel:DWORD
	s_add_u32 s36, s38, s36
	v_and_b32_e32 v24, 1, v62
	v_cndmask_b32_e32 v12, v49, v12, vcc
	v_cndmask_b32_e32 v9, v48, v9, vcc
	v_cmp_eq_u32_e32 vcc, 1, v13
	s_addc_u32 s37, s39, s37
	s_nop 0
	v_cndmask_b32_e64 v13, v24, 1, vcc
	global_store_dword v8, v9, s[36:37] sc1
	global_store_dword v8, v12, s[36:37] offset:4 sc1
	global_store_dword v8, v13, s[36:37] offset:8 sc1
	;; [unrolled: 1-line block ×3, first 2 shown]
	v_mov_b32_e32 v8, s2
	v_mov_b32_e32 v9, 2
	s_waitcnt vmcnt(0) lgkmcnt(0)
	global_store_byte v8, v9, s[40:41] sc1
.LBB139_144:
	s_or_b64 exec, exec, s[34:35]
	v_cmp_eq_u32_e32 vcc, 0, v0
	s_and_b64 exec, exec, vcc
	s_cbranch_execz .LBB139_146
; %bb.145:
	v_mov_b32_e32 v8, 0
	ds_write_b64 v8, v[20:21] offset:48
	ds_write_b8 v8, v62 offset:56
.LBB139_146:
	s_or_b64 exec, exec, s[46:47]
	s_waitcnt lgkmcnt(0)
	v_cndmask_b32_e64 v12, v45, v37, s[28:29]
	v_mov_b32_e32 v13, 0
	v_and_b32_e32 v20, 1, v1
	v_and_b32_e32 v12, 1, v12
	v_cndmask_b32_e64 v5, v44, v5, s[28:29]
	v_cndmask_b32_e64 v4, v41, v4, s[28:29]
	s_barrier
	ds_read_b64 v[8:9], v13 offset:48
	v_cmp_eq_u32_e32 vcc, 1, v20
	v_cmp_eq_u32_e64 s[2:3], 1, v12
	s_or_b64 s[2:3], vcc, s[2:3]
	v_cmp_gt_i64_e32 vcc, v[2:3], v[4:5]
	v_cndmask_b32_e64 v12, 0, 1, s[2:3]
	s_nop 0
	v_cndmask_b32_e32 v5, v5, v3, vcc
	v_cndmask_b32_e32 v4, v4, v2, vcc
	v_cmp_eq_u16_sdwa vcc, v1, v13 src0_sel:BYTE_0 src1_sel:DWORD
	s_nop 1
	v_cndmask_b32_e32 v4, v2, v4, vcc
	v_cndmask_b32_e32 v5, v3, v5, vcc
	v_cmp_eq_u32_e32 vcc, 0, v0
	s_nop 1
	v_cndmask_b32_e32 v5, v5, v3, vcc
	v_cndmask_b32_e32 v4, v4, v2, vcc
	;; [unrolled: 1-line block ×3, first 2 shown]
	s_waitcnt lgkmcnt(0)
	v_cmp_gt_i64_e32 vcc, v[4:5], v[8:9]
	s_nop 1
	v_cndmask_b32_e32 v8, v8, v4, vcc
	v_cndmask_b32_e32 v9, v9, v5, vcc
	v_cmp_eq_u16_sdwa vcc, v12, v13 src0_sel:BYTE_0 src1_sel:DWORD
	s_nop 1
	v_cndmask_b32_e32 v49, v5, v9, vcc
	v_cndmask_b32_e32 v48, v4, v8, vcc
	v_cmp_gt_i64_e32 vcc, v[14:15], v[48:49]
	s_nop 1
	v_cndmask_b32_e32 v4, v48, v14, vcc
	v_cndmask_b32_e32 v5, v49, v15, vcc
	v_cndmask_b32_e64 v51, v15, v5, s[30:31]
	v_cndmask_b32_e64 v50, v14, v4, s[30:31]
	v_cmp_gt_i64_e32 vcc, v[6:7], v[50:51]
	s_nop 1
	v_cndmask_b32_e32 v4, v50, v6, vcc
	v_cndmask_b32_e32 v5, v51, v7, vcc
	v_cndmask_b32_e64 v53, v7, v5, s[4:5]
	v_cndmask_b32_e64 v52, v6, v4, s[4:5]
	v_cmp_gt_i64_e32 vcc, v[22:23], v[52:53]
	s_nop 1
	v_cndmask_b32_e32 v4, v52, v22, vcc
	v_cndmask_b32_e32 v5, v53, v23, vcc
	v_cndmask_b32_e64 v55, v23, v5, s[6:7]
	v_cndmask_b32_e64 v54, v22, v4, s[6:7]
	v_cmp_gt_i64_e32 vcc, v[10:11], v[54:55]
	s_nop 1
	v_cndmask_b32_e32 v4, v54, v10, vcc
	v_cndmask_b32_e32 v5, v55, v11, vcc
	v_cndmask_b32_e64 v57, v11, v5, s[8:9]
	v_cndmask_b32_e64 v56, v10, v4, s[8:9]
	v_cmp_gt_i64_e32 vcc, v[30:31], v[56:57]
	s_nop 1
	v_cndmask_b32_e32 v4, v56, v30, vcc
	v_cndmask_b32_e32 v5, v57, v31, vcc
	v_cndmask_b32_e64 v59, v31, v5, s[10:11]
	v_cndmask_b32_e64 v58, v30, v4, s[10:11]
	v_cmp_gt_i64_e32 vcc, v[18:19], v[58:59]
	s_nop 1
	v_cndmask_b32_e32 v4, v58, v18, vcc
	v_cndmask_b32_e32 v5, v59, v19, vcc
	v_cndmask_b32_e64 v61, v19, v5, s[12:13]
	v_cndmask_b32_e64 v60, v18, v4, s[12:13]
	v_cmp_gt_i64_e32 vcc, v[38:39], v[60:61]
	s_nop 1
	v_cndmask_b32_e32 v4, v60, v38, vcc
	v_cndmask_b32_e32 v5, v61, v39, vcc
	v_cndmask_b32_e64 v63, v39, v5, s[14:15]
	v_cndmask_b32_e64 v62, v38, v4, s[14:15]
	v_cmp_gt_i64_e32 vcc, v[26:27], v[62:63]
	s_nop 1
	v_cndmask_b32_e32 v4, v62, v26, vcc
	v_cndmask_b32_e32 v5, v63, v27, vcc
	v_cndmask_b32_e64 v65, v27, v5, s[16:17]
	v_cndmask_b32_e64 v64, v26, v4, s[16:17]
	v_cmp_gt_i64_e32 vcc, v[42:43], v[64:65]
	s_nop 1
	v_cndmask_b32_e32 v4, v64, v42, vcc
	v_cndmask_b32_e32 v5, v65, v43, vcc
	v_cndmask_b32_e64 v67, v43, v5, s[18:19]
	v_cndmask_b32_e64 v66, v42, v4, s[18:19]
	v_cmp_gt_i64_e32 vcc, v[34:35], v[66:67]
	s_nop 1
	v_cndmask_b32_e32 v4, v66, v34, vcc
	v_cndmask_b32_e32 v5, v67, v35, vcc
	v_cndmask_b32_e64 v69, v35, v5, s[20:21]
	v_cndmask_b32_e64 v68, v34, v4, s[20:21]
	v_cmp_gt_i64_e32 vcc, v[46:47], v[68:69]
	s_nop 1
	v_cndmask_b32_e32 v4, v68, v46, vcc
	v_cndmask_b32_e32 v5, v69, v47, vcc
	v_cndmask_b32_e64 v71, v47, v5, s[22:23]
	v_cndmask_b32_e64 v70, v46, v4, s[22:23]
	v_cmp_gt_i64_e32 vcc, v[78:79], v[70:71]
	s_nop 1
	v_cndmask_b32_e32 v4, v70, v78, vcc
	v_cndmask_b32_e32 v5, v71, v79, vcc
	v_cndmask_b32_e64 v73, v79, v5, s[24:25]
	v_cndmask_b32_e64 v72, v78, v4, s[24:25]
	v_cmp_gt_i64_e32 vcc, v[16:17], v[72:73]
	s_nop 1
	v_cndmask_b32_e32 v4, v72, v16, vcc
	v_cndmask_b32_e32 v5, v73, v17, vcc
	v_cndmask_b32_e64 v75, v17, v5, s[26:27]
	v_cndmask_b32_e64 v74, v16, v4, s[26:27]
	s_branch .LBB139_189
.LBB139_147:
	s_or_b64 exec, exec, s[30:31]
                                        ; implicit-def: $vgpr6_vgpr7
	s_and_saveexec_b64 s[30:31], s[28:29]
	s_cbranch_execz .LBB139_33
.LBB139_148:
	v_mov_b32_e32 v7, s53
	v_sub_co_u32_e32 v6, vcc, s52, v1
	s_nop 1
	v_subbrev_co_u32_e32 v7, vcc, 0, v7, vcc
	flat_load_dwordx2 v[6:7], v[6:7]
	s_or_b64 exec, exec, s[30:31]
                                        ; implicit-def: $vgpr8_vgpr9
	s_and_saveexec_b64 s[28:29], s[4:5]
	s_cbranch_execnz .LBB139_34
.LBB139_149:
	s_or_b64 exec, exec, s[28:29]
                                        ; implicit-def: $vgpr10_vgpr11
	s_and_saveexec_b64 s[4:5], s[6:7]
	s_cbranch_execz .LBB139_35
.LBB139_150:
	v_mov_b32_e32 v1, s53
	v_sub_co_u32_e32 v10, vcc, s52, v31
	s_nop 1
	v_subbrev_co_u32_e32 v11, vcc, 0, v1, vcc
	flat_load_dwordx2 v[10:11], v[10:11]
	s_or_b64 exec, exec, s[4:5]
                                        ; implicit-def: $vgpr12_vgpr13
	s_and_saveexec_b64 s[4:5], s[8:9]
	s_cbranch_execnz .LBB139_36
.LBB139_151:
	s_or_b64 exec, exec, s[4:5]
                                        ; implicit-def: $vgpr14_vgpr15
	s_and_saveexec_b64 s[4:5], s[10:11]
	s_cbranch_execz .LBB139_37
.LBB139_152:
	v_mov_b32_e32 v1, s53
	v_sub_co_u32_e32 v14, vcc, s52, v33
	s_nop 1
	v_subbrev_co_u32_e32 v15, vcc, 0, v1, vcc
	flat_load_dwordx2 v[14:15], v[14:15]
	s_or_b64 exec, exec, s[4:5]
                                        ; implicit-def: $vgpr16_vgpr17
	s_and_saveexec_b64 s[4:5], s[12:13]
	s_cbranch_execnz .LBB139_38
.LBB139_153:
	s_or_b64 exec, exec, s[4:5]
                                        ; implicit-def: $vgpr18_vgpr19
	s_and_saveexec_b64 s[4:5], s[14:15]
	s_cbranch_execz .LBB139_39
.LBB139_154:
	v_mov_b32_e32 v1, s53
	v_sub_co_u32_e32 v18, vcc, s52, v35
	s_nop 1
	v_subbrev_co_u32_e32 v19, vcc, 0, v1, vcc
	flat_load_dwordx2 v[18:19], v[18:19]
	s_or_b64 exec, exec, s[4:5]
                                        ; implicit-def: $vgpr20_vgpr21
	s_and_saveexec_b64 s[4:5], s[16:17]
	s_cbranch_execnz .LBB139_40
.LBB139_155:
	s_or_b64 exec, exec, s[4:5]
                                        ; implicit-def: $vgpr22_vgpr23
	s_and_saveexec_b64 s[4:5], s[18:19]
	s_cbranch_execz .LBB139_41
.LBB139_156:
	v_mov_b32_e32 v1, s53
	v_sub_co_u32_e32 v22, vcc, s52, v38
	s_nop 1
	v_subbrev_co_u32_e32 v23, vcc, 0, v1, vcc
	flat_load_dwordx2 v[22:23], v[22:23]
	s_or_b64 exec, exec, s[4:5]
                                        ; implicit-def: $vgpr24_vgpr25
	s_and_saveexec_b64 s[4:5], s[20:21]
	s_cbranch_execnz .LBB139_42
.LBB139_157:
	s_or_b64 exec, exec, s[4:5]
                                        ; implicit-def: $vgpr26_vgpr27
	s_and_saveexec_b64 s[4:5], s[22:23]
	s_cbranch_execz .LBB139_43
.LBB139_158:
	v_mov_b32_e32 v1, s53
	v_sub_co_u32_e32 v26, vcc, s52, v40
	s_nop 1
	v_subbrev_co_u32_e32 v27, vcc, 0, v1, vcc
	flat_load_dwordx2 v[26:27], v[26:27]
	s_or_b64 exec, exec, s[4:5]
                                        ; implicit-def: $vgpr28_vgpr29
	s_and_saveexec_b64 s[4:5], s[24:25]
	s_cbranch_execz .LBB139_45
	s_branch .LBB139_44
.LBB139_159:
                                        ; implicit-def: $vgpr74_vgpr75
                                        ; implicit-def: $vgpr70_vgpr71
                                        ; implicit-def: $vgpr66_vgpr67
                                        ; implicit-def: $vgpr62_vgpr63
                                        ; implicit-def: $vgpr58_vgpr59
                                        ; implicit-def: $vgpr54_vgpr55
                                        ; implicit-def: $vgpr50_vgpr51
	s_cbranch_execz .LBB139_189
; %bb.160:
	s_cmp_lg_u64 s[62:63], 0
	s_cselect_b32 s5, s55, 0
	s_cselect_b32 s4, s54, 0
	s_cmp_lg_u64 s[4:5], 0
	s_cselect_b64 s[6:7], -1, 0
	v_cmp_eq_u32_e32 vcc, 0, v0
	v_cmp_ne_u32_e64 s[2:3], 0, v0
	s_and_b64 s[8:9], vcc, s[6:7]
	s_and_saveexec_b64 s[6:7], s[8:9]
	s_cbranch_execz .LBB139_162
; %bb.161:
	v_mov_b32_e32 v8, 0
	global_load_dwordx2 v[4:5], v8, s[4:5]
	global_load_ubyte v9, v8, s[4:5] offset:8
	s_waitcnt vmcnt(1)
	v_cmp_gt_i64_e64 s[4:5], v[2:3], v[4:5]
	s_nop 1
	v_cndmask_b32_e64 v4, v4, v2, s[4:5]
	s_waitcnt vmcnt(0)
	v_or_b32_e32 v9, v1, v9
	v_cndmask_b32_e64 v5, v5, v3, s[4:5]
	v_cmp_eq_u16_sdwa s[4:5], v1, v8 src0_sel:BYTE_0 src1_sel:DWORD
	v_and_b32_e32 v1, 1, v9
	s_nop 0
	v_cndmask_b32_e64 v3, v3, v5, s[4:5]
	v_cndmask_b32_e64 v2, v2, v4, s[4:5]
.LBB139_162:
	s_or_b64 exec, exec, s[6:7]
	v_mov_b32_e32 v5, 0
	v_cmp_gt_i64_e64 s[4:5], v[14:15], v[2:3]
	v_and_b32_e32 v4, 0xff, v1
	v_mbcnt_hi_u32_b32 v20, -1, v33
	v_cndmask_b32_e64 v8, v2, v14, s[4:5]
	v_cndmask_b32_e64 v9, v3, v15, s[4:5]
	v_cmp_eq_u16_sdwa s[4:5], v82, v5 src0_sel:BYTE_0 src1_sel:DWORD
	v_and_b32_e32 v24, 15, v20
	s_nop 0
	v_cndmask_b32_e64 v51, v15, v9, s[4:5]
	v_cndmask_b32_e64 v50, v14, v8, s[4:5]
	v_cmp_gt_i64_e64 s[6:7], v[6:7], v[50:51]
	s_nop 1
	v_cndmask_b32_e64 v8, v50, v6, s[6:7]
	v_cndmask_b32_e64 v9, v51, v7, s[6:7]
	v_cmp_eq_u16_sdwa s[6:7], v81, v5 src0_sel:BYTE_0 src1_sel:DWORD
	s_nop 1
	v_cndmask_b32_e64 v53, v7, v9, s[6:7]
	v_cndmask_b32_e64 v52, v6, v8, s[6:7]
	v_cmp_gt_i64_e64 s[8:9], v[22:23], v[52:53]
	s_nop 1
	v_cndmask_b32_e64 v8, v52, v22, s[8:9]
	v_cndmask_b32_e64 v9, v53, v23, s[8:9]
	v_cmp_eq_u16_sdwa s[8:9], v83, v5 src0_sel:BYTE_0 src1_sel:DWORD
	;; [unrolled: 8-line block ×12, first 2 shown]
	v_or_b32_e32 v5, v36, v90
	v_or_b32_e32 v5, v5, v89
	;; [unrolled: 1-line block ×10, first 2 shown]
	v_and_b32_e32 v5, 1, v5
	v_cmp_eq_u32_e64 s[30:31], 1, v5
	v_cndmask_b32_e64 v75, v17, v9, s[28:29]
	v_cndmask_b32_e64 v74, v16, v8, s[28:29]
	;; [unrolled: 1-line block ×3, first 2 shown]
	v_mov_b32_dpp v13, v75 row_shr:1 row_mask:0xf bank_mask:0xf
	v_mov_b32_dpp v12, v74 row_shr:1 row_mask:0xf bank_mask:0xf
	;; [unrolled: 1-line block ×3, first 2 shown]
	v_cmp_ne_u32_e64 s[30:31], 0, v24
	v_mov_b64_e32 v[4:5], v[74:75]
	v_mov_b32_e32 v9, v75
	v_mov_b32_e32 v8, v74
	s_and_saveexec_b64 s[34:35], s[30:31]
; %bb.163:
	v_cmp_gt_i64_e64 s[30:31], v[74:75], v[12:13]
	s_nop 1
	v_cndmask_b32_e64 v4, v12, v74, s[30:31]
	v_cndmask_b32_e64 v5, v13, v75, s[30:31]
	v_cmp_eq_u32_e64 s[30:31], 0, v21
	v_and_or_b32 v21, v25, 1, v21
	s_nop 0
	v_cndmask_b32_e64 v5, v75, v5, s[30:31]
	v_cndmask_b32_e64 v4, v74, v4, s[30:31]
	v_mov_b32_e32 v9, v5
	v_mov_b32_e32 v8, v4
; %bb.164:
	s_or_b64 exec, exec, s[34:35]
	s_nop 0
	v_mov_b32_dpp v12, v8 row_shr:2 row_mask:0xf bank_mask:0xf
	v_mov_b32_dpp v13, v9 row_shr:2 row_mask:0xf bank_mask:0xf
	v_mov_b32_dpp v25, v21 row_shr:2 row_mask:0xf bank_mask:0xf
	v_cmp_lt_u32_e64 s[30:31], 1, v24
	s_and_saveexec_b64 s[34:35], s[30:31]
; %bb.165:
	v_cmp_gt_i64_e64 s[30:31], v[4:5], v[12:13]
	s_nop 1
	v_cndmask_b32_e64 v8, v12, v4, s[30:31]
	v_cndmask_b32_e64 v9, v13, v5, s[30:31]
	v_cmp_eq_u32_e64 s[30:31], 0, v21
	s_nop 1
	v_cndmask_b32_e64 v9, v5, v9, s[30:31]
	v_cndmask_b32_e64 v8, v4, v8, s[30:31]
	v_or_b32_e32 v4, v25, v21
	v_and_b32_e32 v21, 1, v4
	v_mov_b64_e32 v[4:5], v[8:9]
; %bb.166:
	s_or_b64 exec, exec, s[34:35]
	v_mov_b32_dpp v12, v8 row_shr:4 row_mask:0xf bank_mask:0xf
	v_mov_b32_dpp v13, v9 row_shr:4 row_mask:0xf bank_mask:0xf
	v_mov_b32_dpp v25, v21 row_shr:4 row_mask:0xf bank_mask:0xf
	v_cmp_lt_u32_e64 s[30:31], 3, v24
	s_and_saveexec_b64 s[34:35], s[30:31]
; %bb.167:
	v_cmp_gt_i64_e64 s[30:31], v[4:5], v[12:13]
	s_nop 1
	v_cndmask_b32_e64 v8, v12, v4, s[30:31]
	v_cndmask_b32_e64 v9, v13, v5, s[30:31]
	v_cmp_eq_u32_e64 s[30:31], 0, v21
	s_nop 1
	v_cndmask_b32_e64 v9, v5, v9, s[30:31]
	v_cndmask_b32_e64 v8, v4, v8, s[30:31]
	v_or_b32_e32 v4, v25, v21
	v_and_b32_e32 v21, 1, v4
	v_mov_b64_e32 v[4:5], v[8:9]
; %bb.168:
	s_or_b64 exec, exec, s[34:35]
	;; [unrolled: 19-line block ×3, first 2 shown]
	v_and_b32_e32 v25, 16, v20
	v_mov_b32_dpp v12, v8 row_bcast:15 row_mask:0xf bank_mask:0xf
	v_mov_b32_dpp v13, v9 row_bcast:15 row_mask:0xf bank_mask:0xf
	;; [unrolled: 1-line block ×3, first 2 shown]
	v_cmp_ne_u32_e64 s[30:31], 0, v25
	s_and_saveexec_b64 s[34:35], s[30:31]
; %bb.171:
	v_cmp_gt_i64_e64 s[30:31], v[4:5], v[12:13]
	s_nop 1
	v_cndmask_b32_e64 v8, v12, v4, s[30:31]
	v_cndmask_b32_e64 v9, v13, v5, s[30:31]
	v_cmp_eq_u32_e64 s[30:31], 0, v21
	s_nop 1
	v_cndmask_b32_e64 v5, v5, v9, s[30:31]
	v_cndmask_b32_e64 v4, v4, v8, s[30:31]
	v_or_b32_e32 v8, v24, v21
	v_and_b32_e32 v21, 1, v8
	v_mov_b32_e32 v9, v5
	v_mov_b32_e32 v8, v4
; %bb.172:
	s_or_b64 exec, exec, s[34:35]
	s_nop 0
	v_mov_b32_dpp v8, v8 row_bcast:31 row_mask:0xf bank_mask:0xf
	v_mov_b32_dpp v9, v9 row_bcast:31 row_mask:0xf bank_mask:0xf
	;; [unrolled: 1-line block ×3, first 2 shown]
	v_cmp_lt_u32_e64 s[30:31], 31, v20
	v_mov_b32_e32 v12, v21
	s_and_saveexec_b64 s[34:35], s[30:31]
; %bb.173:
	v_cmp_gt_i64_e64 s[30:31], v[4:5], v[8:9]
	s_nop 1
	v_cndmask_b32_e64 v8, v8, v4, s[30:31]
	v_cndmask_b32_e64 v9, v9, v5, s[30:31]
	v_cmp_eq_u32_e64 s[30:31], 0, v21
	s_nop 1
	v_cndmask_b32_e64 v4, v4, v8, s[30:31]
	v_or_b32_e32 v8, v13, v21
	v_cndmask_b32_e64 v5, v5, v9, s[30:31]
	v_and_b32_e32 v12, 1, v8
	v_and_b32_e32 v21, 1, v8
; %bb.174:
	s_or_b64 exec, exec, s[34:35]
	v_or_b32_e32 v8, 63, v0
	v_lshrrev_b32_e32 v24, 6, v0
	v_cmp_eq_u32_e64 s[30:31], v8, v0
	s_and_saveexec_b64 s[34:35], s[30:31]
	s_cbranch_execz .LBB139_176
; %bb.175:
	v_lshlrev_b32_e32 v8, 4, v24
	ds_write_b64 v8, v[4:5]
	ds_write_b8 v8, v12 offset:8
.LBB139_176:
	s_or_b64 exec, exec, s[34:35]
	v_cmp_gt_u32_e64 s[30:31], 4, v0
	s_waitcnt lgkmcnt(0)
	s_barrier
	s_and_saveexec_b64 s[36:37], s[30:31]
	s_cbranch_execz .LBB139_182
; %bb.177:
	v_lshlrev_b32_e32 v25, 4, v0
	ds_read_b64 v[8:9], v25
	ds_read_b32 v28, v25 offset:8
	v_and_b32_e32 v29, 3, v20
	v_cmp_ne_u32_e64 s[30:31], 0, v29
	s_waitcnt lgkmcnt(1)
	v_mov_b32_dpp v12, v8 row_shr:1 row_mask:0xf bank_mask:0xf
	v_mov_b32_dpp v13, v9 row_shr:1 row_mask:0xf bank_mask:0xf
	s_waitcnt lgkmcnt(0)
	v_mov_b32_dpp v36, v28 row_shr:1 row_mask:0xf bank_mask:0xf
	v_mov_b32_e32 v33, v28
	v_mov_b32_e32 v32, v28
	s_and_saveexec_b64 s[34:35], s[30:31]
	s_cbranch_execz .LBB139_179
; %bb.178:
	v_mov_b32_e32 v32, 0
	v_cmp_gt_i64_e64 s[30:31], v[8:9], v[12:13]
	s_nop 1
	v_cndmask_b32_e64 v12, v12, v8, s[30:31]
	v_cndmask_b32_e64 v13, v13, v9, s[30:31]
	v_cmp_eq_u16_sdwa s[30:31], v28, v32 src0_sel:BYTE_0 src1_sel:DWORD
	s_nop 1
	v_cndmask_b32_e64 v8, v8, v12, s[30:31]
	v_or_b32_e32 v12, v36, v28
	v_cndmask_b32_e64 v9, v9, v13, s[30:31]
	v_and_b32_e32 v32, 1, v12
	s_movk_i32 s30, 0xff00
	v_and_b32_e32 v33, 1, v12
	v_and_or_b32 v28, v28, s30, v32
.LBB139_179:
	s_or_b64 exec, exec, s[34:35]
	v_mov_b32_dpp v12, v8 row_shr:2 row_mask:0xf bank_mask:0xf
	v_mov_b32_dpp v13, v9 row_shr:2 row_mask:0xf bank_mask:0xf
	v_mov_b32_dpp v28, v28 row_shr:2 row_mask:0xf bank_mask:0xf
	v_cmp_lt_u32_e64 s[30:31], 1, v29
	s_and_saveexec_b64 s[46:47], s[30:31]
	s_cbranch_execz .LBB139_181
; %bb.180:
	v_mov_b32_e32 v29, 0
	v_cmp_gt_i64_e64 s[30:31], v[8:9], v[12:13]
	s_nop 1
	v_cndmask_b32_e64 v12, v12, v8, s[30:31]
	v_cndmask_b32_e64 v13, v13, v9, s[30:31]
	v_cmp_eq_u16_sdwa s[30:31], v32, v29 src0_sel:BYTE_0 src1_sel:DWORD
	s_nop 1
	v_cndmask_b32_e64 v8, v8, v12, s[30:31]
	v_and_b32_e32 v12, 1, v32
	v_cndmask_b32_e64 v9, v9, v13, s[30:31]
	v_cmp_eq_u32_e64 s[30:31], 1, v12
	v_and_b32_e32 v12, 1, v28
	v_cmp_eq_u32_e64 s[34:35], 1, v12
	s_or_b64 s[30:31], s[30:31], s[34:35]
	v_cndmask_b32_e64 v33, 0, 1, s[30:31]
.LBB139_181:
	s_or_b64 exec, exec, s[46:47]
	ds_write_b64 v25, v[8:9]
	ds_write_b8 v25, v33 offset:8
.LBB139_182:
	s_or_b64 exec, exec, s[36:37]
	v_cmp_lt_u32_e64 s[30:31], 63, v0
	v_mov_b64_e32 v[8:9], 0
	s_waitcnt lgkmcnt(0)
	s_barrier
	s_and_saveexec_b64 s[34:35], s[30:31]
	s_cbranch_execz .LBB139_184
; %bb.183:
	v_lshl_add_u32 v8, v24, 4, -16
	ds_read_b64 v[8:9], v8
	s_waitcnt lgkmcnt(0)
	v_cmp_gt_i64_e64 s[30:31], v[4:5], v[8:9]
	s_nop 1
	v_cndmask_b32_e64 v12, v8, v4, s[30:31]
	v_cndmask_b32_e64 v13, v9, v5, s[30:31]
	v_cmp_eq_u32_e64 s[30:31], 0, v21
	s_nop 1
	v_cndmask_b32_e64 v5, v5, v13, s[30:31]
	v_cndmask_b32_e64 v4, v4, v12, s[30:31]
.LBB139_184:
	s_or_b64 exec, exec, s[34:35]
	v_add_u32_e32 v12, -1, v20
	v_and_b32_e32 v13, 64, v20
	v_cmp_lt_i32_e64 s[30:31], v12, v13
	s_nop 1
	v_cndmask_b32_e64 v12, v12, v20, s[30:31]
	v_lshlrev_b32_e32 v12, 2, v12
	ds_bpermute_b32 v4, v12, v4
	ds_bpermute_b32 v5, v12, v5
	s_and_saveexec_b64 s[30:31], s[2:3]
	s_cbranch_execz .LBB139_186
; %bb.185:
	v_cmp_eq_u32_e64 s[2:3], 0, v20
	;;#ASMSTART
	;;#ASMEND
	s_waitcnt lgkmcnt(0)
	s_nop 0
	v_cndmask_b32_e64 v5, v5, v9, s[2:3]
	v_cndmask_b32_e64 v4, v4, v8, s[2:3]
	v_mov_b32_e32 v8, 0
	v_cmp_gt_i64_e64 s[2:3], v[2:3], v[4:5]
	s_nop 1
	v_cndmask_b32_e64 v4, v4, v2, s[2:3]
	v_cndmask_b32_e64 v5, v5, v3, s[2:3]
	v_cmp_eq_u16_sdwa s[2:3], v1, v8 src0_sel:BYTE_0 src1_sel:DWORD
	s_nop 1
	v_cndmask_b32_e64 v3, v3, v5, s[2:3]
	v_cndmask_b32_e64 v2, v2, v4, s[2:3]
	v_cmp_gt_i64_e64 s[2:3], v[14:15], v[2:3]
	s_nop 1
	v_cndmask_b32_e64 v1, v2, v14, s[2:3]
	v_cndmask_b32_e64 v4, v3, v15, s[2:3]
	v_cndmask_b32_e64 v51, v15, v4, s[4:5]
	v_cndmask_b32_e64 v50, v14, v1, s[4:5]
	v_cmp_gt_i64_e64 s[2:3], v[6:7], v[50:51]
	s_nop 1
	v_cndmask_b32_e64 v1, v50, v6, s[2:3]
	v_cndmask_b32_e64 v4, v51, v7, s[2:3]
	;; [unrolled: 6-line block ×13, first 2 shown]
	v_cndmask_b32_e64 v75, v17, v4, s[28:29]
	v_cndmask_b32_e64 v74, v16, v1, s[28:29]
.LBB139_186:
	s_or_b64 exec, exec, s[30:31]
	s_and_saveexec_b64 s[2:3], vcc
	s_cbranch_execz .LBB139_188
; %bb.187:
	v_mov_b32_e32 v1, 0
	s_waitcnt lgkmcnt(0)
	ds_read_b64 v[4:5], v1 offset:48
	ds_read_u8 v6, v1 offset:56
	s_waitcnt lgkmcnt(1)
	global_store_dword v1, v4, s[38:39] offset:1024 sc1
	global_store_dword v1, v5, s[38:39] offset:1028 sc1
	s_waitcnt lgkmcnt(0)
	global_store_dword v1, v6, s[38:39] offset:1032 sc1
	global_store_dword v1, v1, s[38:39] offset:1036 sc1
	v_mov_b32_e32 v4, 2
	s_waitcnt vmcnt(0)
	global_store_byte v1, v4, s[40:41] offset:64 sc1
.LBB139_188:
	s_or_b64 exec, exec, s[2:3]
	v_mov_b64_e32 v[48:49], v[2:3]
.LBB139_189:
	s_lshl_b64 s[2:3], s[60:61], 3
	s_add_u32 s4, s50, s2
	s_addc_u32 s5, s51, s3
	s_lshl_b64 s[2:3], s[44:45], 3
	s_add_u32 s2, s4, s2
	v_mul_u32_u24_e32 v1, 14, v0
	s_addc_u32 s3, s5, s3
	s_and_b64 vcc, exec, s[0:1]
	v_lshlrev_b32_e32 v1, 3, v1
	s_cbranch_vccz .LBB139_217
; %bb.190:
	s_movk_i32 s0, 0xff98
	v_mad_i32_i24 v2, v0, s0, v1
	s_waitcnt lgkmcnt(0)
	s_barrier
	ds_write_b128 v1, v[48:51]
	ds_write_b128 v1, v[52:55] offset:16
	ds_write_b128 v1, v[56:59] offset:32
	;; [unrolled: 1-line block ×6, first 2 shown]
	s_waitcnt lgkmcnt(0)
	s_barrier
	ds_read2st64_b64 v[26:29], v2 offset0:4 offset1:8
	ds_read2st64_b64 v[22:25], v2 offset0:12 offset1:16
	;; [unrolled: 1-line block ×6, first 2 shown]
	ds_read_b64 v[4:5], v2 offset:26624
	v_mov_b32_e32 v2, s3
	v_sub_co_u32_e32 v3, vcc, s2, v40
	s_add_i32 s33, s33, s42
	s_nop 0
	v_subbrev_co_u32_e32 v2, vcc, 0, v2, vcc
	v_cmp_gt_u32_e32 vcc, s33, v0
	s_and_saveexec_b64 s[0:1], vcc
	s_cbranch_execz .LBB139_192
; %bb.191:
	v_mul_i32_i24_e32 v30, 0xffffff98, v0
	v_add_u32_e32 v30, v1, v30
	ds_read_b64 v[30:31], v30
	v_add_co_u32_e32 v32, vcc, -8, v3
	s_nop 1
	v_addc_co_u32_e32 v33, vcc, -1, v2, vcc
	s_waitcnt lgkmcnt(0)
	flat_store_dwordx2 v[32:33], v[30:31]
.LBB139_192:
	s_or_b64 exec, exec, s[0:1]
	v_or_b32_e32 v30, 0x100, v0
	v_cmp_gt_u32_e32 vcc, s33, v30
	s_and_saveexec_b64 s[0:1], vcc
	s_cbranch_execz .LBB139_194
; %bb.193:
	v_add_co_u32_e32 v30, vcc, 0xfffff7f8, v3
	s_nop 1
	v_addc_co_u32_e32 v31, vcc, -1, v2, vcc
	s_waitcnt lgkmcnt(0)
	flat_store_dwordx2 v[30:31], v[26:27]
.LBB139_194:
	s_or_b64 exec, exec, s[0:1]
	s_waitcnt lgkmcnt(0)
	v_or_b32_e32 v26, 0x200, v0
	v_cmp_gt_u32_e32 vcc, s33, v26
	s_and_saveexec_b64 s[0:1], vcc
	s_cbranch_execz .LBB139_196
; %bb.195:
	v_add_co_u32_e32 v26, vcc, 0xffffeff8, v3
	s_nop 1
	v_addc_co_u32_e32 v27, vcc, -1, v2, vcc
	flat_store_dwordx2 v[26:27], v[28:29]
.LBB139_196:
	s_or_b64 exec, exec, s[0:1]
	v_or_b32_e32 v26, 0x300, v0
	v_cmp_gt_u32_e32 vcc, s33, v26
	s_and_saveexec_b64 s[0:1], vcc
	s_cbranch_execz .LBB139_198
; %bb.197:
	v_add_co_u32_e32 v26, vcc, 0xffffe7f8, v3
	s_nop 1
	v_addc_co_u32_e32 v27, vcc, -1, v2, vcc
	flat_store_dwordx2 v[26:27], v[22:23]
.LBB139_198:
	s_or_b64 exec, exec, s[0:1]
	;; [unrolled: 11-line block ×10, first 2 shown]
	v_sub_co_u32_e32 v6, vcc, 0, v0
	v_or_b32_e32 v10, 0xc00, v0
	s_nop 0
	v_subb_co_u32_e64 v7, s[0:1], 0, 0, vcc
	v_cmp_gt_u32_e32 vcc, s33, v10
	s_and_saveexec_b64 s[0:1], vcc
	s_cbranch_execz .LBB139_216
; %bb.215:
	v_add_co_u32_e32 v10, vcc, 0xffff9ff8, v3
	s_nop 1
	v_addc_co_u32_e32 v11, vcc, -1, v2, vcc
	flat_store_dwordx2 v[10:11], v[8:9]
.LBB139_216:
	s_or_b64 exec, exec, s[0:1]
	v_or_b32_e32 v2, 0xd00, v0
	v_cmp_gt_u32_e64 s[0:1], s33, v2
	s_branch .LBB139_219
.LBB139_217:
	s_mov_b64 s[0:1], 0
                                        ; implicit-def: $vgpr4_vgpr5
                                        ; implicit-def: $vgpr6_vgpr7
	s_cbranch_execz .LBB139_219
; %bb.218:
	s_movk_i32 s4, 0xff98
	v_sub_co_u32_e32 v6, vcc, 0, v0
	s_waitcnt lgkmcnt(0)
	s_barrier
	ds_write_b128 v1, v[48:51]
	ds_write_b128 v1, v[52:55] offset:16
	ds_write_b128 v1, v[56:59] offset:32
	;; [unrolled: 1-line block ×6, first 2 shown]
	v_mad_i32_i24 v1, v0, s4, v1
	v_subb_co_u32_e64 v7, s[4:5], 0, 0, vcc
	v_mov_b32_e32 v0, s3
	v_sub_co_u32_e32 v32, vcc, s2, v40
	s_movk_i32 s4, 0xf7f8
	s_nop 0
	v_subbrev_co_u32_e32 v33, vcc, 0, v0, vcc
	v_add_co_u32_e32 v0, vcc, s4, v32
	s_waitcnt lgkmcnt(0)
	s_barrier
	ds_read2st64_b64 v[8:11], v1 offset1:4
	ds_read2st64_b64 v[12:15], v1 offset0:8 offset1:12
	ds_read2st64_b64 v[16:19], v1 offset0:16 offset1:20
	;; [unrolled: 1-line block ×6, first 2 shown]
	v_addc_co_u32_e32 v1, vcc, -1, v33, vcc
	s_movk_i32 s4, 0xe7f8
	s_waitcnt lgkmcnt(0)
	flat_store_dwordx2 v[0:1], v[8:9] offset:2048
	flat_store_dwordx2 v[0:1], v[10:11]
	v_add_co_u32_e32 v0, vcc, s4, v32
	s_movk_i32 s4, 0xd7f8
	s_nop 0
	v_addc_co_u32_e32 v1, vcc, -1, v33, vcc
	flat_store_dwordx2 v[0:1], v[12:13] offset:2048
	flat_store_dwordx2 v[0:1], v[14:15]
	v_add_co_u32_e32 v0, vcc, s4, v32
	s_movk_i32 s4, 0xc7f8
	s_nop 0
	v_addc_co_u32_e32 v1, vcc, -1, v33, vcc
	;; [unrolled: 6-line block ×3, first 2 shown]
	flat_store_dwordx2 v[0:1], v[20:21] offset:2048
	flat_store_dwordx2 v[0:1], v[22:23]
	v_add_co_u32_e32 v0, vcc, s4, v32
	s_or_b64 s[0:1], s[0:1], exec
	s_nop 0
	v_addc_co_u32_e32 v1, vcc, -1, v33, vcc
	flat_store_dwordx2 v[0:1], v[24:25] offset:2048
	flat_store_dwordx2 v[0:1], v[26:27]
	v_add_co_u32_e32 v0, vcc, 0xffffaff8, v32
	s_nop 1
	v_addc_co_u32_e32 v1, vcc, -1, v33, vcc
	flat_store_dwordx2 v[0:1], v[28:29]
	v_add_co_u32_e32 v0, vcc, 0xffffa7f8, v32
	s_nop 1
	v_addc_co_u32_e32 v1, vcc, -1, v33, vcc
	flat_store_dwordx2 v[0:1], v[30:31]
	v_add_co_u32_e32 v0, vcc, 0xffff9ff8, v32
	s_nop 1
	v_addc_co_u32_e32 v1, vcc, -1, v33, vcc
	flat_store_dwordx2 v[0:1], v[2:3]
.LBB139_219:
	s_and_saveexec_b64 s[4:5], s[0:1]
	s_cbranch_execz .LBB139_221
; %bb.220:
	v_lshl_add_u64 v[0:1], v[6:7], 3, s[2:3]
	v_add_co_u32_e32 v0, vcc, 0xffff97f8, v0
	s_nop 1
	v_addc_co_u32_e32 v1, vcc, -1, v1, vcc
	s_waitcnt lgkmcnt(0)
	flat_store_dwordx2 v[0:1], v[4:5]
	s_endpgm
.LBB139_221:
	s_endpgm
	.section	.rodata,"a",@progbits
	.p2align	6, 0x0
	.amdhsa_kernel _ZN7rocprim17ROCPRIM_400000_NS6detail17trampoline_kernelINS0_14default_configENS1_27scan_by_key_config_selectorIllEEZZNS1_16scan_by_key_implILNS1_25lookback_scan_determinismE0ELb0ES3_N6thrust23THRUST_200600_302600_NS16reverse_iteratorIPKlEESD_NSA_IPlEElN6hipcub16HIPCUB_304000_NS3MaxENSH_8EqualityElEE10hipError_tPvRmT2_T3_T4_T5_mT6_T7_P12ihipStream_tbENKUlT_T0_E_clISt17integral_constantIbLb0EES10_EEDaSV_SW_EUlSV_E_NS1_11comp_targetILNS1_3genE5ELNS1_11target_archE942ELNS1_3gpuE9ELNS1_3repE0EEENS1_30default_config_static_selectorELNS0_4arch9wavefront6targetE1EEEvT1_
		.amdhsa_group_segment_fixed_size 32768
		.amdhsa_private_segment_fixed_size 0
		.amdhsa_kernarg_size 136
		.amdhsa_user_sgpr_count 2
		.amdhsa_user_sgpr_dispatch_ptr 0
		.amdhsa_user_sgpr_queue_ptr 0
		.amdhsa_user_sgpr_kernarg_segment_ptr 1
		.amdhsa_user_sgpr_dispatch_id 0
		.amdhsa_user_sgpr_kernarg_preload_length 0
		.amdhsa_user_sgpr_kernarg_preload_offset 0
		.amdhsa_user_sgpr_private_segment_size 0
		.amdhsa_uses_dynamic_stack 0
		.amdhsa_enable_private_segment 0
		.amdhsa_system_sgpr_workgroup_id_x 1
		.amdhsa_system_sgpr_workgroup_id_y 0
		.amdhsa_system_sgpr_workgroup_id_z 0
		.amdhsa_system_sgpr_workgroup_info 0
		.amdhsa_system_vgpr_workitem_id 0
		.amdhsa_next_free_vgpr 92
		.amdhsa_next_free_sgpr 66
		.amdhsa_accum_offset 92
		.amdhsa_reserve_vcc 1
		.amdhsa_float_round_mode_32 0
		.amdhsa_float_round_mode_16_64 0
		.amdhsa_float_denorm_mode_32 3
		.amdhsa_float_denorm_mode_16_64 3
		.amdhsa_dx10_clamp 1
		.amdhsa_ieee_mode 1
		.amdhsa_fp16_overflow 0
		.amdhsa_tg_split 0
		.amdhsa_exception_fp_ieee_invalid_op 0
		.amdhsa_exception_fp_denorm_src 0
		.amdhsa_exception_fp_ieee_div_zero 0
		.amdhsa_exception_fp_ieee_overflow 0
		.amdhsa_exception_fp_ieee_underflow 0
		.amdhsa_exception_fp_ieee_inexact 0
		.amdhsa_exception_int_div_zero 0
	.end_amdhsa_kernel
	.section	.text._ZN7rocprim17ROCPRIM_400000_NS6detail17trampoline_kernelINS0_14default_configENS1_27scan_by_key_config_selectorIllEEZZNS1_16scan_by_key_implILNS1_25lookback_scan_determinismE0ELb0ES3_N6thrust23THRUST_200600_302600_NS16reverse_iteratorIPKlEESD_NSA_IPlEElN6hipcub16HIPCUB_304000_NS3MaxENSH_8EqualityElEE10hipError_tPvRmT2_T3_T4_T5_mT6_T7_P12ihipStream_tbENKUlT_T0_E_clISt17integral_constantIbLb0EES10_EEDaSV_SW_EUlSV_E_NS1_11comp_targetILNS1_3genE5ELNS1_11target_archE942ELNS1_3gpuE9ELNS1_3repE0EEENS1_30default_config_static_selectorELNS0_4arch9wavefront6targetE1EEEvT1_,"axG",@progbits,_ZN7rocprim17ROCPRIM_400000_NS6detail17trampoline_kernelINS0_14default_configENS1_27scan_by_key_config_selectorIllEEZZNS1_16scan_by_key_implILNS1_25lookback_scan_determinismE0ELb0ES3_N6thrust23THRUST_200600_302600_NS16reverse_iteratorIPKlEESD_NSA_IPlEElN6hipcub16HIPCUB_304000_NS3MaxENSH_8EqualityElEE10hipError_tPvRmT2_T3_T4_T5_mT6_T7_P12ihipStream_tbENKUlT_T0_E_clISt17integral_constantIbLb0EES10_EEDaSV_SW_EUlSV_E_NS1_11comp_targetILNS1_3genE5ELNS1_11target_archE942ELNS1_3gpuE9ELNS1_3repE0EEENS1_30default_config_static_selectorELNS0_4arch9wavefront6targetE1EEEvT1_,comdat
.Lfunc_end139:
	.size	_ZN7rocprim17ROCPRIM_400000_NS6detail17trampoline_kernelINS0_14default_configENS1_27scan_by_key_config_selectorIllEEZZNS1_16scan_by_key_implILNS1_25lookback_scan_determinismE0ELb0ES3_N6thrust23THRUST_200600_302600_NS16reverse_iteratorIPKlEESD_NSA_IPlEElN6hipcub16HIPCUB_304000_NS3MaxENSH_8EqualityElEE10hipError_tPvRmT2_T3_T4_T5_mT6_T7_P12ihipStream_tbENKUlT_T0_E_clISt17integral_constantIbLb0EES10_EEDaSV_SW_EUlSV_E_NS1_11comp_targetILNS1_3genE5ELNS1_11target_archE942ELNS1_3gpuE9ELNS1_3repE0EEENS1_30default_config_static_selectorELNS0_4arch9wavefront6targetE1EEEvT1_, .Lfunc_end139-_ZN7rocprim17ROCPRIM_400000_NS6detail17trampoline_kernelINS0_14default_configENS1_27scan_by_key_config_selectorIllEEZZNS1_16scan_by_key_implILNS1_25lookback_scan_determinismE0ELb0ES3_N6thrust23THRUST_200600_302600_NS16reverse_iteratorIPKlEESD_NSA_IPlEElN6hipcub16HIPCUB_304000_NS3MaxENSH_8EqualityElEE10hipError_tPvRmT2_T3_T4_T5_mT6_T7_P12ihipStream_tbENKUlT_T0_E_clISt17integral_constantIbLb0EES10_EEDaSV_SW_EUlSV_E_NS1_11comp_targetILNS1_3genE5ELNS1_11target_archE942ELNS1_3gpuE9ELNS1_3repE0EEENS1_30default_config_static_selectorELNS0_4arch9wavefront6targetE1EEEvT1_
                                        ; -- End function
	.section	.AMDGPU.csdata,"",@progbits
; Kernel info:
; codeLenInByte = 14168
; NumSgprs: 72
; NumVgprs: 92
; NumAgprs: 0
; TotalNumVgprs: 92
; ScratchSize: 0
; MemoryBound: 0
; FloatMode: 240
; IeeeMode: 1
; LDSByteSize: 32768 bytes/workgroup (compile time only)
; SGPRBlocks: 8
; VGPRBlocks: 11
; NumSGPRsForWavesPerEU: 72
; NumVGPRsForWavesPerEU: 92
; AccumOffset: 92
; Occupancy: 2
; WaveLimiterHint : 1
; COMPUTE_PGM_RSRC2:SCRATCH_EN: 0
; COMPUTE_PGM_RSRC2:USER_SGPR: 2
; COMPUTE_PGM_RSRC2:TRAP_HANDLER: 0
; COMPUTE_PGM_RSRC2:TGID_X_EN: 1
; COMPUTE_PGM_RSRC2:TGID_Y_EN: 0
; COMPUTE_PGM_RSRC2:TGID_Z_EN: 0
; COMPUTE_PGM_RSRC2:TIDIG_COMP_CNT: 0
; COMPUTE_PGM_RSRC3_GFX90A:ACCUM_OFFSET: 22
; COMPUTE_PGM_RSRC3_GFX90A:TG_SPLIT: 0
	.section	.text._ZN7rocprim17ROCPRIM_400000_NS6detail17trampoline_kernelINS0_14default_configENS1_27scan_by_key_config_selectorIllEEZZNS1_16scan_by_key_implILNS1_25lookback_scan_determinismE0ELb0ES3_N6thrust23THRUST_200600_302600_NS16reverse_iteratorIPKlEESD_NSA_IPlEElN6hipcub16HIPCUB_304000_NS3MaxENSH_8EqualityElEE10hipError_tPvRmT2_T3_T4_T5_mT6_T7_P12ihipStream_tbENKUlT_T0_E_clISt17integral_constantIbLb0EES10_EEDaSV_SW_EUlSV_E_NS1_11comp_targetILNS1_3genE4ELNS1_11target_archE910ELNS1_3gpuE8ELNS1_3repE0EEENS1_30default_config_static_selectorELNS0_4arch9wavefront6targetE1EEEvT1_,"axG",@progbits,_ZN7rocprim17ROCPRIM_400000_NS6detail17trampoline_kernelINS0_14default_configENS1_27scan_by_key_config_selectorIllEEZZNS1_16scan_by_key_implILNS1_25lookback_scan_determinismE0ELb0ES3_N6thrust23THRUST_200600_302600_NS16reverse_iteratorIPKlEESD_NSA_IPlEElN6hipcub16HIPCUB_304000_NS3MaxENSH_8EqualityElEE10hipError_tPvRmT2_T3_T4_T5_mT6_T7_P12ihipStream_tbENKUlT_T0_E_clISt17integral_constantIbLb0EES10_EEDaSV_SW_EUlSV_E_NS1_11comp_targetILNS1_3genE4ELNS1_11target_archE910ELNS1_3gpuE8ELNS1_3repE0EEENS1_30default_config_static_selectorELNS0_4arch9wavefront6targetE1EEEvT1_,comdat
	.protected	_ZN7rocprim17ROCPRIM_400000_NS6detail17trampoline_kernelINS0_14default_configENS1_27scan_by_key_config_selectorIllEEZZNS1_16scan_by_key_implILNS1_25lookback_scan_determinismE0ELb0ES3_N6thrust23THRUST_200600_302600_NS16reverse_iteratorIPKlEESD_NSA_IPlEElN6hipcub16HIPCUB_304000_NS3MaxENSH_8EqualityElEE10hipError_tPvRmT2_T3_T4_T5_mT6_T7_P12ihipStream_tbENKUlT_T0_E_clISt17integral_constantIbLb0EES10_EEDaSV_SW_EUlSV_E_NS1_11comp_targetILNS1_3genE4ELNS1_11target_archE910ELNS1_3gpuE8ELNS1_3repE0EEENS1_30default_config_static_selectorELNS0_4arch9wavefront6targetE1EEEvT1_ ; -- Begin function _ZN7rocprim17ROCPRIM_400000_NS6detail17trampoline_kernelINS0_14default_configENS1_27scan_by_key_config_selectorIllEEZZNS1_16scan_by_key_implILNS1_25lookback_scan_determinismE0ELb0ES3_N6thrust23THRUST_200600_302600_NS16reverse_iteratorIPKlEESD_NSA_IPlEElN6hipcub16HIPCUB_304000_NS3MaxENSH_8EqualityElEE10hipError_tPvRmT2_T3_T4_T5_mT6_T7_P12ihipStream_tbENKUlT_T0_E_clISt17integral_constantIbLb0EES10_EEDaSV_SW_EUlSV_E_NS1_11comp_targetILNS1_3genE4ELNS1_11target_archE910ELNS1_3gpuE8ELNS1_3repE0EEENS1_30default_config_static_selectorELNS0_4arch9wavefront6targetE1EEEvT1_
	.globl	_ZN7rocprim17ROCPRIM_400000_NS6detail17trampoline_kernelINS0_14default_configENS1_27scan_by_key_config_selectorIllEEZZNS1_16scan_by_key_implILNS1_25lookback_scan_determinismE0ELb0ES3_N6thrust23THRUST_200600_302600_NS16reverse_iteratorIPKlEESD_NSA_IPlEElN6hipcub16HIPCUB_304000_NS3MaxENSH_8EqualityElEE10hipError_tPvRmT2_T3_T4_T5_mT6_T7_P12ihipStream_tbENKUlT_T0_E_clISt17integral_constantIbLb0EES10_EEDaSV_SW_EUlSV_E_NS1_11comp_targetILNS1_3genE4ELNS1_11target_archE910ELNS1_3gpuE8ELNS1_3repE0EEENS1_30default_config_static_selectorELNS0_4arch9wavefront6targetE1EEEvT1_
	.p2align	8
	.type	_ZN7rocprim17ROCPRIM_400000_NS6detail17trampoline_kernelINS0_14default_configENS1_27scan_by_key_config_selectorIllEEZZNS1_16scan_by_key_implILNS1_25lookback_scan_determinismE0ELb0ES3_N6thrust23THRUST_200600_302600_NS16reverse_iteratorIPKlEESD_NSA_IPlEElN6hipcub16HIPCUB_304000_NS3MaxENSH_8EqualityElEE10hipError_tPvRmT2_T3_T4_T5_mT6_T7_P12ihipStream_tbENKUlT_T0_E_clISt17integral_constantIbLb0EES10_EEDaSV_SW_EUlSV_E_NS1_11comp_targetILNS1_3genE4ELNS1_11target_archE910ELNS1_3gpuE8ELNS1_3repE0EEENS1_30default_config_static_selectorELNS0_4arch9wavefront6targetE1EEEvT1_,@function
_ZN7rocprim17ROCPRIM_400000_NS6detail17trampoline_kernelINS0_14default_configENS1_27scan_by_key_config_selectorIllEEZZNS1_16scan_by_key_implILNS1_25lookback_scan_determinismE0ELb0ES3_N6thrust23THRUST_200600_302600_NS16reverse_iteratorIPKlEESD_NSA_IPlEElN6hipcub16HIPCUB_304000_NS3MaxENSH_8EqualityElEE10hipError_tPvRmT2_T3_T4_T5_mT6_T7_P12ihipStream_tbENKUlT_T0_E_clISt17integral_constantIbLb0EES10_EEDaSV_SW_EUlSV_E_NS1_11comp_targetILNS1_3genE4ELNS1_11target_archE910ELNS1_3gpuE8ELNS1_3repE0EEENS1_30default_config_static_selectorELNS0_4arch9wavefront6targetE1EEEvT1_: ; @_ZN7rocprim17ROCPRIM_400000_NS6detail17trampoline_kernelINS0_14default_configENS1_27scan_by_key_config_selectorIllEEZZNS1_16scan_by_key_implILNS1_25lookback_scan_determinismE0ELb0ES3_N6thrust23THRUST_200600_302600_NS16reverse_iteratorIPKlEESD_NSA_IPlEElN6hipcub16HIPCUB_304000_NS3MaxENSH_8EqualityElEE10hipError_tPvRmT2_T3_T4_T5_mT6_T7_P12ihipStream_tbENKUlT_T0_E_clISt17integral_constantIbLb0EES10_EEDaSV_SW_EUlSV_E_NS1_11comp_targetILNS1_3genE4ELNS1_11target_archE910ELNS1_3gpuE8ELNS1_3repE0EEENS1_30default_config_static_selectorELNS0_4arch9wavefront6targetE1EEEvT1_
; %bb.0:
	.section	.rodata,"a",@progbits
	.p2align	6, 0x0
	.amdhsa_kernel _ZN7rocprim17ROCPRIM_400000_NS6detail17trampoline_kernelINS0_14default_configENS1_27scan_by_key_config_selectorIllEEZZNS1_16scan_by_key_implILNS1_25lookback_scan_determinismE0ELb0ES3_N6thrust23THRUST_200600_302600_NS16reverse_iteratorIPKlEESD_NSA_IPlEElN6hipcub16HIPCUB_304000_NS3MaxENSH_8EqualityElEE10hipError_tPvRmT2_T3_T4_T5_mT6_T7_P12ihipStream_tbENKUlT_T0_E_clISt17integral_constantIbLb0EES10_EEDaSV_SW_EUlSV_E_NS1_11comp_targetILNS1_3genE4ELNS1_11target_archE910ELNS1_3gpuE8ELNS1_3repE0EEENS1_30default_config_static_selectorELNS0_4arch9wavefront6targetE1EEEvT1_
		.amdhsa_group_segment_fixed_size 0
		.amdhsa_private_segment_fixed_size 0
		.amdhsa_kernarg_size 136
		.amdhsa_user_sgpr_count 2
		.amdhsa_user_sgpr_dispatch_ptr 0
		.amdhsa_user_sgpr_queue_ptr 0
		.amdhsa_user_sgpr_kernarg_segment_ptr 1
		.amdhsa_user_sgpr_dispatch_id 0
		.amdhsa_user_sgpr_kernarg_preload_length 0
		.amdhsa_user_sgpr_kernarg_preload_offset 0
		.amdhsa_user_sgpr_private_segment_size 0
		.amdhsa_uses_dynamic_stack 0
		.amdhsa_enable_private_segment 0
		.amdhsa_system_sgpr_workgroup_id_x 1
		.amdhsa_system_sgpr_workgroup_id_y 0
		.amdhsa_system_sgpr_workgroup_id_z 0
		.amdhsa_system_sgpr_workgroup_info 0
		.amdhsa_system_vgpr_workitem_id 0
		.amdhsa_next_free_vgpr 1
		.amdhsa_next_free_sgpr 0
		.amdhsa_accum_offset 4
		.amdhsa_reserve_vcc 0
		.amdhsa_float_round_mode_32 0
		.amdhsa_float_round_mode_16_64 0
		.amdhsa_float_denorm_mode_32 3
		.amdhsa_float_denorm_mode_16_64 3
		.amdhsa_dx10_clamp 1
		.amdhsa_ieee_mode 1
		.amdhsa_fp16_overflow 0
		.amdhsa_tg_split 0
		.amdhsa_exception_fp_ieee_invalid_op 0
		.amdhsa_exception_fp_denorm_src 0
		.amdhsa_exception_fp_ieee_div_zero 0
		.amdhsa_exception_fp_ieee_overflow 0
		.amdhsa_exception_fp_ieee_underflow 0
		.amdhsa_exception_fp_ieee_inexact 0
		.amdhsa_exception_int_div_zero 0
	.end_amdhsa_kernel
	.section	.text._ZN7rocprim17ROCPRIM_400000_NS6detail17trampoline_kernelINS0_14default_configENS1_27scan_by_key_config_selectorIllEEZZNS1_16scan_by_key_implILNS1_25lookback_scan_determinismE0ELb0ES3_N6thrust23THRUST_200600_302600_NS16reverse_iteratorIPKlEESD_NSA_IPlEElN6hipcub16HIPCUB_304000_NS3MaxENSH_8EqualityElEE10hipError_tPvRmT2_T3_T4_T5_mT6_T7_P12ihipStream_tbENKUlT_T0_E_clISt17integral_constantIbLb0EES10_EEDaSV_SW_EUlSV_E_NS1_11comp_targetILNS1_3genE4ELNS1_11target_archE910ELNS1_3gpuE8ELNS1_3repE0EEENS1_30default_config_static_selectorELNS0_4arch9wavefront6targetE1EEEvT1_,"axG",@progbits,_ZN7rocprim17ROCPRIM_400000_NS6detail17trampoline_kernelINS0_14default_configENS1_27scan_by_key_config_selectorIllEEZZNS1_16scan_by_key_implILNS1_25lookback_scan_determinismE0ELb0ES3_N6thrust23THRUST_200600_302600_NS16reverse_iteratorIPKlEESD_NSA_IPlEElN6hipcub16HIPCUB_304000_NS3MaxENSH_8EqualityElEE10hipError_tPvRmT2_T3_T4_T5_mT6_T7_P12ihipStream_tbENKUlT_T0_E_clISt17integral_constantIbLb0EES10_EEDaSV_SW_EUlSV_E_NS1_11comp_targetILNS1_3genE4ELNS1_11target_archE910ELNS1_3gpuE8ELNS1_3repE0EEENS1_30default_config_static_selectorELNS0_4arch9wavefront6targetE1EEEvT1_,comdat
.Lfunc_end140:
	.size	_ZN7rocprim17ROCPRIM_400000_NS6detail17trampoline_kernelINS0_14default_configENS1_27scan_by_key_config_selectorIllEEZZNS1_16scan_by_key_implILNS1_25lookback_scan_determinismE0ELb0ES3_N6thrust23THRUST_200600_302600_NS16reverse_iteratorIPKlEESD_NSA_IPlEElN6hipcub16HIPCUB_304000_NS3MaxENSH_8EqualityElEE10hipError_tPvRmT2_T3_T4_T5_mT6_T7_P12ihipStream_tbENKUlT_T0_E_clISt17integral_constantIbLb0EES10_EEDaSV_SW_EUlSV_E_NS1_11comp_targetILNS1_3genE4ELNS1_11target_archE910ELNS1_3gpuE8ELNS1_3repE0EEENS1_30default_config_static_selectorELNS0_4arch9wavefront6targetE1EEEvT1_, .Lfunc_end140-_ZN7rocprim17ROCPRIM_400000_NS6detail17trampoline_kernelINS0_14default_configENS1_27scan_by_key_config_selectorIllEEZZNS1_16scan_by_key_implILNS1_25lookback_scan_determinismE0ELb0ES3_N6thrust23THRUST_200600_302600_NS16reverse_iteratorIPKlEESD_NSA_IPlEElN6hipcub16HIPCUB_304000_NS3MaxENSH_8EqualityElEE10hipError_tPvRmT2_T3_T4_T5_mT6_T7_P12ihipStream_tbENKUlT_T0_E_clISt17integral_constantIbLb0EES10_EEDaSV_SW_EUlSV_E_NS1_11comp_targetILNS1_3genE4ELNS1_11target_archE910ELNS1_3gpuE8ELNS1_3repE0EEENS1_30default_config_static_selectorELNS0_4arch9wavefront6targetE1EEEvT1_
                                        ; -- End function
	.section	.AMDGPU.csdata,"",@progbits
; Kernel info:
; codeLenInByte = 0
; NumSgprs: 6
; NumVgprs: 0
; NumAgprs: 0
; TotalNumVgprs: 0
; ScratchSize: 0
; MemoryBound: 0
; FloatMode: 240
; IeeeMode: 1
; LDSByteSize: 0 bytes/workgroup (compile time only)
; SGPRBlocks: 0
; VGPRBlocks: 0
; NumSGPRsForWavesPerEU: 6
; NumVGPRsForWavesPerEU: 1
; AccumOffset: 4
; Occupancy: 8
; WaveLimiterHint : 0
; COMPUTE_PGM_RSRC2:SCRATCH_EN: 0
; COMPUTE_PGM_RSRC2:USER_SGPR: 2
; COMPUTE_PGM_RSRC2:TRAP_HANDLER: 0
; COMPUTE_PGM_RSRC2:TGID_X_EN: 1
; COMPUTE_PGM_RSRC2:TGID_Y_EN: 0
; COMPUTE_PGM_RSRC2:TGID_Z_EN: 0
; COMPUTE_PGM_RSRC2:TIDIG_COMP_CNT: 0
; COMPUTE_PGM_RSRC3_GFX90A:ACCUM_OFFSET: 0
; COMPUTE_PGM_RSRC3_GFX90A:TG_SPLIT: 0
	.section	.text._ZN7rocprim17ROCPRIM_400000_NS6detail17trampoline_kernelINS0_14default_configENS1_27scan_by_key_config_selectorIllEEZZNS1_16scan_by_key_implILNS1_25lookback_scan_determinismE0ELb0ES3_N6thrust23THRUST_200600_302600_NS16reverse_iteratorIPKlEESD_NSA_IPlEElN6hipcub16HIPCUB_304000_NS3MaxENSH_8EqualityElEE10hipError_tPvRmT2_T3_T4_T5_mT6_T7_P12ihipStream_tbENKUlT_T0_E_clISt17integral_constantIbLb0EES10_EEDaSV_SW_EUlSV_E_NS1_11comp_targetILNS1_3genE3ELNS1_11target_archE908ELNS1_3gpuE7ELNS1_3repE0EEENS1_30default_config_static_selectorELNS0_4arch9wavefront6targetE1EEEvT1_,"axG",@progbits,_ZN7rocprim17ROCPRIM_400000_NS6detail17trampoline_kernelINS0_14default_configENS1_27scan_by_key_config_selectorIllEEZZNS1_16scan_by_key_implILNS1_25lookback_scan_determinismE0ELb0ES3_N6thrust23THRUST_200600_302600_NS16reverse_iteratorIPKlEESD_NSA_IPlEElN6hipcub16HIPCUB_304000_NS3MaxENSH_8EqualityElEE10hipError_tPvRmT2_T3_T4_T5_mT6_T7_P12ihipStream_tbENKUlT_T0_E_clISt17integral_constantIbLb0EES10_EEDaSV_SW_EUlSV_E_NS1_11comp_targetILNS1_3genE3ELNS1_11target_archE908ELNS1_3gpuE7ELNS1_3repE0EEENS1_30default_config_static_selectorELNS0_4arch9wavefront6targetE1EEEvT1_,comdat
	.protected	_ZN7rocprim17ROCPRIM_400000_NS6detail17trampoline_kernelINS0_14default_configENS1_27scan_by_key_config_selectorIllEEZZNS1_16scan_by_key_implILNS1_25lookback_scan_determinismE0ELb0ES3_N6thrust23THRUST_200600_302600_NS16reverse_iteratorIPKlEESD_NSA_IPlEElN6hipcub16HIPCUB_304000_NS3MaxENSH_8EqualityElEE10hipError_tPvRmT2_T3_T4_T5_mT6_T7_P12ihipStream_tbENKUlT_T0_E_clISt17integral_constantIbLb0EES10_EEDaSV_SW_EUlSV_E_NS1_11comp_targetILNS1_3genE3ELNS1_11target_archE908ELNS1_3gpuE7ELNS1_3repE0EEENS1_30default_config_static_selectorELNS0_4arch9wavefront6targetE1EEEvT1_ ; -- Begin function _ZN7rocprim17ROCPRIM_400000_NS6detail17trampoline_kernelINS0_14default_configENS1_27scan_by_key_config_selectorIllEEZZNS1_16scan_by_key_implILNS1_25lookback_scan_determinismE0ELb0ES3_N6thrust23THRUST_200600_302600_NS16reverse_iteratorIPKlEESD_NSA_IPlEElN6hipcub16HIPCUB_304000_NS3MaxENSH_8EqualityElEE10hipError_tPvRmT2_T3_T4_T5_mT6_T7_P12ihipStream_tbENKUlT_T0_E_clISt17integral_constantIbLb0EES10_EEDaSV_SW_EUlSV_E_NS1_11comp_targetILNS1_3genE3ELNS1_11target_archE908ELNS1_3gpuE7ELNS1_3repE0EEENS1_30default_config_static_selectorELNS0_4arch9wavefront6targetE1EEEvT1_
	.globl	_ZN7rocprim17ROCPRIM_400000_NS6detail17trampoline_kernelINS0_14default_configENS1_27scan_by_key_config_selectorIllEEZZNS1_16scan_by_key_implILNS1_25lookback_scan_determinismE0ELb0ES3_N6thrust23THRUST_200600_302600_NS16reverse_iteratorIPKlEESD_NSA_IPlEElN6hipcub16HIPCUB_304000_NS3MaxENSH_8EqualityElEE10hipError_tPvRmT2_T3_T4_T5_mT6_T7_P12ihipStream_tbENKUlT_T0_E_clISt17integral_constantIbLb0EES10_EEDaSV_SW_EUlSV_E_NS1_11comp_targetILNS1_3genE3ELNS1_11target_archE908ELNS1_3gpuE7ELNS1_3repE0EEENS1_30default_config_static_selectorELNS0_4arch9wavefront6targetE1EEEvT1_
	.p2align	8
	.type	_ZN7rocprim17ROCPRIM_400000_NS6detail17trampoline_kernelINS0_14default_configENS1_27scan_by_key_config_selectorIllEEZZNS1_16scan_by_key_implILNS1_25lookback_scan_determinismE0ELb0ES3_N6thrust23THRUST_200600_302600_NS16reverse_iteratorIPKlEESD_NSA_IPlEElN6hipcub16HIPCUB_304000_NS3MaxENSH_8EqualityElEE10hipError_tPvRmT2_T3_T4_T5_mT6_T7_P12ihipStream_tbENKUlT_T0_E_clISt17integral_constantIbLb0EES10_EEDaSV_SW_EUlSV_E_NS1_11comp_targetILNS1_3genE3ELNS1_11target_archE908ELNS1_3gpuE7ELNS1_3repE0EEENS1_30default_config_static_selectorELNS0_4arch9wavefront6targetE1EEEvT1_,@function
_ZN7rocprim17ROCPRIM_400000_NS6detail17trampoline_kernelINS0_14default_configENS1_27scan_by_key_config_selectorIllEEZZNS1_16scan_by_key_implILNS1_25lookback_scan_determinismE0ELb0ES3_N6thrust23THRUST_200600_302600_NS16reverse_iteratorIPKlEESD_NSA_IPlEElN6hipcub16HIPCUB_304000_NS3MaxENSH_8EqualityElEE10hipError_tPvRmT2_T3_T4_T5_mT6_T7_P12ihipStream_tbENKUlT_T0_E_clISt17integral_constantIbLb0EES10_EEDaSV_SW_EUlSV_E_NS1_11comp_targetILNS1_3genE3ELNS1_11target_archE908ELNS1_3gpuE7ELNS1_3repE0EEENS1_30default_config_static_selectorELNS0_4arch9wavefront6targetE1EEEvT1_: ; @_ZN7rocprim17ROCPRIM_400000_NS6detail17trampoline_kernelINS0_14default_configENS1_27scan_by_key_config_selectorIllEEZZNS1_16scan_by_key_implILNS1_25lookback_scan_determinismE0ELb0ES3_N6thrust23THRUST_200600_302600_NS16reverse_iteratorIPKlEESD_NSA_IPlEElN6hipcub16HIPCUB_304000_NS3MaxENSH_8EqualityElEE10hipError_tPvRmT2_T3_T4_T5_mT6_T7_P12ihipStream_tbENKUlT_T0_E_clISt17integral_constantIbLb0EES10_EEDaSV_SW_EUlSV_E_NS1_11comp_targetILNS1_3genE3ELNS1_11target_archE908ELNS1_3gpuE7ELNS1_3repE0EEENS1_30default_config_static_selectorELNS0_4arch9wavefront6targetE1EEEvT1_
; %bb.0:
	.section	.rodata,"a",@progbits
	.p2align	6, 0x0
	.amdhsa_kernel _ZN7rocprim17ROCPRIM_400000_NS6detail17trampoline_kernelINS0_14default_configENS1_27scan_by_key_config_selectorIllEEZZNS1_16scan_by_key_implILNS1_25lookback_scan_determinismE0ELb0ES3_N6thrust23THRUST_200600_302600_NS16reverse_iteratorIPKlEESD_NSA_IPlEElN6hipcub16HIPCUB_304000_NS3MaxENSH_8EqualityElEE10hipError_tPvRmT2_T3_T4_T5_mT6_T7_P12ihipStream_tbENKUlT_T0_E_clISt17integral_constantIbLb0EES10_EEDaSV_SW_EUlSV_E_NS1_11comp_targetILNS1_3genE3ELNS1_11target_archE908ELNS1_3gpuE7ELNS1_3repE0EEENS1_30default_config_static_selectorELNS0_4arch9wavefront6targetE1EEEvT1_
		.amdhsa_group_segment_fixed_size 0
		.amdhsa_private_segment_fixed_size 0
		.amdhsa_kernarg_size 136
		.amdhsa_user_sgpr_count 2
		.amdhsa_user_sgpr_dispatch_ptr 0
		.amdhsa_user_sgpr_queue_ptr 0
		.amdhsa_user_sgpr_kernarg_segment_ptr 1
		.amdhsa_user_sgpr_dispatch_id 0
		.amdhsa_user_sgpr_kernarg_preload_length 0
		.amdhsa_user_sgpr_kernarg_preload_offset 0
		.amdhsa_user_sgpr_private_segment_size 0
		.amdhsa_uses_dynamic_stack 0
		.amdhsa_enable_private_segment 0
		.amdhsa_system_sgpr_workgroup_id_x 1
		.amdhsa_system_sgpr_workgroup_id_y 0
		.amdhsa_system_sgpr_workgroup_id_z 0
		.amdhsa_system_sgpr_workgroup_info 0
		.amdhsa_system_vgpr_workitem_id 0
		.amdhsa_next_free_vgpr 1
		.amdhsa_next_free_sgpr 0
		.amdhsa_accum_offset 4
		.amdhsa_reserve_vcc 0
		.amdhsa_float_round_mode_32 0
		.amdhsa_float_round_mode_16_64 0
		.amdhsa_float_denorm_mode_32 3
		.amdhsa_float_denorm_mode_16_64 3
		.amdhsa_dx10_clamp 1
		.amdhsa_ieee_mode 1
		.amdhsa_fp16_overflow 0
		.amdhsa_tg_split 0
		.amdhsa_exception_fp_ieee_invalid_op 0
		.amdhsa_exception_fp_denorm_src 0
		.amdhsa_exception_fp_ieee_div_zero 0
		.amdhsa_exception_fp_ieee_overflow 0
		.amdhsa_exception_fp_ieee_underflow 0
		.amdhsa_exception_fp_ieee_inexact 0
		.amdhsa_exception_int_div_zero 0
	.end_amdhsa_kernel
	.section	.text._ZN7rocprim17ROCPRIM_400000_NS6detail17trampoline_kernelINS0_14default_configENS1_27scan_by_key_config_selectorIllEEZZNS1_16scan_by_key_implILNS1_25lookback_scan_determinismE0ELb0ES3_N6thrust23THRUST_200600_302600_NS16reverse_iteratorIPKlEESD_NSA_IPlEElN6hipcub16HIPCUB_304000_NS3MaxENSH_8EqualityElEE10hipError_tPvRmT2_T3_T4_T5_mT6_T7_P12ihipStream_tbENKUlT_T0_E_clISt17integral_constantIbLb0EES10_EEDaSV_SW_EUlSV_E_NS1_11comp_targetILNS1_3genE3ELNS1_11target_archE908ELNS1_3gpuE7ELNS1_3repE0EEENS1_30default_config_static_selectorELNS0_4arch9wavefront6targetE1EEEvT1_,"axG",@progbits,_ZN7rocprim17ROCPRIM_400000_NS6detail17trampoline_kernelINS0_14default_configENS1_27scan_by_key_config_selectorIllEEZZNS1_16scan_by_key_implILNS1_25lookback_scan_determinismE0ELb0ES3_N6thrust23THRUST_200600_302600_NS16reverse_iteratorIPKlEESD_NSA_IPlEElN6hipcub16HIPCUB_304000_NS3MaxENSH_8EqualityElEE10hipError_tPvRmT2_T3_T4_T5_mT6_T7_P12ihipStream_tbENKUlT_T0_E_clISt17integral_constantIbLb0EES10_EEDaSV_SW_EUlSV_E_NS1_11comp_targetILNS1_3genE3ELNS1_11target_archE908ELNS1_3gpuE7ELNS1_3repE0EEENS1_30default_config_static_selectorELNS0_4arch9wavefront6targetE1EEEvT1_,comdat
.Lfunc_end141:
	.size	_ZN7rocprim17ROCPRIM_400000_NS6detail17trampoline_kernelINS0_14default_configENS1_27scan_by_key_config_selectorIllEEZZNS1_16scan_by_key_implILNS1_25lookback_scan_determinismE0ELb0ES3_N6thrust23THRUST_200600_302600_NS16reverse_iteratorIPKlEESD_NSA_IPlEElN6hipcub16HIPCUB_304000_NS3MaxENSH_8EqualityElEE10hipError_tPvRmT2_T3_T4_T5_mT6_T7_P12ihipStream_tbENKUlT_T0_E_clISt17integral_constantIbLb0EES10_EEDaSV_SW_EUlSV_E_NS1_11comp_targetILNS1_3genE3ELNS1_11target_archE908ELNS1_3gpuE7ELNS1_3repE0EEENS1_30default_config_static_selectorELNS0_4arch9wavefront6targetE1EEEvT1_, .Lfunc_end141-_ZN7rocprim17ROCPRIM_400000_NS6detail17trampoline_kernelINS0_14default_configENS1_27scan_by_key_config_selectorIllEEZZNS1_16scan_by_key_implILNS1_25lookback_scan_determinismE0ELb0ES3_N6thrust23THRUST_200600_302600_NS16reverse_iteratorIPKlEESD_NSA_IPlEElN6hipcub16HIPCUB_304000_NS3MaxENSH_8EqualityElEE10hipError_tPvRmT2_T3_T4_T5_mT6_T7_P12ihipStream_tbENKUlT_T0_E_clISt17integral_constantIbLb0EES10_EEDaSV_SW_EUlSV_E_NS1_11comp_targetILNS1_3genE3ELNS1_11target_archE908ELNS1_3gpuE7ELNS1_3repE0EEENS1_30default_config_static_selectorELNS0_4arch9wavefront6targetE1EEEvT1_
                                        ; -- End function
	.section	.AMDGPU.csdata,"",@progbits
; Kernel info:
; codeLenInByte = 0
; NumSgprs: 6
; NumVgprs: 0
; NumAgprs: 0
; TotalNumVgprs: 0
; ScratchSize: 0
; MemoryBound: 0
; FloatMode: 240
; IeeeMode: 1
; LDSByteSize: 0 bytes/workgroup (compile time only)
; SGPRBlocks: 0
; VGPRBlocks: 0
; NumSGPRsForWavesPerEU: 6
; NumVGPRsForWavesPerEU: 1
; AccumOffset: 4
; Occupancy: 8
; WaveLimiterHint : 0
; COMPUTE_PGM_RSRC2:SCRATCH_EN: 0
; COMPUTE_PGM_RSRC2:USER_SGPR: 2
; COMPUTE_PGM_RSRC2:TRAP_HANDLER: 0
; COMPUTE_PGM_RSRC2:TGID_X_EN: 1
; COMPUTE_PGM_RSRC2:TGID_Y_EN: 0
; COMPUTE_PGM_RSRC2:TGID_Z_EN: 0
; COMPUTE_PGM_RSRC2:TIDIG_COMP_CNT: 0
; COMPUTE_PGM_RSRC3_GFX90A:ACCUM_OFFSET: 0
; COMPUTE_PGM_RSRC3_GFX90A:TG_SPLIT: 0
	.section	.text._ZN7rocprim17ROCPRIM_400000_NS6detail17trampoline_kernelINS0_14default_configENS1_27scan_by_key_config_selectorIllEEZZNS1_16scan_by_key_implILNS1_25lookback_scan_determinismE0ELb0ES3_N6thrust23THRUST_200600_302600_NS16reverse_iteratorIPKlEESD_NSA_IPlEElN6hipcub16HIPCUB_304000_NS3MaxENSH_8EqualityElEE10hipError_tPvRmT2_T3_T4_T5_mT6_T7_P12ihipStream_tbENKUlT_T0_E_clISt17integral_constantIbLb0EES10_EEDaSV_SW_EUlSV_E_NS1_11comp_targetILNS1_3genE2ELNS1_11target_archE906ELNS1_3gpuE6ELNS1_3repE0EEENS1_30default_config_static_selectorELNS0_4arch9wavefront6targetE1EEEvT1_,"axG",@progbits,_ZN7rocprim17ROCPRIM_400000_NS6detail17trampoline_kernelINS0_14default_configENS1_27scan_by_key_config_selectorIllEEZZNS1_16scan_by_key_implILNS1_25lookback_scan_determinismE0ELb0ES3_N6thrust23THRUST_200600_302600_NS16reverse_iteratorIPKlEESD_NSA_IPlEElN6hipcub16HIPCUB_304000_NS3MaxENSH_8EqualityElEE10hipError_tPvRmT2_T3_T4_T5_mT6_T7_P12ihipStream_tbENKUlT_T0_E_clISt17integral_constantIbLb0EES10_EEDaSV_SW_EUlSV_E_NS1_11comp_targetILNS1_3genE2ELNS1_11target_archE906ELNS1_3gpuE6ELNS1_3repE0EEENS1_30default_config_static_selectorELNS0_4arch9wavefront6targetE1EEEvT1_,comdat
	.protected	_ZN7rocprim17ROCPRIM_400000_NS6detail17trampoline_kernelINS0_14default_configENS1_27scan_by_key_config_selectorIllEEZZNS1_16scan_by_key_implILNS1_25lookback_scan_determinismE0ELb0ES3_N6thrust23THRUST_200600_302600_NS16reverse_iteratorIPKlEESD_NSA_IPlEElN6hipcub16HIPCUB_304000_NS3MaxENSH_8EqualityElEE10hipError_tPvRmT2_T3_T4_T5_mT6_T7_P12ihipStream_tbENKUlT_T0_E_clISt17integral_constantIbLb0EES10_EEDaSV_SW_EUlSV_E_NS1_11comp_targetILNS1_3genE2ELNS1_11target_archE906ELNS1_3gpuE6ELNS1_3repE0EEENS1_30default_config_static_selectorELNS0_4arch9wavefront6targetE1EEEvT1_ ; -- Begin function _ZN7rocprim17ROCPRIM_400000_NS6detail17trampoline_kernelINS0_14default_configENS1_27scan_by_key_config_selectorIllEEZZNS1_16scan_by_key_implILNS1_25lookback_scan_determinismE0ELb0ES3_N6thrust23THRUST_200600_302600_NS16reverse_iteratorIPKlEESD_NSA_IPlEElN6hipcub16HIPCUB_304000_NS3MaxENSH_8EqualityElEE10hipError_tPvRmT2_T3_T4_T5_mT6_T7_P12ihipStream_tbENKUlT_T0_E_clISt17integral_constantIbLb0EES10_EEDaSV_SW_EUlSV_E_NS1_11comp_targetILNS1_3genE2ELNS1_11target_archE906ELNS1_3gpuE6ELNS1_3repE0EEENS1_30default_config_static_selectorELNS0_4arch9wavefront6targetE1EEEvT1_
	.globl	_ZN7rocprim17ROCPRIM_400000_NS6detail17trampoline_kernelINS0_14default_configENS1_27scan_by_key_config_selectorIllEEZZNS1_16scan_by_key_implILNS1_25lookback_scan_determinismE0ELb0ES3_N6thrust23THRUST_200600_302600_NS16reverse_iteratorIPKlEESD_NSA_IPlEElN6hipcub16HIPCUB_304000_NS3MaxENSH_8EqualityElEE10hipError_tPvRmT2_T3_T4_T5_mT6_T7_P12ihipStream_tbENKUlT_T0_E_clISt17integral_constantIbLb0EES10_EEDaSV_SW_EUlSV_E_NS1_11comp_targetILNS1_3genE2ELNS1_11target_archE906ELNS1_3gpuE6ELNS1_3repE0EEENS1_30default_config_static_selectorELNS0_4arch9wavefront6targetE1EEEvT1_
	.p2align	8
	.type	_ZN7rocprim17ROCPRIM_400000_NS6detail17trampoline_kernelINS0_14default_configENS1_27scan_by_key_config_selectorIllEEZZNS1_16scan_by_key_implILNS1_25lookback_scan_determinismE0ELb0ES3_N6thrust23THRUST_200600_302600_NS16reverse_iteratorIPKlEESD_NSA_IPlEElN6hipcub16HIPCUB_304000_NS3MaxENSH_8EqualityElEE10hipError_tPvRmT2_T3_T4_T5_mT6_T7_P12ihipStream_tbENKUlT_T0_E_clISt17integral_constantIbLb0EES10_EEDaSV_SW_EUlSV_E_NS1_11comp_targetILNS1_3genE2ELNS1_11target_archE906ELNS1_3gpuE6ELNS1_3repE0EEENS1_30default_config_static_selectorELNS0_4arch9wavefront6targetE1EEEvT1_,@function
_ZN7rocprim17ROCPRIM_400000_NS6detail17trampoline_kernelINS0_14default_configENS1_27scan_by_key_config_selectorIllEEZZNS1_16scan_by_key_implILNS1_25lookback_scan_determinismE0ELb0ES3_N6thrust23THRUST_200600_302600_NS16reverse_iteratorIPKlEESD_NSA_IPlEElN6hipcub16HIPCUB_304000_NS3MaxENSH_8EqualityElEE10hipError_tPvRmT2_T3_T4_T5_mT6_T7_P12ihipStream_tbENKUlT_T0_E_clISt17integral_constantIbLb0EES10_EEDaSV_SW_EUlSV_E_NS1_11comp_targetILNS1_3genE2ELNS1_11target_archE906ELNS1_3gpuE6ELNS1_3repE0EEENS1_30default_config_static_selectorELNS0_4arch9wavefront6targetE1EEEvT1_: ; @_ZN7rocprim17ROCPRIM_400000_NS6detail17trampoline_kernelINS0_14default_configENS1_27scan_by_key_config_selectorIllEEZZNS1_16scan_by_key_implILNS1_25lookback_scan_determinismE0ELb0ES3_N6thrust23THRUST_200600_302600_NS16reverse_iteratorIPKlEESD_NSA_IPlEElN6hipcub16HIPCUB_304000_NS3MaxENSH_8EqualityElEE10hipError_tPvRmT2_T3_T4_T5_mT6_T7_P12ihipStream_tbENKUlT_T0_E_clISt17integral_constantIbLb0EES10_EEDaSV_SW_EUlSV_E_NS1_11comp_targetILNS1_3genE2ELNS1_11target_archE906ELNS1_3gpuE6ELNS1_3repE0EEENS1_30default_config_static_selectorELNS0_4arch9wavefront6targetE1EEEvT1_
; %bb.0:
	.section	.rodata,"a",@progbits
	.p2align	6, 0x0
	.amdhsa_kernel _ZN7rocprim17ROCPRIM_400000_NS6detail17trampoline_kernelINS0_14default_configENS1_27scan_by_key_config_selectorIllEEZZNS1_16scan_by_key_implILNS1_25lookback_scan_determinismE0ELb0ES3_N6thrust23THRUST_200600_302600_NS16reverse_iteratorIPKlEESD_NSA_IPlEElN6hipcub16HIPCUB_304000_NS3MaxENSH_8EqualityElEE10hipError_tPvRmT2_T3_T4_T5_mT6_T7_P12ihipStream_tbENKUlT_T0_E_clISt17integral_constantIbLb0EES10_EEDaSV_SW_EUlSV_E_NS1_11comp_targetILNS1_3genE2ELNS1_11target_archE906ELNS1_3gpuE6ELNS1_3repE0EEENS1_30default_config_static_selectorELNS0_4arch9wavefront6targetE1EEEvT1_
		.amdhsa_group_segment_fixed_size 0
		.amdhsa_private_segment_fixed_size 0
		.amdhsa_kernarg_size 136
		.amdhsa_user_sgpr_count 2
		.amdhsa_user_sgpr_dispatch_ptr 0
		.amdhsa_user_sgpr_queue_ptr 0
		.amdhsa_user_sgpr_kernarg_segment_ptr 1
		.amdhsa_user_sgpr_dispatch_id 0
		.amdhsa_user_sgpr_kernarg_preload_length 0
		.amdhsa_user_sgpr_kernarg_preload_offset 0
		.amdhsa_user_sgpr_private_segment_size 0
		.amdhsa_uses_dynamic_stack 0
		.amdhsa_enable_private_segment 0
		.amdhsa_system_sgpr_workgroup_id_x 1
		.amdhsa_system_sgpr_workgroup_id_y 0
		.amdhsa_system_sgpr_workgroup_id_z 0
		.amdhsa_system_sgpr_workgroup_info 0
		.amdhsa_system_vgpr_workitem_id 0
		.amdhsa_next_free_vgpr 1
		.amdhsa_next_free_sgpr 0
		.amdhsa_accum_offset 4
		.amdhsa_reserve_vcc 0
		.amdhsa_float_round_mode_32 0
		.amdhsa_float_round_mode_16_64 0
		.amdhsa_float_denorm_mode_32 3
		.amdhsa_float_denorm_mode_16_64 3
		.amdhsa_dx10_clamp 1
		.amdhsa_ieee_mode 1
		.amdhsa_fp16_overflow 0
		.amdhsa_tg_split 0
		.amdhsa_exception_fp_ieee_invalid_op 0
		.amdhsa_exception_fp_denorm_src 0
		.amdhsa_exception_fp_ieee_div_zero 0
		.amdhsa_exception_fp_ieee_overflow 0
		.amdhsa_exception_fp_ieee_underflow 0
		.amdhsa_exception_fp_ieee_inexact 0
		.amdhsa_exception_int_div_zero 0
	.end_amdhsa_kernel
	.section	.text._ZN7rocprim17ROCPRIM_400000_NS6detail17trampoline_kernelINS0_14default_configENS1_27scan_by_key_config_selectorIllEEZZNS1_16scan_by_key_implILNS1_25lookback_scan_determinismE0ELb0ES3_N6thrust23THRUST_200600_302600_NS16reverse_iteratorIPKlEESD_NSA_IPlEElN6hipcub16HIPCUB_304000_NS3MaxENSH_8EqualityElEE10hipError_tPvRmT2_T3_T4_T5_mT6_T7_P12ihipStream_tbENKUlT_T0_E_clISt17integral_constantIbLb0EES10_EEDaSV_SW_EUlSV_E_NS1_11comp_targetILNS1_3genE2ELNS1_11target_archE906ELNS1_3gpuE6ELNS1_3repE0EEENS1_30default_config_static_selectorELNS0_4arch9wavefront6targetE1EEEvT1_,"axG",@progbits,_ZN7rocprim17ROCPRIM_400000_NS6detail17trampoline_kernelINS0_14default_configENS1_27scan_by_key_config_selectorIllEEZZNS1_16scan_by_key_implILNS1_25lookback_scan_determinismE0ELb0ES3_N6thrust23THRUST_200600_302600_NS16reverse_iteratorIPKlEESD_NSA_IPlEElN6hipcub16HIPCUB_304000_NS3MaxENSH_8EqualityElEE10hipError_tPvRmT2_T3_T4_T5_mT6_T7_P12ihipStream_tbENKUlT_T0_E_clISt17integral_constantIbLb0EES10_EEDaSV_SW_EUlSV_E_NS1_11comp_targetILNS1_3genE2ELNS1_11target_archE906ELNS1_3gpuE6ELNS1_3repE0EEENS1_30default_config_static_selectorELNS0_4arch9wavefront6targetE1EEEvT1_,comdat
.Lfunc_end142:
	.size	_ZN7rocprim17ROCPRIM_400000_NS6detail17trampoline_kernelINS0_14default_configENS1_27scan_by_key_config_selectorIllEEZZNS1_16scan_by_key_implILNS1_25lookback_scan_determinismE0ELb0ES3_N6thrust23THRUST_200600_302600_NS16reverse_iteratorIPKlEESD_NSA_IPlEElN6hipcub16HIPCUB_304000_NS3MaxENSH_8EqualityElEE10hipError_tPvRmT2_T3_T4_T5_mT6_T7_P12ihipStream_tbENKUlT_T0_E_clISt17integral_constantIbLb0EES10_EEDaSV_SW_EUlSV_E_NS1_11comp_targetILNS1_3genE2ELNS1_11target_archE906ELNS1_3gpuE6ELNS1_3repE0EEENS1_30default_config_static_selectorELNS0_4arch9wavefront6targetE1EEEvT1_, .Lfunc_end142-_ZN7rocprim17ROCPRIM_400000_NS6detail17trampoline_kernelINS0_14default_configENS1_27scan_by_key_config_selectorIllEEZZNS1_16scan_by_key_implILNS1_25lookback_scan_determinismE0ELb0ES3_N6thrust23THRUST_200600_302600_NS16reverse_iteratorIPKlEESD_NSA_IPlEElN6hipcub16HIPCUB_304000_NS3MaxENSH_8EqualityElEE10hipError_tPvRmT2_T3_T4_T5_mT6_T7_P12ihipStream_tbENKUlT_T0_E_clISt17integral_constantIbLb0EES10_EEDaSV_SW_EUlSV_E_NS1_11comp_targetILNS1_3genE2ELNS1_11target_archE906ELNS1_3gpuE6ELNS1_3repE0EEENS1_30default_config_static_selectorELNS0_4arch9wavefront6targetE1EEEvT1_
                                        ; -- End function
	.section	.AMDGPU.csdata,"",@progbits
; Kernel info:
; codeLenInByte = 0
; NumSgprs: 6
; NumVgprs: 0
; NumAgprs: 0
; TotalNumVgprs: 0
; ScratchSize: 0
; MemoryBound: 0
; FloatMode: 240
; IeeeMode: 1
; LDSByteSize: 0 bytes/workgroup (compile time only)
; SGPRBlocks: 0
; VGPRBlocks: 0
; NumSGPRsForWavesPerEU: 6
; NumVGPRsForWavesPerEU: 1
; AccumOffset: 4
; Occupancy: 8
; WaveLimiterHint : 0
; COMPUTE_PGM_RSRC2:SCRATCH_EN: 0
; COMPUTE_PGM_RSRC2:USER_SGPR: 2
; COMPUTE_PGM_RSRC2:TRAP_HANDLER: 0
; COMPUTE_PGM_RSRC2:TGID_X_EN: 1
; COMPUTE_PGM_RSRC2:TGID_Y_EN: 0
; COMPUTE_PGM_RSRC2:TGID_Z_EN: 0
; COMPUTE_PGM_RSRC2:TIDIG_COMP_CNT: 0
; COMPUTE_PGM_RSRC3_GFX90A:ACCUM_OFFSET: 0
; COMPUTE_PGM_RSRC3_GFX90A:TG_SPLIT: 0
	.section	.text._ZN7rocprim17ROCPRIM_400000_NS6detail17trampoline_kernelINS0_14default_configENS1_27scan_by_key_config_selectorIllEEZZNS1_16scan_by_key_implILNS1_25lookback_scan_determinismE0ELb0ES3_N6thrust23THRUST_200600_302600_NS16reverse_iteratorIPKlEESD_NSA_IPlEElN6hipcub16HIPCUB_304000_NS3MaxENSH_8EqualityElEE10hipError_tPvRmT2_T3_T4_T5_mT6_T7_P12ihipStream_tbENKUlT_T0_E_clISt17integral_constantIbLb0EES10_EEDaSV_SW_EUlSV_E_NS1_11comp_targetILNS1_3genE10ELNS1_11target_archE1200ELNS1_3gpuE4ELNS1_3repE0EEENS1_30default_config_static_selectorELNS0_4arch9wavefront6targetE1EEEvT1_,"axG",@progbits,_ZN7rocprim17ROCPRIM_400000_NS6detail17trampoline_kernelINS0_14default_configENS1_27scan_by_key_config_selectorIllEEZZNS1_16scan_by_key_implILNS1_25lookback_scan_determinismE0ELb0ES3_N6thrust23THRUST_200600_302600_NS16reverse_iteratorIPKlEESD_NSA_IPlEElN6hipcub16HIPCUB_304000_NS3MaxENSH_8EqualityElEE10hipError_tPvRmT2_T3_T4_T5_mT6_T7_P12ihipStream_tbENKUlT_T0_E_clISt17integral_constantIbLb0EES10_EEDaSV_SW_EUlSV_E_NS1_11comp_targetILNS1_3genE10ELNS1_11target_archE1200ELNS1_3gpuE4ELNS1_3repE0EEENS1_30default_config_static_selectorELNS0_4arch9wavefront6targetE1EEEvT1_,comdat
	.protected	_ZN7rocprim17ROCPRIM_400000_NS6detail17trampoline_kernelINS0_14default_configENS1_27scan_by_key_config_selectorIllEEZZNS1_16scan_by_key_implILNS1_25lookback_scan_determinismE0ELb0ES3_N6thrust23THRUST_200600_302600_NS16reverse_iteratorIPKlEESD_NSA_IPlEElN6hipcub16HIPCUB_304000_NS3MaxENSH_8EqualityElEE10hipError_tPvRmT2_T3_T4_T5_mT6_T7_P12ihipStream_tbENKUlT_T0_E_clISt17integral_constantIbLb0EES10_EEDaSV_SW_EUlSV_E_NS1_11comp_targetILNS1_3genE10ELNS1_11target_archE1200ELNS1_3gpuE4ELNS1_3repE0EEENS1_30default_config_static_selectorELNS0_4arch9wavefront6targetE1EEEvT1_ ; -- Begin function _ZN7rocprim17ROCPRIM_400000_NS6detail17trampoline_kernelINS0_14default_configENS1_27scan_by_key_config_selectorIllEEZZNS1_16scan_by_key_implILNS1_25lookback_scan_determinismE0ELb0ES3_N6thrust23THRUST_200600_302600_NS16reverse_iteratorIPKlEESD_NSA_IPlEElN6hipcub16HIPCUB_304000_NS3MaxENSH_8EqualityElEE10hipError_tPvRmT2_T3_T4_T5_mT6_T7_P12ihipStream_tbENKUlT_T0_E_clISt17integral_constantIbLb0EES10_EEDaSV_SW_EUlSV_E_NS1_11comp_targetILNS1_3genE10ELNS1_11target_archE1200ELNS1_3gpuE4ELNS1_3repE0EEENS1_30default_config_static_selectorELNS0_4arch9wavefront6targetE1EEEvT1_
	.globl	_ZN7rocprim17ROCPRIM_400000_NS6detail17trampoline_kernelINS0_14default_configENS1_27scan_by_key_config_selectorIllEEZZNS1_16scan_by_key_implILNS1_25lookback_scan_determinismE0ELb0ES3_N6thrust23THRUST_200600_302600_NS16reverse_iteratorIPKlEESD_NSA_IPlEElN6hipcub16HIPCUB_304000_NS3MaxENSH_8EqualityElEE10hipError_tPvRmT2_T3_T4_T5_mT6_T7_P12ihipStream_tbENKUlT_T0_E_clISt17integral_constantIbLb0EES10_EEDaSV_SW_EUlSV_E_NS1_11comp_targetILNS1_3genE10ELNS1_11target_archE1200ELNS1_3gpuE4ELNS1_3repE0EEENS1_30default_config_static_selectorELNS0_4arch9wavefront6targetE1EEEvT1_
	.p2align	8
	.type	_ZN7rocprim17ROCPRIM_400000_NS6detail17trampoline_kernelINS0_14default_configENS1_27scan_by_key_config_selectorIllEEZZNS1_16scan_by_key_implILNS1_25lookback_scan_determinismE0ELb0ES3_N6thrust23THRUST_200600_302600_NS16reverse_iteratorIPKlEESD_NSA_IPlEElN6hipcub16HIPCUB_304000_NS3MaxENSH_8EqualityElEE10hipError_tPvRmT2_T3_T4_T5_mT6_T7_P12ihipStream_tbENKUlT_T0_E_clISt17integral_constantIbLb0EES10_EEDaSV_SW_EUlSV_E_NS1_11comp_targetILNS1_3genE10ELNS1_11target_archE1200ELNS1_3gpuE4ELNS1_3repE0EEENS1_30default_config_static_selectorELNS0_4arch9wavefront6targetE1EEEvT1_,@function
_ZN7rocprim17ROCPRIM_400000_NS6detail17trampoline_kernelINS0_14default_configENS1_27scan_by_key_config_selectorIllEEZZNS1_16scan_by_key_implILNS1_25lookback_scan_determinismE0ELb0ES3_N6thrust23THRUST_200600_302600_NS16reverse_iteratorIPKlEESD_NSA_IPlEElN6hipcub16HIPCUB_304000_NS3MaxENSH_8EqualityElEE10hipError_tPvRmT2_T3_T4_T5_mT6_T7_P12ihipStream_tbENKUlT_T0_E_clISt17integral_constantIbLb0EES10_EEDaSV_SW_EUlSV_E_NS1_11comp_targetILNS1_3genE10ELNS1_11target_archE1200ELNS1_3gpuE4ELNS1_3repE0EEENS1_30default_config_static_selectorELNS0_4arch9wavefront6targetE1EEEvT1_: ; @_ZN7rocprim17ROCPRIM_400000_NS6detail17trampoline_kernelINS0_14default_configENS1_27scan_by_key_config_selectorIllEEZZNS1_16scan_by_key_implILNS1_25lookback_scan_determinismE0ELb0ES3_N6thrust23THRUST_200600_302600_NS16reverse_iteratorIPKlEESD_NSA_IPlEElN6hipcub16HIPCUB_304000_NS3MaxENSH_8EqualityElEE10hipError_tPvRmT2_T3_T4_T5_mT6_T7_P12ihipStream_tbENKUlT_T0_E_clISt17integral_constantIbLb0EES10_EEDaSV_SW_EUlSV_E_NS1_11comp_targetILNS1_3genE10ELNS1_11target_archE1200ELNS1_3gpuE4ELNS1_3repE0EEENS1_30default_config_static_selectorELNS0_4arch9wavefront6targetE1EEEvT1_
; %bb.0:
	.section	.rodata,"a",@progbits
	.p2align	6, 0x0
	.amdhsa_kernel _ZN7rocprim17ROCPRIM_400000_NS6detail17trampoline_kernelINS0_14default_configENS1_27scan_by_key_config_selectorIllEEZZNS1_16scan_by_key_implILNS1_25lookback_scan_determinismE0ELb0ES3_N6thrust23THRUST_200600_302600_NS16reverse_iteratorIPKlEESD_NSA_IPlEElN6hipcub16HIPCUB_304000_NS3MaxENSH_8EqualityElEE10hipError_tPvRmT2_T3_T4_T5_mT6_T7_P12ihipStream_tbENKUlT_T0_E_clISt17integral_constantIbLb0EES10_EEDaSV_SW_EUlSV_E_NS1_11comp_targetILNS1_3genE10ELNS1_11target_archE1200ELNS1_3gpuE4ELNS1_3repE0EEENS1_30default_config_static_selectorELNS0_4arch9wavefront6targetE1EEEvT1_
		.amdhsa_group_segment_fixed_size 0
		.amdhsa_private_segment_fixed_size 0
		.amdhsa_kernarg_size 136
		.amdhsa_user_sgpr_count 2
		.amdhsa_user_sgpr_dispatch_ptr 0
		.amdhsa_user_sgpr_queue_ptr 0
		.amdhsa_user_sgpr_kernarg_segment_ptr 1
		.amdhsa_user_sgpr_dispatch_id 0
		.amdhsa_user_sgpr_kernarg_preload_length 0
		.amdhsa_user_sgpr_kernarg_preload_offset 0
		.amdhsa_user_sgpr_private_segment_size 0
		.amdhsa_uses_dynamic_stack 0
		.amdhsa_enable_private_segment 0
		.amdhsa_system_sgpr_workgroup_id_x 1
		.amdhsa_system_sgpr_workgroup_id_y 0
		.amdhsa_system_sgpr_workgroup_id_z 0
		.amdhsa_system_sgpr_workgroup_info 0
		.amdhsa_system_vgpr_workitem_id 0
		.amdhsa_next_free_vgpr 1
		.amdhsa_next_free_sgpr 0
		.amdhsa_accum_offset 4
		.amdhsa_reserve_vcc 0
		.amdhsa_float_round_mode_32 0
		.amdhsa_float_round_mode_16_64 0
		.amdhsa_float_denorm_mode_32 3
		.amdhsa_float_denorm_mode_16_64 3
		.amdhsa_dx10_clamp 1
		.amdhsa_ieee_mode 1
		.amdhsa_fp16_overflow 0
		.amdhsa_tg_split 0
		.amdhsa_exception_fp_ieee_invalid_op 0
		.amdhsa_exception_fp_denorm_src 0
		.amdhsa_exception_fp_ieee_div_zero 0
		.amdhsa_exception_fp_ieee_overflow 0
		.amdhsa_exception_fp_ieee_underflow 0
		.amdhsa_exception_fp_ieee_inexact 0
		.amdhsa_exception_int_div_zero 0
	.end_amdhsa_kernel
	.section	.text._ZN7rocprim17ROCPRIM_400000_NS6detail17trampoline_kernelINS0_14default_configENS1_27scan_by_key_config_selectorIllEEZZNS1_16scan_by_key_implILNS1_25lookback_scan_determinismE0ELb0ES3_N6thrust23THRUST_200600_302600_NS16reverse_iteratorIPKlEESD_NSA_IPlEElN6hipcub16HIPCUB_304000_NS3MaxENSH_8EqualityElEE10hipError_tPvRmT2_T3_T4_T5_mT6_T7_P12ihipStream_tbENKUlT_T0_E_clISt17integral_constantIbLb0EES10_EEDaSV_SW_EUlSV_E_NS1_11comp_targetILNS1_3genE10ELNS1_11target_archE1200ELNS1_3gpuE4ELNS1_3repE0EEENS1_30default_config_static_selectorELNS0_4arch9wavefront6targetE1EEEvT1_,"axG",@progbits,_ZN7rocprim17ROCPRIM_400000_NS6detail17trampoline_kernelINS0_14default_configENS1_27scan_by_key_config_selectorIllEEZZNS1_16scan_by_key_implILNS1_25lookback_scan_determinismE0ELb0ES3_N6thrust23THRUST_200600_302600_NS16reverse_iteratorIPKlEESD_NSA_IPlEElN6hipcub16HIPCUB_304000_NS3MaxENSH_8EqualityElEE10hipError_tPvRmT2_T3_T4_T5_mT6_T7_P12ihipStream_tbENKUlT_T0_E_clISt17integral_constantIbLb0EES10_EEDaSV_SW_EUlSV_E_NS1_11comp_targetILNS1_3genE10ELNS1_11target_archE1200ELNS1_3gpuE4ELNS1_3repE0EEENS1_30default_config_static_selectorELNS0_4arch9wavefront6targetE1EEEvT1_,comdat
.Lfunc_end143:
	.size	_ZN7rocprim17ROCPRIM_400000_NS6detail17trampoline_kernelINS0_14default_configENS1_27scan_by_key_config_selectorIllEEZZNS1_16scan_by_key_implILNS1_25lookback_scan_determinismE0ELb0ES3_N6thrust23THRUST_200600_302600_NS16reverse_iteratorIPKlEESD_NSA_IPlEElN6hipcub16HIPCUB_304000_NS3MaxENSH_8EqualityElEE10hipError_tPvRmT2_T3_T4_T5_mT6_T7_P12ihipStream_tbENKUlT_T0_E_clISt17integral_constantIbLb0EES10_EEDaSV_SW_EUlSV_E_NS1_11comp_targetILNS1_3genE10ELNS1_11target_archE1200ELNS1_3gpuE4ELNS1_3repE0EEENS1_30default_config_static_selectorELNS0_4arch9wavefront6targetE1EEEvT1_, .Lfunc_end143-_ZN7rocprim17ROCPRIM_400000_NS6detail17trampoline_kernelINS0_14default_configENS1_27scan_by_key_config_selectorIllEEZZNS1_16scan_by_key_implILNS1_25lookback_scan_determinismE0ELb0ES3_N6thrust23THRUST_200600_302600_NS16reverse_iteratorIPKlEESD_NSA_IPlEElN6hipcub16HIPCUB_304000_NS3MaxENSH_8EqualityElEE10hipError_tPvRmT2_T3_T4_T5_mT6_T7_P12ihipStream_tbENKUlT_T0_E_clISt17integral_constantIbLb0EES10_EEDaSV_SW_EUlSV_E_NS1_11comp_targetILNS1_3genE10ELNS1_11target_archE1200ELNS1_3gpuE4ELNS1_3repE0EEENS1_30default_config_static_selectorELNS0_4arch9wavefront6targetE1EEEvT1_
                                        ; -- End function
	.section	.AMDGPU.csdata,"",@progbits
; Kernel info:
; codeLenInByte = 0
; NumSgprs: 6
; NumVgprs: 0
; NumAgprs: 0
; TotalNumVgprs: 0
; ScratchSize: 0
; MemoryBound: 0
; FloatMode: 240
; IeeeMode: 1
; LDSByteSize: 0 bytes/workgroup (compile time only)
; SGPRBlocks: 0
; VGPRBlocks: 0
; NumSGPRsForWavesPerEU: 6
; NumVGPRsForWavesPerEU: 1
; AccumOffset: 4
; Occupancy: 8
; WaveLimiterHint : 0
; COMPUTE_PGM_RSRC2:SCRATCH_EN: 0
; COMPUTE_PGM_RSRC2:USER_SGPR: 2
; COMPUTE_PGM_RSRC2:TRAP_HANDLER: 0
; COMPUTE_PGM_RSRC2:TGID_X_EN: 1
; COMPUTE_PGM_RSRC2:TGID_Y_EN: 0
; COMPUTE_PGM_RSRC2:TGID_Z_EN: 0
; COMPUTE_PGM_RSRC2:TIDIG_COMP_CNT: 0
; COMPUTE_PGM_RSRC3_GFX90A:ACCUM_OFFSET: 0
; COMPUTE_PGM_RSRC3_GFX90A:TG_SPLIT: 0
	.section	.text._ZN7rocprim17ROCPRIM_400000_NS6detail17trampoline_kernelINS0_14default_configENS1_27scan_by_key_config_selectorIllEEZZNS1_16scan_by_key_implILNS1_25lookback_scan_determinismE0ELb0ES3_N6thrust23THRUST_200600_302600_NS16reverse_iteratorIPKlEESD_NSA_IPlEElN6hipcub16HIPCUB_304000_NS3MaxENSH_8EqualityElEE10hipError_tPvRmT2_T3_T4_T5_mT6_T7_P12ihipStream_tbENKUlT_T0_E_clISt17integral_constantIbLb0EES10_EEDaSV_SW_EUlSV_E_NS1_11comp_targetILNS1_3genE9ELNS1_11target_archE1100ELNS1_3gpuE3ELNS1_3repE0EEENS1_30default_config_static_selectorELNS0_4arch9wavefront6targetE1EEEvT1_,"axG",@progbits,_ZN7rocprim17ROCPRIM_400000_NS6detail17trampoline_kernelINS0_14default_configENS1_27scan_by_key_config_selectorIllEEZZNS1_16scan_by_key_implILNS1_25lookback_scan_determinismE0ELb0ES3_N6thrust23THRUST_200600_302600_NS16reverse_iteratorIPKlEESD_NSA_IPlEElN6hipcub16HIPCUB_304000_NS3MaxENSH_8EqualityElEE10hipError_tPvRmT2_T3_T4_T5_mT6_T7_P12ihipStream_tbENKUlT_T0_E_clISt17integral_constantIbLb0EES10_EEDaSV_SW_EUlSV_E_NS1_11comp_targetILNS1_3genE9ELNS1_11target_archE1100ELNS1_3gpuE3ELNS1_3repE0EEENS1_30default_config_static_selectorELNS0_4arch9wavefront6targetE1EEEvT1_,comdat
	.protected	_ZN7rocprim17ROCPRIM_400000_NS6detail17trampoline_kernelINS0_14default_configENS1_27scan_by_key_config_selectorIllEEZZNS1_16scan_by_key_implILNS1_25lookback_scan_determinismE0ELb0ES3_N6thrust23THRUST_200600_302600_NS16reverse_iteratorIPKlEESD_NSA_IPlEElN6hipcub16HIPCUB_304000_NS3MaxENSH_8EqualityElEE10hipError_tPvRmT2_T3_T4_T5_mT6_T7_P12ihipStream_tbENKUlT_T0_E_clISt17integral_constantIbLb0EES10_EEDaSV_SW_EUlSV_E_NS1_11comp_targetILNS1_3genE9ELNS1_11target_archE1100ELNS1_3gpuE3ELNS1_3repE0EEENS1_30default_config_static_selectorELNS0_4arch9wavefront6targetE1EEEvT1_ ; -- Begin function _ZN7rocprim17ROCPRIM_400000_NS6detail17trampoline_kernelINS0_14default_configENS1_27scan_by_key_config_selectorIllEEZZNS1_16scan_by_key_implILNS1_25lookback_scan_determinismE0ELb0ES3_N6thrust23THRUST_200600_302600_NS16reverse_iteratorIPKlEESD_NSA_IPlEElN6hipcub16HIPCUB_304000_NS3MaxENSH_8EqualityElEE10hipError_tPvRmT2_T3_T4_T5_mT6_T7_P12ihipStream_tbENKUlT_T0_E_clISt17integral_constantIbLb0EES10_EEDaSV_SW_EUlSV_E_NS1_11comp_targetILNS1_3genE9ELNS1_11target_archE1100ELNS1_3gpuE3ELNS1_3repE0EEENS1_30default_config_static_selectorELNS0_4arch9wavefront6targetE1EEEvT1_
	.globl	_ZN7rocprim17ROCPRIM_400000_NS6detail17trampoline_kernelINS0_14default_configENS1_27scan_by_key_config_selectorIllEEZZNS1_16scan_by_key_implILNS1_25lookback_scan_determinismE0ELb0ES3_N6thrust23THRUST_200600_302600_NS16reverse_iteratorIPKlEESD_NSA_IPlEElN6hipcub16HIPCUB_304000_NS3MaxENSH_8EqualityElEE10hipError_tPvRmT2_T3_T4_T5_mT6_T7_P12ihipStream_tbENKUlT_T0_E_clISt17integral_constantIbLb0EES10_EEDaSV_SW_EUlSV_E_NS1_11comp_targetILNS1_3genE9ELNS1_11target_archE1100ELNS1_3gpuE3ELNS1_3repE0EEENS1_30default_config_static_selectorELNS0_4arch9wavefront6targetE1EEEvT1_
	.p2align	8
	.type	_ZN7rocprim17ROCPRIM_400000_NS6detail17trampoline_kernelINS0_14default_configENS1_27scan_by_key_config_selectorIllEEZZNS1_16scan_by_key_implILNS1_25lookback_scan_determinismE0ELb0ES3_N6thrust23THRUST_200600_302600_NS16reverse_iteratorIPKlEESD_NSA_IPlEElN6hipcub16HIPCUB_304000_NS3MaxENSH_8EqualityElEE10hipError_tPvRmT2_T3_T4_T5_mT6_T7_P12ihipStream_tbENKUlT_T0_E_clISt17integral_constantIbLb0EES10_EEDaSV_SW_EUlSV_E_NS1_11comp_targetILNS1_3genE9ELNS1_11target_archE1100ELNS1_3gpuE3ELNS1_3repE0EEENS1_30default_config_static_selectorELNS0_4arch9wavefront6targetE1EEEvT1_,@function
_ZN7rocprim17ROCPRIM_400000_NS6detail17trampoline_kernelINS0_14default_configENS1_27scan_by_key_config_selectorIllEEZZNS1_16scan_by_key_implILNS1_25lookback_scan_determinismE0ELb0ES3_N6thrust23THRUST_200600_302600_NS16reverse_iteratorIPKlEESD_NSA_IPlEElN6hipcub16HIPCUB_304000_NS3MaxENSH_8EqualityElEE10hipError_tPvRmT2_T3_T4_T5_mT6_T7_P12ihipStream_tbENKUlT_T0_E_clISt17integral_constantIbLb0EES10_EEDaSV_SW_EUlSV_E_NS1_11comp_targetILNS1_3genE9ELNS1_11target_archE1100ELNS1_3gpuE3ELNS1_3repE0EEENS1_30default_config_static_selectorELNS0_4arch9wavefront6targetE1EEEvT1_: ; @_ZN7rocprim17ROCPRIM_400000_NS6detail17trampoline_kernelINS0_14default_configENS1_27scan_by_key_config_selectorIllEEZZNS1_16scan_by_key_implILNS1_25lookback_scan_determinismE0ELb0ES3_N6thrust23THRUST_200600_302600_NS16reverse_iteratorIPKlEESD_NSA_IPlEElN6hipcub16HIPCUB_304000_NS3MaxENSH_8EqualityElEE10hipError_tPvRmT2_T3_T4_T5_mT6_T7_P12ihipStream_tbENKUlT_T0_E_clISt17integral_constantIbLb0EES10_EEDaSV_SW_EUlSV_E_NS1_11comp_targetILNS1_3genE9ELNS1_11target_archE1100ELNS1_3gpuE3ELNS1_3repE0EEENS1_30default_config_static_selectorELNS0_4arch9wavefront6targetE1EEEvT1_
; %bb.0:
	.section	.rodata,"a",@progbits
	.p2align	6, 0x0
	.amdhsa_kernel _ZN7rocprim17ROCPRIM_400000_NS6detail17trampoline_kernelINS0_14default_configENS1_27scan_by_key_config_selectorIllEEZZNS1_16scan_by_key_implILNS1_25lookback_scan_determinismE0ELb0ES3_N6thrust23THRUST_200600_302600_NS16reverse_iteratorIPKlEESD_NSA_IPlEElN6hipcub16HIPCUB_304000_NS3MaxENSH_8EqualityElEE10hipError_tPvRmT2_T3_T4_T5_mT6_T7_P12ihipStream_tbENKUlT_T0_E_clISt17integral_constantIbLb0EES10_EEDaSV_SW_EUlSV_E_NS1_11comp_targetILNS1_3genE9ELNS1_11target_archE1100ELNS1_3gpuE3ELNS1_3repE0EEENS1_30default_config_static_selectorELNS0_4arch9wavefront6targetE1EEEvT1_
		.amdhsa_group_segment_fixed_size 0
		.amdhsa_private_segment_fixed_size 0
		.amdhsa_kernarg_size 136
		.amdhsa_user_sgpr_count 2
		.amdhsa_user_sgpr_dispatch_ptr 0
		.amdhsa_user_sgpr_queue_ptr 0
		.amdhsa_user_sgpr_kernarg_segment_ptr 1
		.amdhsa_user_sgpr_dispatch_id 0
		.amdhsa_user_sgpr_kernarg_preload_length 0
		.amdhsa_user_sgpr_kernarg_preload_offset 0
		.amdhsa_user_sgpr_private_segment_size 0
		.amdhsa_uses_dynamic_stack 0
		.amdhsa_enable_private_segment 0
		.amdhsa_system_sgpr_workgroup_id_x 1
		.amdhsa_system_sgpr_workgroup_id_y 0
		.amdhsa_system_sgpr_workgroup_id_z 0
		.amdhsa_system_sgpr_workgroup_info 0
		.amdhsa_system_vgpr_workitem_id 0
		.amdhsa_next_free_vgpr 1
		.amdhsa_next_free_sgpr 0
		.amdhsa_accum_offset 4
		.amdhsa_reserve_vcc 0
		.amdhsa_float_round_mode_32 0
		.amdhsa_float_round_mode_16_64 0
		.amdhsa_float_denorm_mode_32 3
		.amdhsa_float_denorm_mode_16_64 3
		.amdhsa_dx10_clamp 1
		.amdhsa_ieee_mode 1
		.amdhsa_fp16_overflow 0
		.amdhsa_tg_split 0
		.amdhsa_exception_fp_ieee_invalid_op 0
		.amdhsa_exception_fp_denorm_src 0
		.amdhsa_exception_fp_ieee_div_zero 0
		.amdhsa_exception_fp_ieee_overflow 0
		.amdhsa_exception_fp_ieee_underflow 0
		.amdhsa_exception_fp_ieee_inexact 0
		.amdhsa_exception_int_div_zero 0
	.end_amdhsa_kernel
	.section	.text._ZN7rocprim17ROCPRIM_400000_NS6detail17trampoline_kernelINS0_14default_configENS1_27scan_by_key_config_selectorIllEEZZNS1_16scan_by_key_implILNS1_25lookback_scan_determinismE0ELb0ES3_N6thrust23THRUST_200600_302600_NS16reverse_iteratorIPKlEESD_NSA_IPlEElN6hipcub16HIPCUB_304000_NS3MaxENSH_8EqualityElEE10hipError_tPvRmT2_T3_T4_T5_mT6_T7_P12ihipStream_tbENKUlT_T0_E_clISt17integral_constantIbLb0EES10_EEDaSV_SW_EUlSV_E_NS1_11comp_targetILNS1_3genE9ELNS1_11target_archE1100ELNS1_3gpuE3ELNS1_3repE0EEENS1_30default_config_static_selectorELNS0_4arch9wavefront6targetE1EEEvT1_,"axG",@progbits,_ZN7rocprim17ROCPRIM_400000_NS6detail17trampoline_kernelINS0_14default_configENS1_27scan_by_key_config_selectorIllEEZZNS1_16scan_by_key_implILNS1_25lookback_scan_determinismE0ELb0ES3_N6thrust23THRUST_200600_302600_NS16reverse_iteratorIPKlEESD_NSA_IPlEElN6hipcub16HIPCUB_304000_NS3MaxENSH_8EqualityElEE10hipError_tPvRmT2_T3_T4_T5_mT6_T7_P12ihipStream_tbENKUlT_T0_E_clISt17integral_constantIbLb0EES10_EEDaSV_SW_EUlSV_E_NS1_11comp_targetILNS1_3genE9ELNS1_11target_archE1100ELNS1_3gpuE3ELNS1_3repE0EEENS1_30default_config_static_selectorELNS0_4arch9wavefront6targetE1EEEvT1_,comdat
.Lfunc_end144:
	.size	_ZN7rocprim17ROCPRIM_400000_NS6detail17trampoline_kernelINS0_14default_configENS1_27scan_by_key_config_selectorIllEEZZNS1_16scan_by_key_implILNS1_25lookback_scan_determinismE0ELb0ES3_N6thrust23THRUST_200600_302600_NS16reverse_iteratorIPKlEESD_NSA_IPlEElN6hipcub16HIPCUB_304000_NS3MaxENSH_8EqualityElEE10hipError_tPvRmT2_T3_T4_T5_mT6_T7_P12ihipStream_tbENKUlT_T0_E_clISt17integral_constantIbLb0EES10_EEDaSV_SW_EUlSV_E_NS1_11comp_targetILNS1_3genE9ELNS1_11target_archE1100ELNS1_3gpuE3ELNS1_3repE0EEENS1_30default_config_static_selectorELNS0_4arch9wavefront6targetE1EEEvT1_, .Lfunc_end144-_ZN7rocprim17ROCPRIM_400000_NS6detail17trampoline_kernelINS0_14default_configENS1_27scan_by_key_config_selectorIllEEZZNS1_16scan_by_key_implILNS1_25lookback_scan_determinismE0ELb0ES3_N6thrust23THRUST_200600_302600_NS16reverse_iteratorIPKlEESD_NSA_IPlEElN6hipcub16HIPCUB_304000_NS3MaxENSH_8EqualityElEE10hipError_tPvRmT2_T3_T4_T5_mT6_T7_P12ihipStream_tbENKUlT_T0_E_clISt17integral_constantIbLb0EES10_EEDaSV_SW_EUlSV_E_NS1_11comp_targetILNS1_3genE9ELNS1_11target_archE1100ELNS1_3gpuE3ELNS1_3repE0EEENS1_30default_config_static_selectorELNS0_4arch9wavefront6targetE1EEEvT1_
                                        ; -- End function
	.section	.AMDGPU.csdata,"",@progbits
; Kernel info:
; codeLenInByte = 0
; NumSgprs: 6
; NumVgprs: 0
; NumAgprs: 0
; TotalNumVgprs: 0
; ScratchSize: 0
; MemoryBound: 0
; FloatMode: 240
; IeeeMode: 1
; LDSByteSize: 0 bytes/workgroup (compile time only)
; SGPRBlocks: 0
; VGPRBlocks: 0
; NumSGPRsForWavesPerEU: 6
; NumVGPRsForWavesPerEU: 1
; AccumOffset: 4
; Occupancy: 8
; WaveLimiterHint : 0
; COMPUTE_PGM_RSRC2:SCRATCH_EN: 0
; COMPUTE_PGM_RSRC2:USER_SGPR: 2
; COMPUTE_PGM_RSRC2:TRAP_HANDLER: 0
; COMPUTE_PGM_RSRC2:TGID_X_EN: 1
; COMPUTE_PGM_RSRC2:TGID_Y_EN: 0
; COMPUTE_PGM_RSRC2:TGID_Z_EN: 0
; COMPUTE_PGM_RSRC2:TIDIG_COMP_CNT: 0
; COMPUTE_PGM_RSRC3_GFX90A:ACCUM_OFFSET: 0
; COMPUTE_PGM_RSRC3_GFX90A:TG_SPLIT: 0
	.section	.text._ZN7rocprim17ROCPRIM_400000_NS6detail17trampoline_kernelINS0_14default_configENS1_27scan_by_key_config_selectorIllEEZZNS1_16scan_by_key_implILNS1_25lookback_scan_determinismE0ELb0ES3_N6thrust23THRUST_200600_302600_NS16reverse_iteratorIPKlEESD_NSA_IPlEElN6hipcub16HIPCUB_304000_NS3MaxENSH_8EqualityElEE10hipError_tPvRmT2_T3_T4_T5_mT6_T7_P12ihipStream_tbENKUlT_T0_E_clISt17integral_constantIbLb0EES10_EEDaSV_SW_EUlSV_E_NS1_11comp_targetILNS1_3genE8ELNS1_11target_archE1030ELNS1_3gpuE2ELNS1_3repE0EEENS1_30default_config_static_selectorELNS0_4arch9wavefront6targetE1EEEvT1_,"axG",@progbits,_ZN7rocprim17ROCPRIM_400000_NS6detail17trampoline_kernelINS0_14default_configENS1_27scan_by_key_config_selectorIllEEZZNS1_16scan_by_key_implILNS1_25lookback_scan_determinismE0ELb0ES3_N6thrust23THRUST_200600_302600_NS16reverse_iteratorIPKlEESD_NSA_IPlEElN6hipcub16HIPCUB_304000_NS3MaxENSH_8EqualityElEE10hipError_tPvRmT2_T3_T4_T5_mT6_T7_P12ihipStream_tbENKUlT_T0_E_clISt17integral_constantIbLb0EES10_EEDaSV_SW_EUlSV_E_NS1_11comp_targetILNS1_3genE8ELNS1_11target_archE1030ELNS1_3gpuE2ELNS1_3repE0EEENS1_30default_config_static_selectorELNS0_4arch9wavefront6targetE1EEEvT1_,comdat
	.protected	_ZN7rocprim17ROCPRIM_400000_NS6detail17trampoline_kernelINS0_14default_configENS1_27scan_by_key_config_selectorIllEEZZNS1_16scan_by_key_implILNS1_25lookback_scan_determinismE0ELb0ES3_N6thrust23THRUST_200600_302600_NS16reverse_iteratorIPKlEESD_NSA_IPlEElN6hipcub16HIPCUB_304000_NS3MaxENSH_8EqualityElEE10hipError_tPvRmT2_T3_T4_T5_mT6_T7_P12ihipStream_tbENKUlT_T0_E_clISt17integral_constantIbLb0EES10_EEDaSV_SW_EUlSV_E_NS1_11comp_targetILNS1_3genE8ELNS1_11target_archE1030ELNS1_3gpuE2ELNS1_3repE0EEENS1_30default_config_static_selectorELNS0_4arch9wavefront6targetE1EEEvT1_ ; -- Begin function _ZN7rocprim17ROCPRIM_400000_NS6detail17trampoline_kernelINS0_14default_configENS1_27scan_by_key_config_selectorIllEEZZNS1_16scan_by_key_implILNS1_25lookback_scan_determinismE0ELb0ES3_N6thrust23THRUST_200600_302600_NS16reverse_iteratorIPKlEESD_NSA_IPlEElN6hipcub16HIPCUB_304000_NS3MaxENSH_8EqualityElEE10hipError_tPvRmT2_T3_T4_T5_mT6_T7_P12ihipStream_tbENKUlT_T0_E_clISt17integral_constantIbLb0EES10_EEDaSV_SW_EUlSV_E_NS1_11comp_targetILNS1_3genE8ELNS1_11target_archE1030ELNS1_3gpuE2ELNS1_3repE0EEENS1_30default_config_static_selectorELNS0_4arch9wavefront6targetE1EEEvT1_
	.globl	_ZN7rocprim17ROCPRIM_400000_NS6detail17trampoline_kernelINS0_14default_configENS1_27scan_by_key_config_selectorIllEEZZNS1_16scan_by_key_implILNS1_25lookback_scan_determinismE0ELb0ES3_N6thrust23THRUST_200600_302600_NS16reverse_iteratorIPKlEESD_NSA_IPlEElN6hipcub16HIPCUB_304000_NS3MaxENSH_8EqualityElEE10hipError_tPvRmT2_T3_T4_T5_mT6_T7_P12ihipStream_tbENKUlT_T0_E_clISt17integral_constantIbLb0EES10_EEDaSV_SW_EUlSV_E_NS1_11comp_targetILNS1_3genE8ELNS1_11target_archE1030ELNS1_3gpuE2ELNS1_3repE0EEENS1_30default_config_static_selectorELNS0_4arch9wavefront6targetE1EEEvT1_
	.p2align	8
	.type	_ZN7rocprim17ROCPRIM_400000_NS6detail17trampoline_kernelINS0_14default_configENS1_27scan_by_key_config_selectorIllEEZZNS1_16scan_by_key_implILNS1_25lookback_scan_determinismE0ELb0ES3_N6thrust23THRUST_200600_302600_NS16reverse_iteratorIPKlEESD_NSA_IPlEElN6hipcub16HIPCUB_304000_NS3MaxENSH_8EqualityElEE10hipError_tPvRmT2_T3_T4_T5_mT6_T7_P12ihipStream_tbENKUlT_T0_E_clISt17integral_constantIbLb0EES10_EEDaSV_SW_EUlSV_E_NS1_11comp_targetILNS1_3genE8ELNS1_11target_archE1030ELNS1_3gpuE2ELNS1_3repE0EEENS1_30default_config_static_selectorELNS0_4arch9wavefront6targetE1EEEvT1_,@function
_ZN7rocprim17ROCPRIM_400000_NS6detail17trampoline_kernelINS0_14default_configENS1_27scan_by_key_config_selectorIllEEZZNS1_16scan_by_key_implILNS1_25lookback_scan_determinismE0ELb0ES3_N6thrust23THRUST_200600_302600_NS16reverse_iteratorIPKlEESD_NSA_IPlEElN6hipcub16HIPCUB_304000_NS3MaxENSH_8EqualityElEE10hipError_tPvRmT2_T3_T4_T5_mT6_T7_P12ihipStream_tbENKUlT_T0_E_clISt17integral_constantIbLb0EES10_EEDaSV_SW_EUlSV_E_NS1_11comp_targetILNS1_3genE8ELNS1_11target_archE1030ELNS1_3gpuE2ELNS1_3repE0EEENS1_30default_config_static_selectorELNS0_4arch9wavefront6targetE1EEEvT1_: ; @_ZN7rocprim17ROCPRIM_400000_NS6detail17trampoline_kernelINS0_14default_configENS1_27scan_by_key_config_selectorIllEEZZNS1_16scan_by_key_implILNS1_25lookback_scan_determinismE0ELb0ES3_N6thrust23THRUST_200600_302600_NS16reverse_iteratorIPKlEESD_NSA_IPlEElN6hipcub16HIPCUB_304000_NS3MaxENSH_8EqualityElEE10hipError_tPvRmT2_T3_T4_T5_mT6_T7_P12ihipStream_tbENKUlT_T0_E_clISt17integral_constantIbLb0EES10_EEDaSV_SW_EUlSV_E_NS1_11comp_targetILNS1_3genE8ELNS1_11target_archE1030ELNS1_3gpuE2ELNS1_3repE0EEENS1_30default_config_static_selectorELNS0_4arch9wavefront6targetE1EEEvT1_
; %bb.0:
	.section	.rodata,"a",@progbits
	.p2align	6, 0x0
	.amdhsa_kernel _ZN7rocprim17ROCPRIM_400000_NS6detail17trampoline_kernelINS0_14default_configENS1_27scan_by_key_config_selectorIllEEZZNS1_16scan_by_key_implILNS1_25lookback_scan_determinismE0ELb0ES3_N6thrust23THRUST_200600_302600_NS16reverse_iteratorIPKlEESD_NSA_IPlEElN6hipcub16HIPCUB_304000_NS3MaxENSH_8EqualityElEE10hipError_tPvRmT2_T3_T4_T5_mT6_T7_P12ihipStream_tbENKUlT_T0_E_clISt17integral_constantIbLb0EES10_EEDaSV_SW_EUlSV_E_NS1_11comp_targetILNS1_3genE8ELNS1_11target_archE1030ELNS1_3gpuE2ELNS1_3repE0EEENS1_30default_config_static_selectorELNS0_4arch9wavefront6targetE1EEEvT1_
		.amdhsa_group_segment_fixed_size 0
		.amdhsa_private_segment_fixed_size 0
		.amdhsa_kernarg_size 136
		.amdhsa_user_sgpr_count 2
		.amdhsa_user_sgpr_dispatch_ptr 0
		.amdhsa_user_sgpr_queue_ptr 0
		.amdhsa_user_sgpr_kernarg_segment_ptr 1
		.amdhsa_user_sgpr_dispatch_id 0
		.amdhsa_user_sgpr_kernarg_preload_length 0
		.amdhsa_user_sgpr_kernarg_preload_offset 0
		.amdhsa_user_sgpr_private_segment_size 0
		.amdhsa_uses_dynamic_stack 0
		.amdhsa_enable_private_segment 0
		.amdhsa_system_sgpr_workgroup_id_x 1
		.amdhsa_system_sgpr_workgroup_id_y 0
		.amdhsa_system_sgpr_workgroup_id_z 0
		.amdhsa_system_sgpr_workgroup_info 0
		.amdhsa_system_vgpr_workitem_id 0
		.amdhsa_next_free_vgpr 1
		.amdhsa_next_free_sgpr 0
		.amdhsa_accum_offset 4
		.amdhsa_reserve_vcc 0
		.amdhsa_float_round_mode_32 0
		.amdhsa_float_round_mode_16_64 0
		.amdhsa_float_denorm_mode_32 3
		.amdhsa_float_denorm_mode_16_64 3
		.amdhsa_dx10_clamp 1
		.amdhsa_ieee_mode 1
		.amdhsa_fp16_overflow 0
		.amdhsa_tg_split 0
		.amdhsa_exception_fp_ieee_invalid_op 0
		.amdhsa_exception_fp_denorm_src 0
		.amdhsa_exception_fp_ieee_div_zero 0
		.amdhsa_exception_fp_ieee_overflow 0
		.amdhsa_exception_fp_ieee_underflow 0
		.amdhsa_exception_fp_ieee_inexact 0
		.amdhsa_exception_int_div_zero 0
	.end_amdhsa_kernel
	.section	.text._ZN7rocprim17ROCPRIM_400000_NS6detail17trampoline_kernelINS0_14default_configENS1_27scan_by_key_config_selectorIllEEZZNS1_16scan_by_key_implILNS1_25lookback_scan_determinismE0ELb0ES3_N6thrust23THRUST_200600_302600_NS16reverse_iteratorIPKlEESD_NSA_IPlEElN6hipcub16HIPCUB_304000_NS3MaxENSH_8EqualityElEE10hipError_tPvRmT2_T3_T4_T5_mT6_T7_P12ihipStream_tbENKUlT_T0_E_clISt17integral_constantIbLb0EES10_EEDaSV_SW_EUlSV_E_NS1_11comp_targetILNS1_3genE8ELNS1_11target_archE1030ELNS1_3gpuE2ELNS1_3repE0EEENS1_30default_config_static_selectorELNS0_4arch9wavefront6targetE1EEEvT1_,"axG",@progbits,_ZN7rocprim17ROCPRIM_400000_NS6detail17trampoline_kernelINS0_14default_configENS1_27scan_by_key_config_selectorIllEEZZNS1_16scan_by_key_implILNS1_25lookback_scan_determinismE0ELb0ES3_N6thrust23THRUST_200600_302600_NS16reverse_iteratorIPKlEESD_NSA_IPlEElN6hipcub16HIPCUB_304000_NS3MaxENSH_8EqualityElEE10hipError_tPvRmT2_T3_T4_T5_mT6_T7_P12ihipStream_tbENKUlT_T0_E_clISt17integral_constantIbLb0EES10_EEDaSV_SW_EUlSV_E_NS1_11comp_targetILNS1_3genE8ELNS1_11target_archE1030ELNS1_3gpuE2ELNS1_3repE0EEENS1_30default_config_static_selectorELNS0_4arch9wavefront6targetE1EEEvT1_,comdat
.Lfunc_end145:
	.size	_ZN7rocprim17ROCPRIM_400000_NS6detail17trampoline_kernelINS0_14default_configENS1_27scan_by_key_config_selectorIllEEZZNS1_16scan_by_key_implILNS1_25lookback_scan_determinismE0ELb0ES3_N6thrust23THRUST_200600_302600_NS16reverse_iteratorIPKlEESD_NSA_IPlEElN6hipcub16HIPCUB_304000_NS3MaxENSH_8EqualityElEE10hipError_tPvRmT2_T3_T4_T5_mT6_T7_P12ihipStream_tbENKUlT_T0_E_clISt17integral_constantIbLb0EES10_EEDaSV_SW_EUlSV_E_NS1_11comp_targetILNS1_3genE8ELNS1_11target_archE1030ELNS1_3gpuE2ELNS1_3repE0EEENS1_30default_config_static_selectorELNS0_4arch9wavefront6targetE1EEEvT1_, .Lfunc_end145-_ZN7rocprim17ROCPRIM_400000_NS6detail17trampoline_kernelINS0_14default_configENS1_27scan_by_key_config_selectorIllEEZZNS1_16scan_by_key_implILNS1_25lookback_scan_determinismE0ELb0ES3_N6thrust23THRUST_200600_302600_NS16reverse_iteratorIPKlEESD_NSA_IPlEElN6hipcub16HIPCUB_304000_NS3MaxENSH_8EqualityElEE10hipError_tPvRmT2_T3_T4_T5_mT6_T7_P12ihipStream_tbENKUlT_T0_E_clISt17integral_constantIbLb0EES10_EEDaSV_SW_EUlSV_E_NS1_11comp_targetILNS1_3genE8ELNS1_11target_archE1030ELNS1_3gpuE2ELNS1_3repE0EEENS1_30default_config_static_selectorELNS0_4arch9wavefront6targetE1EEEvT1_
                                        ; -- End function
	.section	.AMDGPU.csdata,"",@progbits
; Kernel info:
; codeLenInByte = 0
; NumSgprs: 6
; NumVgprs: 0
; NumAgprs: 0
; TotalNumVgprs: 0
; ScratchSize: 0
; MemoryBound: 0
; FloatMode: 240
; IeeeMode: 1
; LDSByteSize: 0 bytes/workgroup (compile time only)
; SGPRBlocks: 0
; VGPRBlocks: 0
; NumSGPRsForWavesPerEU: 6
; NumVGPRsForWavesPerEU: 1
; AccumOffset: 4
; Occupancy: 8
; WaveLimiterHint : 0
; COMPUTE_PGM_RSRC2:SCRATCH_EN: 0
; COMPUTE_PGM_RSRC2:USER_SGPR: 2
; COMPUTE_PGM_RSRC2:TRAP_HANDLER: 0
; COMPUTE_PGM_RSRC2:TGID_X_EN: 1
; COMPUTE_PGM_RSRC2:TGID_Y_EN: 0
; COMPUTE_PGM_RSRC2:TGID_Z_EN: 0
; COMPUTE_PGM_RSRC2:TIDIG_COMP_CNT: 0
; COMPUTE_PGM_RSRC3_GFX90A:ACCUM_OFFSET: 0
; COMPUTE_PGM_RSRC3_GFX90A:TG_SPLIT: 0
	.section	.text._ZN7rocprim17ROCPRIM_400000_NS6detail30init_device_scan_by_key_kernelINS1_19lookback_scan_stateINS0_5tupleIJlbEEELb1ELb0EEEN6thrust23THRUST_200600_302600_NS16reverse_iteratorIPKlEEjNS1_16block_id_wrapperIjLb1EEEEEvT_jjPNSF_10value_typeET0_PNSt15iterator_traitsISI_E10value_typeEmT1_T2_,"axG",@progbits,_ZN7rocprim17ROCPRIM_400000_NS6detail30init_device_scan_by_key_kernelINS1_19lookback_scan_stateINS0_5tupleIJlbEEELb1ELb0EEEN6thrust23THRUST_200600_302600_NS16reverse_iteratorIPKlEEjNS1_16block_id_wrapperIjLb1EEEEEvT_jjPNSF_10value_typeET0_PNSt15iterator_traitsISI_E10value_typeEmT1_T2_,comdat
	.protected	_ZN7rocprim17ROCPRIM_400000_NS6detail30init_device_scan_by_key_kernelINS1_19lookback_scan_stateINS0_5tupleIJlbEEELb1ELb0EEEN6thrust23THRUST_200600_302600_NS16reverse_iteratorIPKlEEjNS1_16block_id_wrapperIjLb1EEEEEvT_jjPNSF_10value_typeET0_PNSt15iterator_traitsISI_E10value_typeEmT1_T2_ ; -- Begin function _ZN7rocprim17ROCPRIM_400000_NS6detail30init_device_scan_by_key_kernelINS1_19lookback_scan_stateINS0_5tupleIJlbEEELb1ELb0EEEN6thrust23THRUST_200600_302600_NS16reverse_iteratorIPKlEEjNS1_16block_id_wrapperIjLb1EEEEEvT_jjPNSF_10value_typeET0_PNSt15iterator_traitsISI_E10value_typeEmT1_T2_
	.globl	_ZN7rocprim17ROCPRIM_400000_NS6detail30init_device_scan_by_key_kernelINS1_19lookback_scan_stateINS0_5tupleIJlbEEELb1ELb0EEEN6thrust23THRUST_200600_302600_NS16reverse_iteratorIPKlEEjNS1_16block_id_wrapperIjLb1EEEEEvT_jjPNSF_10value_typeET0_PNSt15iterator_traitsISI_E10value_typeEmT1_T2_
	.p2align	8
	.type	_ZN7rocprim17ROCPRIM_400000_NS6detail30init_device_scan_by_key_kernelINS1_19lookback_scan_stateINS0_5tupleIJlbEEELb1ELb0EEEN6thrust23THRUST_200600_302600_NS16reverse_iteratorIPKlEEjNS1_16block_id_wrapperIjLb1EEEEEvT_jjPNSF_10value_typeET0_PNSt15iterator_traitsISI_E10value_typeEmT1_T2_,@function
_ZN7rocprim17ROCPRIM_400000_NS6detail30init_device_scan_by_key_kernelINS1_19lookback_scan_stateINS0_5tupleIJlbEEELb1ELb0EEEN6thrust23THRUST_200600_302600_NS16reverse_iteratorIPKlEEjNS1_16block_id_wrapperIjLb1EEEEEvT_jjPNSF_10value_typeET0_PNSt15iterator_traitsISI_E10value_typeEmT1_T2_: ; @_ZN7rocprim17ROCPRIM_400000_NS6detail30init_device_scan_by_key_kernelINS1_19lookback_scan_stateINS0_5tupleIJlbEEELb1ELb0EEEN6thrust23THRUST_200600_302600_NS16reverse_iteratorIPKlEEjNS1_16block_id_wrapperIjLb1EEEEEvT_jjPNSF_10value_typeET0_PNSt15iterator_traitsISI_E10value_typeEmT1_T2_
; %bb.0:
	s_load_dword s3, s[0:1], 0x5c
	s_load_dwordx8 s[4:11], s[0:1], 0x10
	s_load_dword s20, s[0:1], 0x50
	s_waitcnt lgkmcnt(0)
	s_and_b32 s21, s3, 0xffff
	s_mul_i32 s2, s2, s21
	s_cmp_eq_u64 s[8:9], 0
	v_add_u32_e32 v0, s2, v0
	s_cbranch_scc1 .LBB146_11
; %bb.1:
	s_cmp_lt_u32 s7, s6
	s_cselect_b32 s2, s7, 0
	s_mov_b32 s17, 0
	v_cmp_eq_u32_e32 vcc, s2, v0
	s_and_saveexec_b64 s[2:3], vcc
	s_cbranch_execz .LBB146_10
; %bb.2:
	s_add_i32 s16, s7, 64
	v_mov_b32_e32 v1, s16
	global_load_ubyte v1, v1, s[4:5] sc1
	s_load_dwordx4 s[12:15], s[0:1], 0x0
	s_add_u32 s18, s4, s16
	s_addc_u32 s19, s5, 0
	s_waitcnt vmcnt(0)
	v_cmp_ne_u16_e32 vcc, 0, v1
	v_readfirstlane_b32 s7, v1
	s_cbranch_vccz .LBB146_4
; %bb.3:
	s_and_b32 s7, 0xffff, s7
	s_branch .LBB146_9
.LBB146_4:
	s_mov_b32 s7, 1
	v_mov_b32_e32 v1, 0
.LBB146_5:                              ; =>This Loop Header: Depth=1
                                        ;     Child Loop BB146_6 Depth 2
	s_max_u32 s22, s7, 1
.LBB146_6:                              ;   Parent Loop BB146_5 Depth=1
                                        ; =>  This Inner Loop Header: Depth=2
	s_add_i32 s22, s22, -1
	s_cmp_eq_u32 s22, 0
	s_sleep 1
	s_cbranch_scc0 .LBB146_6
; %bb.7:                                ;   in Loop: Header=BB146_5 Depth=1
	global_load_ubyte v2, v1, s[18:19] sc1
	s_cmp_lt_u32 s7, 32
	s_cselect_b64 s[22:23], -1, 0
	s_cmp_lg_u64 s[22:23], 0
	s_addc_u32 s7, s7, 0
	s_waitcnt vmcnt(0)
	v_cmp_ne_u16_e32 vcc, 0, v2
	v_readfirstlane_b32 s22, v2
	s_cbranch_vccz .LBB146_5
; %bb.8:
	s_and_b32 s7, 0xffff, s22
.LBB146_9:
	s_cmp_eq_u32 s7, 1
	s_waitcnt lgkmcnt(0)
	s_cselect_b32 s7, s13, s15
	s_cselect_b32 s14, s12, s14
	s_lshl_b64 s[12:13], s[16:17], 4
	s_add_u32 s12, s14, s12
	s_addc_u32 s13, s7, s13
	v_mov_b32_e32 v1, 0
	s_waitcnt vmcnt(0)
	global_load_dword v2, v1, s[12:13] sc1
	global_load_dword v3, v1, s[12:13] offset:4 sc1
	global_load_dword v4, v1, s[12:13] offset:8 sc1
	;; [unrolled: 1-line block ×3, first 2 shown]
	s_waitcnt vmcnt(2)
	global_store_dwordx2 v1, v[2:3], s[8:9]
	s_waitcnt vmcnt(2)
	global_store_byte v1, v4, s[8:9] offset:8
.LBB146_10:
	s_or_b64 exec, exec, s[2:3]
.LBB146_11:
	v_cmp_eq_u32_e32 vcc, 0, v0
	s_and_saveexec_b64 s[2:3], vcc
	s_cbranch_execz .LBB146_13
; %bb.12:
	s_load_dwordx2 s[8:9], s[0:1], 0x48
	v_mov_b32_e32 v1, 0
	s_waitcnt lgkmcnt(0)
	global_store_dword v1, v1, s[8:9]
.LBB146_13:
	s_or_b64 exec, exec, s[2:3]
	v_cmp_gt_u32_e32 vcc, s6, v0
	s_and_saveexec_b64 s[2:3], vcc
	s_cbranch_execz .LBB146_15
; %bb.14:
	v_add_u32_e32 v1, 64, v0
	v_mov_b32_e32 v2, 0
	global_store_byte v1, v2, s[4:5]
.LBB146_15:
	s_or_b64 exec, exec, s[2:3]
	v_cmp_gt_u32_e32 vcc, 64, v0
	v_mov_b32_e32 v1, 0
	s_and_saveexec_b64 s[2:3], vcc
	s_cbranch_execz .LBB146_17
; %bb.16:
	v_lshl_add_u64 v[2:3], s[4:5], 0, v[0:1]
	v_mov_b32_e32 v4, 0xff
	global_store_byte v[2:3], v4, off
.LBB146_17:
	s_or_b64 exec, exec, s[2:3]
	s_load_dwordx2 s[2:3], s[0:1], 0x38
	s_waitcnt lgkmcnt(0)
	v_cmp_gt_u64_e32 vcc, s[2:3], v[0:1]
	s_and_saveexec_b64 s[4:5], vcc
	s_cbranch_execz .LBB146_20
; %bb.18:
	s_load_dword s6, s[0:1], 0x40
	s_load_dwordx2 s[8:9], s[0:1], 0x30
	v_mov_b32_e32 v3, 0
	s_mul_i32 s0, s20, s21
	v_mov_b32_e32 v4, s11
	s_waitcnt lgkmcnt(0)
	s_add_i32 s4, s6, -1
	v_mov_b32_e32 v2, s4
	v_mad_u64_u32 v[2:3], s[4:5], s6, v0, v[2:3]
	v_lshlrev_b64 v[2:3], 3, v[2:3]
	s_mul_hi_u32 s5, s6, s0
	s_mul_i32 s4, s6, s0
	v_sub_co_u32_e32 v2, vcc, s10, v2
	s_lshl_b64 s[6:7], s[4:5], 3
	s_mov_b32 s1, 0
	v_subb_co_u32_e32 v3, vcc, v4, v3, vcc
	s_sub_u32 s6, 0, s6
	v_lshl_add_u64 v[2:3], v[2:3], 0, -8
	s_mov_b64 s[4:5], 0
	s_subb_u32 s7, 0, s7
	s_waitcnt vmcnt(2)
	v_lshl_add_u64 v[4:5], v[0:1], 3, s[8:9]
	s_lshl_b64 s[8:9], s[0:1], 3
.LBB146_19:                             ; =>This Inner Loop Header: Depth=1
	global_load_dwordx2 v[6:7], v[2:3], off
	v_lshl_add_u64 v[0:1], v[0:1], 0, s[0:1]
	v_cmp_le_u64_e32 vcc, s[2:3], v[0:1]
	v_lshl_add_u64 v[2:3], v[2:3], 0, s[6:7]
	s_or_b64 s[4:5], vcc, s[4:5]
	s_waitcnt vmcnt(0)
	global_store_dwordx2 v[4:5], v[6:7], off
	v_lshl_add_u64 v[4:5], v[4:5], 0, s[8:9]
	s_andn2_b64 exec, exec, s[4:5]
	s_cbranch_execnz .LBB146_19
.LBB146_20:
	s_endpgm
	.section	.rodata,"a",@progbits
	.p2align	6, 0x0
	.amdhsa_kernel _ZN7rocprim17ROCPRIM_400000_NS6detail30init_device_scan_by_key_kernelINS1_19lookback_scan_stateINS0_5tupleIJlbEEELb1ELb0EEEN6thrust23THRUST_200600_302600_NS16reverse_iteratorIPKlEEjNS1_16block_id_wrapperIjLb1EEEEEvT_jjPNSF_10value_typeET0_PNSt15iterator_traitsISI_E10value_typeEmT1_T2_
		.amdhsa_group_segment_fixed_size 0
		.amdhsa_private_segment_fixed_size 0
		.amdhsa_kernarg_size 336
		.amdhsa_user_sgpr_count 2
		.amdhsa_user_sgpr_dispatch_ptr 0
		.amdhsa_user_sgpr_queue_ptr 0
		.amdhsa_user_sgpr_kernarg_segment_ptr 1
		.amdhsa_user_sgpr_dispatch_id 0
		.amdhsa_user_sgpr_kernarg_preload_length 0
		.amdhsa_user_sgpr_kernarg_preload_offset 0
		.amdhsa_user_sgpr_private_segment_size 0
		.amdhsa_uses_dynamic_stack 0
		.amdhsa_enable_private_segment 0
		.amdhsa_system_sgpr_workgroup_id_x 1
		.amdhsa_system_sgpr_workgroup_id_y 0
		.amdhsa_system_sgpr_workgroup_id_z 0
		.amdhsa_system_sgpr_workgroup_info 0
		.amdhsa_system_vgpr_workitem_id 0
		.amdhsa_next_free_vgpr 8
		.amdhsa_next_free_sgpr 24
		.amdhsa_accum_offset 8
		.amdhsa_reserve_vcc 1
		.amdhsa_float_round_mode_32 0
		.amdhsa_float_round_mode_16_64 0
		.amdhsa_float_denorm_mode_32 3
		.amdhsa_float_denorm_mode_16_64 3
		.amdhsa_dx10_clamp 1
		.amdhsa_ieee_mode 1
		.amdhsa_fp16_overflow 0
		.amdhsa_tg_split 0
		.amdhsa_exception_fp_ieee_invalid_op 0
		.amdhsa_exception_fp_denorm_src 0
		.amdhsa_exception_fp_ieee_div_zero 0
		.amdhsa_exception_fp_ieee_overflow 0
		.amdhsa_exception_fp_ieee_underflow 0
		.amdhsa_exception_fp_ieee_inexact 0
		.amdhsa_exception_int_div_zero 0
	.end_amdhsa_kernel
	.section	.text._ZN7rocprim17ROCPRIM_400000_NS6detail30init_device_scan_by_key_kernelINS1_19lookback_scan_stateINS0_5tupleIJlbEEELb1ELb0EEEN6thrust23THRUST_200600_302600_NS16reverse_iteratorIPKlEEjNS1_16block_id_wrapperIjLb1EEEEEvT_jjPNSF_10value_typeET0_PNSt15iterator_traitsISI_E10value_typeEmT1_T2_,"axG",@progbits,_ZN7rocprim17ROCPRIM_400000_NS6detail30init_device_scan_by_key_kernelINS1_19lookback_scan_stateINS0_5tupleIJlbEEELb1ELb0EEEN6thrust23THRUST_200600_302600_NS16reverse_iteratorIPKlEEjNS1_16block_id_wrapperIjLb1EEEEEvT_jjPNSF_10value_typeET0_PNSt15iterator_traitsISI_E10value_typeEmT1_T2_,comdat
.Lfunc_end146:
	.size	_ZN7rocprim17ROCPRIM_400000_NS6detail30init_device_scan_by_key_kernelINS1_19lookback_scan_stateINS0_5tupleIJlbEEELb1ELb0EEEN6thrust23THRUST_200600_302600_NS16reverse_iteratorIPKlEEjNS1_16block_id_wrapperIjLb1EEEEEvT_jjPNSF_10value_typeET0_PNSt15iterator_traitsISI_E10value_typeEmT1_T2_, .Lfunc_end146-_ZN7rocprim17ROCPRIM_400000_NS6detail30init_device_scan_by_key_kernelINS1_19lookback_scan_stateINS0_5tupleIJlbEEELb1ELb0EEEN6thrust23THRUST_200600_302600_NS16reverse_iteratorIPKlEEjNS1_16block_id_wrapperIjLb1EEEEEvT_jjPNSF_10value_typeET0_PNSt15iterator_traitsISI_E10value_typeEmT1_T2_
                                        ; -- End function
	.section	.AMDGPU.csdata,"",@progbits
; Kernel info:
; codeLenInByte = 628
; NumSgprs: 30
; NumVgprs: 8
; NumAgprs: 0
; TotalNumVgprs: 8
; ScratchSize: 0
; MemoryBound: 0
; FloatMode: 240
; IeeeMode: 1
; LDSByteSize: 0 bytes/workgroup (compile time only)
; SGPRBlocks: 3
; VGPRBlocks: 0
; NumSGPRsForWavesPerEU: 30
; NumVGPRsForWavesPerEU: 8
; AccumOffset: 8
; Occupancy: 8
; WaveLimiterHint : 0
; COMPUTE_PGM_RSRC2:SCRATCH_EN: 0
; COMPUTE_PGM_RSRC2:USER_SGPR: 2
; COMPUTE_PGM_RSRC2:TRAP_HANDLER: 0
; COMPUTE_PGM_RSRC2:TGID_X_EN: 1
; COMPUTE_PGM_RSRC2:TGID_Y_EN: 0
; COMPUTE_PGM_RSRC2:TGID_Z_EN: 0
; COMPUTE_PGM_RSRC2:TIDIG_COMP_CNT: 0
; COMPUTE_PGM_RSRC3_GFX90A:ACCUM_OFFSET: 1
; COMPUTE_PGM_RSRC3_GFX90A:TG_SPLIT: 0
	.section	.text._ZN7rocprim17ROCPRIM_400000_NS6detail17trampoline_kernelINS0_14default_configENS1_27scan_by_key_config_selectorIllEEZZNS1_16scan_by_key_implILNS1_25lookback_scan_determinismE0ELb0ES3_N6thrust23THRUST_200600_302600_NS16reverse_iteratorIPKlEESD_NSA_IPlEElN6hipcub16HIPCUB_304000_NS3MaxENSH_8EqualityElEE10hipError_tPvRmT2_T3_T4_T5_mT6_T7_P12ihipStream_tbENKUlT_T0_E_clISt17integral_constantIbLb1EES10_EEDaSV_SW_EUlSV_E_NS1_11comp_targetILNS1_3genE0ELNS1_11target_archE4294967295ELNS1_3gpuE0ELNS1_3repE0EEENS1_30default_config_static_selectorELNS0_4arch9wavefront6targetE1EEEvT1_,"axG",@progbits,_ZN7rocprim17ROCPRIM_400000_NS6detail17trampoline_kernelINS0_14default_configENS1_27scan_by_key_config_selectorIllEEZZNS1_16scan_by_key_implILNS1_25lookback_scan_determinismE0ELb0ES3_N6thrust23THRUST_200600_302600_NS16reverse_iteratorIPKlEESD_NSA_IPlEElN6hipcub16HIPCUB_304000_NS3MaxENSH_8EqualityElEE10hipError_tPvRmT2_T3_T4_T5_mT6_T7_P12ihipStream_tbENKUlT_T0_E_clISt17integral_constantIbLb1EES10_EEDaSV_SW_EUlSV_E_NS1_11comp_targetILNS1_3genE0ELNS1_11target_archE4294967295ELNS1_3gpuE0ELNS1_3repE0EEENS1_30default_config_static_selectorELNS0_4arch9wavefront6targetE1EEEvT1_,comdat
	.protected	_ZN7rocprim17ROCPRIM_400000_NS6detail17trampoline_kernelINS0_14default_configENS1_27scan_by_key_config_selectorIllEEZZNS1_16scan_by_key_implILNS1_25lookback_scan_determinismE0ELb0ES3_N6thrust23THRUST_200600_302600_NS16reverse_iteratorIPKlEESD_NSA_IPlEElN6hipcub16HIPCUB_304000_NS3MaxENSH_8EqualityElEE10hipError_tPvRmT2_T3_T4_T5_mT6_T7_P12ihipStream_tbENKUlT_T0_E_clISt17integral_constantIbLb1EES10_EEDaSV_SW_EUlSV_E_NS1_11comp_targetILNS1_3genE0ELNS1_11target_archE4294967295ELNS1_3gpuE0ELNS1_3repE0EEENS1_30default_config_static_selectorELNS0_4arch9wavefront6targetE1EEEvT1_ ; -- Begin function _ZN7rocprim17ROCPRIM_400000_NS6detail17trampoline_kernelINS0_14default_configENS1_27scan_by_key_config_selectorIllEEZZNS1_16scan_by_key_implILNS1_25lookback_scan_determinismE0ELb0ES3_N6thrust23THRUST_200600_302600_NS16reverse_iteratorIPKlEESD_NSA_IPlEElN6hipcub16HIPCUB_304000_NS3MaxENSH_8EqualityElEE10hipError_tPvRmT2_T3_T4_T5_mT6_T7_P12ihipStream_tbENKUlT_T0_E_clISt17integral_constantIbLb1EES10_EEDaSV_SW_EUlSV_E_NS1_11comp_targetILNS1_3genE0ELNS1_11target_archE4294967295ELNS1_3gpuE0ELNS1_3repE0EEENS1_30default_config_static_selectorELNS0_4arch9wavefront6targetE1EEEvT1_
	.globl	_ZN7rocprim17ROCPRIM_400000_NS6detail17trampoline_kernelINS0_14default_configENS1_27scan_by_key_config_selectorIllEEZZNS1_16scan_by_key_implILNS1_25lookback_scan_determinismE0ELb0ES3_N6thrust23THRUST_200600_302600_NS16reverse_iteratorIPKlEESD_NSA_IPlEElN6hipcub16HIPCUB_304000_NS3MaxENSH_8EqualityElEE10hipError_tPvRmT2_T3_T4_T5_mT6_T7_P12ihipStream_tbENKUlT_T0_E_clISt17integral_constantIbLb1EES10_EEDaSV_SW_EUlSV_E_NS1_11comp_targetILNS1_3genE0ELNS1_11target_archE4294967295ELNS1_3gpuE0ELNS1_3repE0EEENS1_30default_config_static_selectorELNS0_4arch9wavefront6targetE1EEEvT1_
	.p2align	8
	.type	_ZN7rocprim17ROCPRIM_400000_NS6detail17trampoline_kernelINS0_14default_configENS1_27scan_by_key_config_selectorIllEEZZNS1_16scan_by_key_implILNS1_25lookback_scan_determinismE0ELb0ES3_N6thrust23THRUST_200600_302600_NS16reverse_iteratorIPKlEESD_NSA_IPlEElN6hipcub16HIPCUB_304000_NS3MaxENSH_8EqualityElEE10hipError_tPvRmT2_T3_T4_T5_mT6_T7_P12ihipStream_tbENKUlT_T0_E_clISt17integral_constantIbLb1EES10_EEDaSV_SW_EUlSV_E_NS1_11comp_targetILNS1_3genE0ELNS1_11target_archE4294967295ELNS1_3gpuE0ELNS1_3repE0EEENS1_30default_config_static_selectorELNS0_4arch9wavefront6targetE1EEEvT1_,@function
_ZN7rocprim17ROCPRIM_400000_NS6detail17trampoline_kernelINS0_14default_configENS1_27scan_by_key_config_selectorIllEEZZNS1_16scan_by_key_implILNS1_25lookback_scan_determinismE0ELb0ES3_N6thrust23THRUST_200600_302600_NS16reverse_iteratorIPKlEESD_NSA_IPlEElN6hipcub16HIPCUB_304000_NS3MaxENSH_8EqualityElEE10hipError_tPvRmT2_T3_T4_T5_mT6_T7_P12ihipStream_tbENKUlT_T0_E_clISt17integral_constantIbLb1EES10_EEDaSV_SW_EUlSV_E_NS1_11comp_targetILNS1_3genE0ELNS1_11target_archE4294967295ELNS1_3gpuE0ELNS1_3repE0EEENS1_30default_config_static_selectorELNS0_4arch9wavefront6targetE1EEEvT1_: ; @_ZN7rocprim17ROCPRIM_400000_NS6detail17trampoline_kernelINS0_14default_configENS1_27scan_by_key_config_selectorIllEEZZNS1_16scan_by_key_implILNS1_25lookback_scan_determinismE0ELb0ES3_N6thrust23THRUST_200600_302600_NS16reverse_iteratorIPKlEESD_NSA_IPlEElN6hipcub16HIPCUB_304000_NS3MaxENSH_8EqualityElEE10hipError_tPvRmT2_T3_T4_T5_mT6_T7_P12ihipStream_tbENKUlT_T0_E_clISt17integral_constantIbLb1EES10_EEDaSV_SW_EUlSV_E_NS1_11comp_targetILNS1_3genE0ELNS1_11target_archE4294967295ELNS1_3gpuE0ELNS1_3repE0EEENS1_30default_config_static_selectorELNS0_4arch9wavefront6targetE1EEEvT1_
; %bb.0:
	.section	.rodata,"a",@progbits
	.p2align	6, 0x0
	.amdhsa_kernel _ZN7rocprim17ROCPRIM_400000_NS6detail17trampoline_kernelINS0_14default_configENS1_27scan_by_key_config_selectorIllEEZZNS1_16scan_by_key_implILNS1_25lookback_scan_determinismE0ELb0ES3_N6thrust23THRUST_200600_302600_NS16reverse_iteratorIPKlEESD_NSA_IPlEElN6hipcub16HIPCUB_304000_NS3MaxENSH_8EqualityElEE10hipError_tPvRmT2_T3_T4_T5_mT6_T7_P12ihipStream_tbENKUlT_T0_E_clISt17integral_constantIbLb1EES10_EEDaSV_SW_EUlSV_E_NS1_11comp_targetILNS1_3genE0ELNS1_11target_archE4294967295ELNS1_3gpuE0ELNS1_3repE0EEENS1_30default_config_static_selectorELNS0_4arch9wavefront6targetE1EEEvT1_
		.amdhsa_group_segment_fixed_size 0
		.amdhsa_private_segment_fixed_size 0
		.amdhsa_kernarg_size 136
		.amdhsa_user_sgpr_count 2
		.amdhsa_user_sgpr_dispatch_ptr 0
		.amdhsa_user_sgpr_queue_ptr 0
		.amdhsa_user_sgpr_kernarg_segment_ptr 1
		.amdhsa_user_sgpr_dispatch_id 0
		.amdhsa_user_sgpr_kernarg_preload_length 0
		.amdhsa_user_sgpr_kernarg_preload_offset 0
		.amdhsa_user_sgpr_private_segment_size 0
		.amdhsa_uses_dynamic_stack 0
		.amdhsa_enable_private_segment 0
		.amdhsa_system_sgpr_workgroup_id_x 1
		.amdhsa_system_sgpr_workgroup_id_y 0
		.amdhsa_system_sgpr_workgroup_id_z 0
		.amdhsa_system_sgpr_workgroup_info 0
		.amdhsa_system_vgpr_workitem_id 0
		.amdhsa_next_free_vgpr 1
		.amdhsa_next_free_sgpr 0
		.amdhsa_accum_offset 4
		.amdhsa_reserve_vcc 0
		.amdhsa_float_round_mode_32 0
		.amdhsa_float_round_mode_16_64 0
		.amdhsa_float_denorm_mode_32 3
		.amdhsa_float_denorm_mode_16_64 3
		.amdhsa_dx10_clamp 1
		.amdhsa_ieee_mode 1
		.amdhsa_fp16_overflow 0
		.amdhsa_tg_split 0
		.amdhsa_exception_fp_ieee_invalid_op 0
		.amdhsa_exception_fp_denorm_src 0
		.amdhsa_exception_fp_ieee_div_zero 0
		.amdhsa_exception_fp_ieee_overflow 0
		.amdhsa_exception_fp_ieee_underflow 0
		.amdhsa_exception_fp_ieee_inexact 0
		.amdhsa_exception_int_div_zero 0
	.end_amdhsa_kernel
	.section	.text._ZN7rocprim17ROCPRIM_400000_NS6detail17trampoline_kernelINS0_14default_configENS1_27scan_by_key_config_selectorIllEEZZNS1_16scan_by_key_implILNS1_25lookback_scan_determinismE0ELb0ES3_N6thrust23THRUST_200600_302600_NS16reverse_iteratorIPKlEESD_NSA_IPlEElN6hipcub16HIPCUB_304000_NS3MaxENSH_8EqualityElEE10hipError_tPvRmT2_T3_T4_T5_mT6_T7_P12ihipStream_tbENKUlT_T0_E_clISt17integral_constantIbLb1EES10_EEDaSV_SW_EUlSV_E_NS1_11comp_targetILNS1_3genE0ELNS1_11target_archE4294967295ELNS1_3gpuE0ELNS1_3repE0EEENS1_30default_config_static_selectorELNS0_4arch9wavefront6targetE1EEEvT1_,"axG",@progbits,_ZN7rocprim17ROCPRIM_400000_NS6detail17trampoline_kernelINS0_14default_configENS1_27scan_by_key_config_selectorIllEEZZNS1_16scan_by_key_implILNS1_25lookback_scan_determinismE0ELb0ES3_N6thrust23THRUST_200600_302600_NS16reverse_iteratorIPKlEESD_NSA_IPlEElN6hipcub16HIPCUB_304000_NS3MaxENSH_8EqualityElEE10hipError_tPvRmT2_T3_T4_T5_mT6_T7_P12ihipStream_tbENKUlT_T0_E_clISt17integral_constantIbLb1EES10_EEDaSV_SW_EUlSV_E_NS1_11comp_targetILNS1_3genE0ELNS1_11target_archE4294967295ELNS1_3gpuE0ELNS1_3repE0EEENS1_30default_config_static_selectorELNS0_4arch9wavefront6targetE1EEEvT1_,comdat
.Lfunc_end147:
	.size	_ZN7rocprim17ROCPRIM_400000_NS6detail17trampoline_kernelINS0_14default_configENS1_27scan_by_key_config_selectorIllEEZZNS1_16scan_by_key_implILNS1_25lookback_scan_determinismE0ELb0ES3_N6thrust23THRUST_200600_302600_NS16reverse_iteratorIPKlEESD_NSA_IPlEElN6hipcub16HIPCUB_304000_NS3MaxENSH_8EqualityElEE10hipError_tPvRmT2_T3_T4_T5_mT6_T7_P12ihipStream_tbENKUlT_T0_E_clISt17integral_constantIbLb1EES10_EEDaSV_SW_EUlSV_E_NS1_11comp_targetILNS1_3genE0ELNS1_11target_archE4294967295ELNS1_3gpuE0ELNS1_3repE0EEENS1_30default_config_static_selectorELNS0_4arch9wavefront6targetE1EEEvT1_, .Lfunc_end147-_ZN7rocprim17ROCPRIM_400000_NS6detail17trampoline_kernelINS0_14default_configENS1_27scan_by_key_config_selectorIllEEZZNS1_16scan_by_key_implILNS1_25lookback_scan_determinismE0ELb0ES3_N6thrust23THRUST_200600_302600_NS16reverse_iteratorIPKlEESD_NSA_IPlEElN6hipcub16HIPCUB_304000_NS3MaxENSH_8EqualityElEE10hipError_tPvRmT2_T3_T4_T5_mT6_T7_P12ihipStream_tbENKUlT_T0_E_clISt17integral_constantIbLb1EES10_EEDaSV_SW_EUlSV_E_NS1_11comp_targetILNS1_3genE0ELNS1_11target_archE4294967295ELNS1_3gpuE0ELNS1_3repE0EEENS1_30default_config_static_selectorELNS0_4arch9wavefront6targetE1EEEvT1_
                                        ; -- End function
	.section	.AMDGPU.csdata,"",@progbits
; Kernel info:
; codeLenInByte = 0
; NumSgprs: 6
; NumVgprs: 0
; NumAgprs: 0
; TotalNumVgprs: 0
; ScratchSize: 0
; MemoryBound: 0
; FloatMode: 240
; IeeeMode: 1
; LDSByteSize: 0 bytes/workgroup (compile time only)
; SGPRBlocks: 0
; VGPRBlocks: 0
; NumSGPRsForWavesPerEU: 6
; NumVGPRsForWavesPerEU: 1
; AccumOffset: 4
; Occupancy: 8
; WaveLimiterHint : 0
; COMPUTE_PGM_RSRC2:SCRATCH_EN: 0
; COMPUTE_PGM_RSRC2:USER_SGPR: 2
; COMPUTE_PGM_RSRC2:TRAP_HANDLER: 0
; COMPUTE_PGM_RSRC2:TGID_X_EN: 1
; COMPUTE_PGM_RSRC2:TGID_Y_EN: 0
; COMPUTE_PGM_RSRC2:TGID_Z_EN: 0
; COMPUTE_PGM_RSRC2:TIDIG_COMP_CNT: 0
; COMPUTE_PGM_RSRC3_GFX90A:ACCUM_OFFSET: 0
; COMPUTE_PGM_RSRC3_GFX90A:TG_SPLIT: 0
	.section	.text._ZN7rocprim17ROCPRIM_400000_NS6detail17trampoline_kernelINS0_14default_configENS1_27scan_by_key_config_selectorIllEEZZNS1_16scan_by_key_implILNS1_25lookback_scan_determinismE0ELb0ES3_N6thrust23THRUST_200600_302600_NS16reverse_iteratorIPKlEESD_NSA_IPlEElN6hipcub16HIPCUB_304000_NS3MaxENSH_8EqualityElEE10hipError_tPvRmT2_T3_T4_T5_mT6_T7_P12ihipStream_tbENKUlT_T0_E_clISt17integral_constantIbLb1EES10_EEDaSV_SW_EUlSV_E_NS1_11comp_targetILNS1_3genE10ELNS1_11target_archE1201ELNS1_3gpuE5ELNS1_3repE0EEENS1_30default_config_static_selectorELNS0_4arch9wavefront6targetE1EEEvT1_,"axG",@progbits,_ZN7rocprim17ROCPRIM_400000_NS6detail17trampoline_kernelINS0_14default_configENS1_27scan_by_key_config_selectorIllEEZZNS1_16scan_by_key_implILNS1_25lookback_scan_determinismE0ELb0ES3_N6thrust23THRUST_200600_302600_NS16reverse_iteratorIPKlEESD_NSA_IPlEElN6hipcub16HIPCUB_304000_NS3MaxENSH_8EqualityElEE10hipError_tPvRmT2_T3_T4_T5_mT6_T7_P12ihipStream_tbENKUlT_T0_E_clISt17integral_constantIbLb1EES10_EEDaSV_SW_EUlSV_E_NS1_11comp_targetILNS1_3genE10ELNS1_11target_archE1201ELNS1_3gpuE5ELNS1_3repE0EEENS1_30default_config_static_selectorELNS0_4arch9wavefront6targetE1EEEvT1_,comdat
	.protected	_ZN7rocprim17ROCPRIM_400000_NS6detail17trampoline_kernelINS0_14default_configENS1_27scan_by_key_config_selectorIllEEZZNS1_16scan_by_key_implILNS1_25lookback_scan_determinismE0ELb0ES3_N6thrust23THRUST_200600_302600_NS16reverse_iteratorIPKlEESD_NSA_IPlEElN6hipcub16HIPCUB_304000_NS3MaxENSH_8EqualityElEE10hipError_tPvRmT2_T3_T4_T5_mT6_T7_P12ihipStream_tbENKUlT_T0_E_clISt17integral_constantIbLb1EES10_EEDaSV_SW_EUlSV_E_NS1_11comp_targetILNS1_3genE10ELNS1_11target_archE1201ELNS1_3gpuE5ELNS1_3repE0EEENS1_30default_config_static_selectorELNS0_4arch9wavefront6targetE1EEEvT1_ ; -- Begin function _ZN7rocprim17ROCPRIM_400000_NS6detail17trampoline_kernelINS0_14default_configENS1_27scan_by_key_config_selectorIllEEZZNS1_16scan_by_key_implILNS1_25lookback_scan_determinismE0ELb0ES3_N6thrust23THRUST_200600_302600_NS16reverse_iteratorIPKlEESD_NSA_IPlEElN6hipcub16HIPCUB_304000_NS3MaxENSH_8EqualityElEE10hipError_tPvRmT2_T3_T4_T5_mT6_T7_P12ihipStream_tbENKUlT_T0_E_clISt17integral_constantIbLb1EES10_EEDaSV_SW_EUlSV_E_NS1_11comp_targetILNS1_3genE10ELNS1_11target_archE1201ELNS1_3gpuE5ELNS1_3repE0EEENS1_30default_config_static_selectorELNS0_4arch9wavefront6targetE1EEEvT1_
	.globl	_ZN7rocprim17ROCPRIM_400000_NS6detail17trampoline_kernelINS0_14default_configENS1_27scan_by_key_config_selectorIllEEZZNS1_16scan_by_key_implILNS1_25lookback_scan_determinismE0ELb0ES3_N6thrust23THRUST_200600_302600_NS16reverse_iteratorIPKlEESD_NSA_IPlEElN6hipcub16HIPCUB_304000_NS3MaxENSH_8EqualityElEE10hipError_tPvRmT2_T3_T4_T5_mT6_T7_P12ihipStream_tbENKUlT_T0_E_clISt17integral_constantIbLb1EES10_EEDaSV_SW_EUlSV_E_NS1_11comp_targetILNS1_3genE10ELNS1_11target_archE1201ELNS1_3gpuE5ELNS1_3repE0EEENS1_30default_config_static_selectorELNS0_4arch9wavefront6targetE1EEEvT1_
	.p2align	8
	.type	_ZN7rocprim17ROCPRIM_400000_NS6detail17trampoline_kernelINS0_14default_configENS1_27scan_by_key_config_selectorIllEEZZNS1_16scan_by_key_implILNS1_25lookback_scan_determinismE0ELb0ES3_N6thrust23THRUST_200600_302600_NS16reverse_iteratorIPKlEESD_NSA_IPlEElN6hipcub16HIPCUB_304000_NS3MaxENSH_8EqualityElEE10hipError_tPvRmT2_T3_T4_T5_mT6_T7_P12ihipStream_tbENKUlT_T0_E_clISt17integral_constantIbLb1EES10_EEDaSV_SW_EUlSV_E_NS1_11comp_targetILNS1_3genE10ELNS1_11target_archE1201ELNS1_3gpuE5ELNS1_3repE0EEENS1_30default_config_static_selectorELNS0_4arch9wavefront6targetE1EEEvT1_,@function
_ZN7rocprim17ROCPRIM_400000_NS6detail17trampoline_kernelINS0_14default_configENS1_27scan_by_key_config_selectorIllEEZZNS1_16scan_by_key_implILNS1_25lookback_scan_determinismE0ELb0ES3_N6thrust23THRUST_200600_302600_NS16reverse_iteratorIPKlEESD_NSA_IPlEElN6hipcub16HIPCUB_304000_NS3MaxENSH_8EqualityElEE10hipError_tPvRmT2_T3_T4_T5_mT6_T7_P12ihipStream_tbENKUlT_T0_E_clISt17integral_constantIbLb1EES10_EEDaSV_SW_EUlSV_E_NS1_11comp_targetILNS1_3genE10ELNS1_11target_archE1201ELNS1_3gpuE5ELNS1_3repE0EEENS1_30default_config_static_selectorELNS0_4arch9wavefront6targetE1EEEvT1_: ; @_ZN7rocprim17ROCPRIM_400000_NS6detail17trampoline_kernelINS0_14default_configENS1_27scan_by_key_config_selectorIllEEZZNS1_16scan_by_key_implILNS1_25lookback_scan_determinismE0ELb0ES3_N6thrust23THRUST_200600_302600_NS16reverse_iteratorIPKlEESD_NSA_IPlEElN6hipcub16HIPCUB_304000_NS3MaxENSH_8EqualityElEE10hipError_tPvRmT2_T3_T4_T5_mT6_T7_P12ihipStream_tbENKUlT_T0_E_clISt17integral_constantIbLb1EES10_EEDaSV_SW_EUlSV_E_NS1_11comp_targetILNS1_3genE10ELNS1_11target_archE1201ELNS1_3gpuE5ELNS1_3repE0EEENS1_30default_config_static_selectorELNS0_4arch9wavefront6targetE1EEEvT1_
; %bb.0:
	.section	.rodata,"a",@progbits
	.p2align	6, 0x0
	.amdhsa_kernel _ZN7rocprim17ROCPRIM_400000_NS6detail17trampoline_kernelINS0_14default_configENS1_27scan_by_key_config_selectorIllEEZZNS1_16scan_by_key_implILNS1_25lookback_scan_determinismE0ELb0ES3_N6thrust23THRUST_200600_302600_NS16reverse_iteratorIPKlEESD_NSA_IPlEElN6hipcub16HIPCUB_304000_NS3MaxENSH_8EqualityElEE10hipError_tPvRmT2_T3_T4_T5_mT6_T7_P12ihipStream_tbENKUlT_T0_E_clISt17integral_constantIbLb1EES10_EEDaSV_SW_EUlSV_E_NS1_11comp_targetILNS1_3genE10ELNS1_11target_archE1201ELNS1_3gpuE5ELNS1_3repE0EEENS1_30default_config_static_selectorELNS0_4arch9wavefront6targetE1EEEvT1_
		.amdhsa_group_segment_fixed_size 0
		.amdhsa_private_segment_fixed_size 0
		.amdhsa_kernarg_size 136
		.amdhsa_user_sgpr_count 2
		.amdhsa_user_sgpr_dispatch_ptr 0
		.amdhsa_user_sgpr_queue_ptr 0
		.amdhsa_user_sgpr_kernarg_segment_ptr 1
		.amdhsa_user_sgpr_dispatch_id 0
		.amdhsa_user_sgpr_kernarg_preload_length 0
		.amdhsa_user_sgpr_kernarg_preload_offset 0
		.amdhsa_user_sgpr_private_segment_size 0
		.amdhsa_uses_dynamic_stack 0
		.amdhsa_enable_private_segment 0
		.amdhsa_system_sgpr_workgroup_id_x 1
		.amdhsa_system_sgpr_workgroup_id_y 0
		.amdhsa_system_sgpr_workgroup_id_z 0
		.amdhsa_system_sgpr_workgroup_info 0
		.amdhsa_system_vgpr_workitem_id 0
		.amdhsa_next_free_vgpr 1
		.amdhsa_next_free_sgpr 0
		.amdhsa_accum_offset 4
		.amdhsa_reserve_vcc 0
		.amdhsa_float_round_mode_32 0
		.amdhsa_float_round_mode_16_64 0
		.amdhsa_float_denorm_mode_32 3
		.amdhsa_float_denorm_mode_16_64 3
		.amdhsa_dx10_clamp 1
		.amdhsa_ieee_mode 1
		.amdhsa_fp16_overflow 0
		.amdhsa_tg_split 0
		.amdhsa_exception_fp_ieee_invalid_op 0
		.amdhsa_exception_fp_denorm_src 0
		.amdhsa_exception_fp_ieee_div_zero 0
		.amdhsa_exception_fp_ieee_overflow 0
		.amdhsa_exception_fp_ieee_underflow 0
		.amdhsa_exception_fp_ieee_inexact 0
		.amdhsa_exception_int_div_zero 0
	.end_amdhsa_kernel
	.section	.text._ZN7rocprim17ROCPRIM_400000_NS6detail17trampoline_kernelINS0_14default_configENS1_27scan_by_key_config_selectorIllEEZZNS1_16scan_by_key_implILNS1_25lookback_scan_determinismE0ELb0ES3_N6thrust23THRUST_200600_302600_NS16reverse_iteratorIPKlEESD_NSA_IPlEElN6hipcub16HIPCUB_304000_NS3MaxENSH_8EqualityElEE10hipError_tPvRmT2_T3_T4_T5_mT6_T7_P12ihipStream_tbENKUlT_T0_E_clISt17integral_constantIbLb1EES10_EEDaSV_SW_EUlSV_E_NS1_11comp_targetILNS1_3genE10ELNS1_11target_archE1201ELNS1_3gpuE5ELNS1_3repE0EEENS1_30default_config_static_selectorELNS0_4arch9wavefront6targetE1EEEvT1_,"axG",@progbits,_ZN7rocprim17ROCPRIM_400000_NS6detail17trampoline_kernelINS0_14default_configENS1_27scan_by_key_config_selectorIllEEZZNS1_16scan_by_key_implILNS1_25lookback_scan_determinismE0ELb0ES3_N6thrust23THRUST_200600_302600_NS16reverse_iteratorIPKlEESD_NSA_IPlEElN6hipcub16HIPCUB_304000_NS3MaxENSH_8EqualityElEE10hipError_tPvRmT2_T3_T4_T5_mT6_T7_P12ihipStream_tbENKUlT_T0_E_clISt17integral_constantIbLb1EES10_EEDaSV_SW_EUlSV_E_NS1_11comp_targetILNS1_3genE10ELNS1_11target_archE1201ELNS1_3gpuE5ELNS1_3repE0EEENS1_30default_config_static_selectorELNS0_4arch9wavefront6targetE1EEEvT1_,comdat
.Lfunc_end148:
	.size	_ZN7rocprim17ROCPRIM_400000_NS6detail17trampoline_kernelINS0_14default_configENS1_27scan_by_key_config_selectorIllEEZZNS1_16scan_by_key_implILNS1_25lookback_scan_determinismE0ELb0ES3_N6thrust23THRUST_200600_302600_NS16reverse_iteratorIPKlEESD_NSA_IPlEElN6hipcub16HIPCUB_304000_NS3MaxENSH_8EqualityElEE10hipError_tPvRmT2_T3_T4_T5_mT6_T7_P12ihipStream_tbENKUlT_T0_E_clISt17integral_constantIbLb1EES10_EEDaSV_SW_EUlSV_E_NS1_11comp_targetILNS1_3genE10ELNS1_11target_archE1201ELNS1_3gpuE5ELNS1_3repE0EEENS1_30default_config_static_selectorELNS0_4arch9wavefront6targetE1EEEvT1_, .Lfunc_end148-_ZN7rocprim17ROCPRIM_400000_NS6detail17trampoline_kernelINS0_14default_configENS1_27scan_by_key_config_selectorIllEEZZNS1_16scan_by_key_implILNS1_25lookback_scan_determinismE0ELb0ES3_N6thrust23THRUST_200600_302600_NS16reverse_iteratorIPKlEESD_NSA_IPlEElN6hipcub16HIPCUB_304000_NS3MaxENSH_8EqualityElEE10hipError_tPvRmT2_T3_T4_T5_mT6_T7_P12ihipStream_tbENKUlT_T0_E_clISt17integral_constantIbLb1EES10_EEDaSV_SW_EUlSV_E_NS1_11comp_targetILNS1_3genE10ELNS1_11target_archE1201ELNS1_3gpuE5ELNS1_3repE0EEENS1_30default_config_static_selectorELNS0_4arch9wavefront6targetE1EEEvT1_
                                        ; -- End function
	.section	.AMDGPU.csdata,"",@progbits
; Kernel info:
; codeLenInByte = 0
; NumSgprs: 6
; NumVgprs: 0
; NumAgprs: 0
; TotalNumVgprs: 0
; ScratchSize: 0
; MemoryBound: 0
; FloatMode: 240
; IeeeMode: 1
; LDSByteSize: 0 bytes/workgroup (compile time only)
; SGPRBlocks: 0
; VGPRBlocks: 0
; NumSGPRsForWavesPerEU: 6
; NumVGPRsForWavesPerEU: 1
; AccumOffset: 4
; Occupancy: 8
; WaveLimiterHint : 0
; COMPUTE_PGM_RSRC2:SCRATCH_EN: 0
; COMPUTE_PGM_RSRC2:USER_SGPR: 2
; COMPUTE_PGM_RSRC2:TRAP_HANDLER: 0
; COMPUTE_PGM_RSRC2:TGID_X_EN: 1
; COMPUTE_PGM_RSRC2:TGID_Y_EN: 0
; COMPUTE_PGM_RSRC2:TGID_Z_EN: 0
; COMPUTE_PGM_RSRC2:TIDIG_COMP_CNT: 0
; COMPUTE_PGM_RSRC3_GFX90A:ACCUM_OFFSET: 0
; COMPUTE_PGM_RSRC3_GFX90A:TG_SPLIT: 0
	.section	.text._ZN7rocprim17ROCPRIM_400000_NS6detail17trampoline_kernelINS0_14default_configENS1_27scan_by_key_config_selectorIllEEZZNS1_16scan_by_key_implILNS1_25lookback_scan_determinismE0ELb0ES3_N6thrust23THRUST_200600_302600_NS16reverse_iteratorIPKlEESD_NSA_IPlEElN6hipcub16HIPCUB_304000_NS3MaxENSH_8EqualityElEE10hipError_tPvRmT2_T3_T4_T5_mT6_T7_P12ihipStream_tbENKUlT_T0_E_clISt17integral_constantIbLb1EES10_EEDaSV_SW_EUlSV_E_NS1_11comp_targetILNS1_3genE5ELNS1_11target_archE942ELNS1_3gpuE9ELNS1_3repE0EEENS1_30default_config_static_selectorELNS0_4arch9wavefront6targetE1EEEvT1_,"axG",@progbits,_ZN7rocprim17ROCPRIM_400000_NS6detail17trampoline_kernelINS0_14default_configENS1_27scan_by_key_config_selectorIllEEZZNS1_16scan_by_key_implILNS1_25lookback_scan_determinismE0ELb0ES3_N6thrust23THRUST_200600_302600_NS16reverse_iteratorIPKlEESD_NSA_IPlEElN6hipcub16HIPCUB_304000_NS3MaxENSH_8EqualityElEE10hipError_tPvRmT2_T3_T4_T5_mT6_T7_P12ihipStream_tbENKUlT_T0_E_clISt17integral_constantIbLb1EES10_EEDaSV_SW_EUlSV_E_NS1_11comp_targetILNS1_3genE5ELNS1_11target_archE942ELNS1_3gpuE9ELNS1_3repE0EEENS1_30default_config_static_selectorELNS0_4arch9wavefront6targetE1EEEvT1_,comdat
	.protected	_ZN7rocprim17ROCPRIM_400000_NS6detail17trampoline_kernelINS0_14default_configENS1_27scan_by_key_config_selectorIllEEZZNS1_16scan_by_key_implILNS1_25lookback_scan_determinismE0ELb0ES3_N6thrust23THRUST_200600_302600_NS16reverse_iteratorIPKlEESD_NSA_IPlEElN6hipcub16HIPCUB_304000_NS3MaxENSH_8EqualityElEE10hipError_tPvRmT2_T3_T4_T5_mT6_T7_P12ihipStream_tbENKUlT_T0_E_clISt17integral_constantIbLb1EES10_EEDaSV_SW_EUlSV_E_NS1_11comp_targetILNS1_3genE5ELNS1_11target_archE942ELNS1_3gpuE9ELNS1_3repE0EEENS1_30default_config_static_selectorELNS0_4arch9wavefront6targetE1EEEvT1_ ; -- Begin function _ZN7rocprim17ROCPRIM_400000_NS6detail17trampoline_kernelINS0_14default_configENS1_27scan_by_key_config_selectorIllEEZZNS1_16scan_by_key_implILNS1_25lookback_scan_determinismE0ELb0ES3_N6thrust23THRUST_200600_302600_NS16reverse_iteratorIPKlEESD_NSA_IPlEElN6hipcub16HIPCUB_304000_NS3MaxENSH_8EqualityElEE10hipError_tPvRmT2_T3_T4_T5_mT6_T7_P12ihipStream_tbENKUlT_T0_E_clISt17integral_constantIbLb1EES10_EEDaSV_SW_EUlSV_E_NS1_11comp_targetILNS1_3genE5ELNS1_11target_archE942ELNS1_3gpuE9ELNS1_3repE0EEENS1_30default_config_static_selectorELNS0_4arch9wavefront6targetE1EEEvT1_
	.globl	_ZN7rocprim17ROCPRIM_400000_NS6detail17trampoline_kernelINS0_14default_configENS1_27scan_by_key_config_selectorIllEEZZNS1_16scan_by_key_implILNS1_25lookback_scan_determinismE0ELb0ES3_N6thrust23THRUST_200600_302600_NS16reverse_iteratorIPKlEESD_NSA_IPlEElN6hipcub16HIPCUB_304000_NS3MaxENSH_8EqualityElEE10hipError_tPvRmT2_T3_T4_T5_mT6_T7_P12ihipStream_tbENKUlT_T0_E_clISt17integral_constantIbLb1EES10_EEDaSV_SW_EUlSV_E_NS1_11comp_targetILNS1_3genE5ELNS1_11target_archE942ELNS1_3gpuE9ELNS1_3repE0EEENS1_30default_config_static_selectorELNS0_4arch9wavefront6targetE1EEEvT1_
	.p2align	8
	.type	_ZN7rocprim17ROCPRIM_400000_NS6detail17trampoline_kernelINS0_14default_configENS1_27scan_by_key_config_selectorIllEEZZNS1_16scan_by_key_implILNS1_25lookback_scan_determinismE0ELb0ES3_N6thrust23THRUST_200600_302600_NS16reverse_iteratorIPKlEESD_NSA_IPlEElN6hipcub16HIPCUB_304000_NS3MaxENSH_8EqualityElEE10hipError_tPvRmT2_T3_T4_T5_mT6_T7_P12ihipStream_tbENKUlT_T0_E_clISt17integral_constantIbLb1EES10_EEDaSV_SW_EUlSV_E_NS1_11comp_targetILNS1_3genE5ELNS1_11target_archE942ELNS1_3gpuE9ELNS1_3repE0EEENS1_30default_config_static_selectorELNS0_4arch9wavefront6targetE1EEEvT1_,@function
_ZN7rocprim17ROCPRIM_400000_NS6detail17trampoline_kernelINS0_14default_configENS1_27scan_by_key_config_selectorIllEEZZNS1_16scan_by_key_implILNS1_25lookback_scan_determinismE0ELb0ES3_N6thrust23THRUST_200600_302600_NS16reverse_iteratorIPKlEESD_NSA_IPlEElN6hipcub16HIPCUB_304000_NS3MaxENSH_8EqualityElEE10hipError_tPvRmT2_T3_T4_T5_mT6_T7_P12ihipStream_tbENKUlT_T0_E_clISt17integral_constantIbLb1EES10_EEDaSV_SW_EUlSV_E_NS1_11comp_targetILNS1_3genE5ELNS1_11target_archE942ELNS1_3gpuE9ELNS1_3repE0EEENS1_30default_config_static_selectorELNS0_4arch9wavefront6targetE1EEEvT1_: ; @_ZN7rocprim17ROCPRIM_400000_NS6detail17trampoline_kernelINS0_14default_configENS1_27scan_by_key_config_selectorIllEEZZNS1_16scan_by_key_implILNS1_25lookback_scan_determinismE0ELb0ES3_N6thrust23THRUST_200600_302600_NS16reverse_iteratorIPKlEESD_NSA_IPlEElN6hipcub16HIPCUB_304000_NS3MaxENSH_8EqualityElEE10hipError_tPvRmT2_T3_T4_T5_mT6_T7_P12ihipStream_tbENKUlT_T0_E_clISt17integral_constantIbLb1EES10_EEDaSV_SW_EUlSV_E_NS1_11comp_targetILNS1_3genE5ELNS1_11target_archE942ELNS1_3gpuE9ELNS1_3repE0EEENS1_30default_config_static_selectorELNS0_4arch9wavefront6targetE1EEEvT1_
; %bb.0:
	s_load_dwordx8 s[40:47], s[0:1], 0x30
	s_load_dwordx2 s[64:65], s[0:1], 0x50
	v_cmp_ne_u32_e64 s[4:5], 0, v0
	v_cmp_eq_u32_e64 s[36:37], 0, v0
	s_and_saveexec_b64 s[2:3], s[36:37]
	s_cbranch_execz .LBB149_4
; %bb.1:
	s_mov_b64 s[8:9], exec
	v_mbcnt_lo_u32_b32 v1, s8, 0
	v_mbcnt_hi_u32_b32 v1, s9, v1
	v_cmp_eq_u32_e32 vcc, 0, v1
                                        ; implicit-def: $vgpr2
	s_and_saveexec_b64 s[6:7], vcc
	s_cbranch_execz .LBB149_3
; %bb.2:
	s_load_dwordx2 s[10:11], s[0:1], 0x80
	s_bcnt1_i32_b64 s8, s[8:9]
	v_mov_b32_e32 v2, 0
	v_mov_b32_e32 v3, s8
	s_waitcnt lgkmcnt(0)
	global_atomic_add v2, v2, v3, s[10:11] sc0
.LBB149_3:
	s_or_b64 exec, exec, s[6:7]
	s_waitcnt vmcnt(0)
	v_readfirstlane_b32 s6, v2
	v_mov_b32_e32 v2, 0
	s_nop 0
	v_add_u32_e32 v1, s6, v1
	ds_write_b32 v2, v1
.LBB149_4:
	s_or_b64 exec, exec, s[2:3]
	s_load_dwordx8 s[48:55], s[0:1], 0x0
	s_load_dword s2, s[0:1], 0x58
	s_load_dwordx8 s[56:63], s[0:1], 0x60
	v_mov_b32_e32 v1, 0
	s_waitcnt lgkmcnt(0)
	s_sub_u32 s38, 0, s50
	s_subb_u32 s39, 0, s51
	s_lshl_b64 s[0:1], s[50:51], 3
	s_barrier
	ds_read_b32 v1, v1
	s_sub_u32 s3, s48, s0
	s_subb_u32 s6, s49, s1
	s_sub_u32 s7, s52, s0
	s_subb_u32 s8, s53, s1
	s_mul_i32 s0, s65, s2
	s_mul_hi_u32 s1, s64, s2
	s_add_i32 s9, s1, s0
	s_waitcnt lgkmcnt(0)
	v_readfirstlane_b32 s47, v1
	s_cmp_eq_u64 s[60:61], 0
	s_mul_i32 s0, s47, 0xe00
	s_cselect_b64 s[50:51], -1, 0
	s_mov_b32 s1, 0
	s_sub_u32 s48, 0, s0
	s_subb_u32 s49, 0, 0
	s_lshl_b64 s[0:1], s[0:1], 3
	s_sub_u32 s66, s3, s0
	s_subb_u32 s67, s6, s1
	s_sub_u32 s34, s7, s0
	s_mul_i32 s2, s64, s2
	s_subb_u32 s35, s8, s1
	s_add_u32 s52, s2, s47
	s_addc_u32 s53, s9, 0
	s_add_u32 s0, s56, -1
	s_addc_u32 s1, s57, -1
	v_mov_b64_e32 v[2:3], s[0:1]
	v_cmp_ge_u64_e64 s[2:3], s[52:53], v[2:3]
	s_mov_b64 s[10:11], 0
	s_mov_b64 s[6:7], -1
	s_and_b64 vcc, exec, s[2:3]
	s_mul_i32 s33, s0, 0xfffff200
	s_barrier
	s_barrier
	s_cbranch_vccz .LBB149_78
; %bb.5:
	v_mov_b32_e32 v1, s67
	v_add_co_u32_e64 v2, vcc, -8, s66
	s_add_i32 s69, s33, s46
	s_nop 0
	v_addc_co_u32_e32 v3, vcc, -1, v1, vcc
	flat_load_dwordx2 v[2:3], v[2:3]
	s_add_u32 s60, s66, -8
	s_addc_u32 s61, s67, -1
	v_cmp_gt_u32_e32 vcc, s69, v0
	s_waitcnt vmcnt(0) lgkmcnt(0)
	v_mov_b64_e32 v[4:5], v[2:3]
	s_and_saveexec_b64 s[6:7], vcc
	s_cbranch_execz .LBB149_7
; %bb.6:
	v_lshlrev_b32_e32 v1, 3, v0
	v_mov_b32_e32 v5, s61
	v_sub_co_u32_e64 v4, s[0:1], s60, v1
	s_nop 1
	v_subbrev_co_u32_e64 v5, s[0:1], 0, v5, s[0:1]
	flat_load_dwordx2 v[4:5], v[4:5]
.LBB149_7:
	s_or_b64 exec, exec, s[6:7]
	v_or_b32_e32 v1, 0x100, v0
	v_cmp_gt_u32_e64 s[6:7], s69, v1
	v_mov_b64_e32 v[6:7], v[2:3]
	s_and_saveexec_b64 s[8:9], s[6:7]
	s_cbranch_execz .LBB149_9
; %bb.8:
	v_lshlrev_b32_e32 v6, 3, v1
	v_mov_b32_e32 v7, s61
	v_sub_co_u32_e64 v6, s[0:1], s60, v6
	s_nop 1
	v_subbrev_co_u32_e64 v7, s[0:1], 0, v7, s[0:1]
	flat_load_dwordx2 v[6:7], v[6:7]
.LBB149_9:
	s_or_b64 exec, exec, s[8:9]
	v_or_b32_e32 v30, 0x200, v0
	v_cmp_gt_u32_e64 s[8:9], s69, v30
	v_mov_b64_e32 v[8:9], v[2:3]
	s_and_saveexec_b64 s[10:11], s[8:9]
	;; [unrolled: 14-line block ×12, first 2 shown]
	s_cbranch_execz .LBB149_31
; %bb.30:
	v_lshlrev_b32_e32 v28, 3, v41
	v_mov_b32_e32 v29, s61
	v_sub_co_u32_e64 v28, s[0:1], s60, v28
	s_nop 1
	v_subbrev_co_u32_e64 v29, s[0:1], 0, v29, s[0:1]
	flat_load_dwordx2 v[28:29], v[28:29]
.LBB149_31:
	s_or_b64 exec, exec, s[30:31]
	v_or_b32_e32 v42, 0xd00, v0
	v_cmp_gt_u32_e64 s[30:31], s69, v42
	s_and_saveexec_b64 s[56:57], s[30:31]
	s_cbranch_execz .LBB149_33
; %bb.32:
	v_lshlrev_b32_e32 v2, 3, v42
	v_mov_b32_e32 v3, s61
	v_sub_co_u32_e64 v2, s[0:1], s60, v2
	s_nop 1
	v_subbrev_co_u32_e64 v3, s[0:1], 0, v3, s[0:1]
	flat_load_dwordx2 v[2:3], v[2:3]
.LBB149_33:
	s_or_b64 exec, exec, s[56:57]
	s_lshl_b64 s[0:1], s[52:53], 3
	s_add_u32 s0, s62, s0
	s_addc_u32 s1, s63, s1
	s_add_u32 s56, s0, -8
	s_addc_u32 s57, s1, -1
	s_and_b64 s[0:1], s[50:51], exec
	s_cselect_b32 s0, s66, s56
	s_cselect_b32 s1, s67, s57
	s_cmp_eq_u64 s[52:53], 0
	v_lshlrev_b32_e32 v43, 3, v0
	s_cselect_b32 s1, s61, s1
	s_cselect_b32 s0, s60, s0
	s_waitcnt vmcnt(0) lgkmcnt(0)
	ds_write2st64_b64 v43, v[4:5], v[6:7] offset1:4
	ds_write2st64_b64 v43, v[8:9], v[10:11] offset0:8 offset1:12
	ds_write2st64_b64 v43, v[12:13], v[14:15] offset0:16 offset1:20
	;; [unrolled: 1-line block ×6, first 2 shown]
	v_mov_b32_e32 v2, s0
	v_mov_b32_e32 v3, s1
	s_waitcnt lgkmcnt(0)
	s_barrier
	flat_load_dwordx2 v[4:5], v[2:3]
	s_movk_i32 s0, 0x68
	v_mad_u32_u24 v36, v0, s0, v43
	ds_read_b128 v[74:77], v36
	ds_read_b128 v[70:73], v36 offset:16
	ds_read_b128 v[66:69], v36 offset:32
	;; [unrolled: 1-line block ×6, first 2 shown]
	s_movk_i32 s0, 0xff98
	v_mad_i32_i24 v2, v0, s0, v36
	s_waitcnt lgkmcnt(0)
	ds_write_b64 v2, v[56:57] offset:28672
	s_waitcnt lgkmcnt(0)
	s_barrier
	s_and_saveexec_b64 s[0:1], s[4:5]
	s_cbranch_execz .LBB149_35
; %bb.34:
	v_mul_i32_i24_e32 v2, 0xffffff98, v0
	v_add_u32_e32 v2, v36, v2
	s_waitcnt vmcnt(0)
	ds_read_b64 v[4:5], v2 offset:28664
.LBB149_35:
	s_or_b64 exec, exec, s[0:1]
	s_add_u32 s56, s34, -8
	s_addc_u32 s57, s35, -1
	s_waitcnt lgkmcnt(0)
	s_barrier
	s_waitcnt lgkmcnt(0)
                                        ; implicit-def: $vgpr2_vgpr3
	s_and_saveexec_b64 s[0:1], vcc
	s_cbranch_execz .LBB149_155
; %bb.36:
	v_mov_b32_e32 v3, s57
	v_sub_co_u32_e32 v2, vcc, s56, v43
	s_nop 1
	v_subbrev_co_u32_e32 v3, vcc, 0, v3, vcc
	flat_load_dwordx2 v[2:3], v[2:3]
	s_or_b64 exec, exec, s[0:1]
                                        ; implicit-def: $vgpr6_vgpr7
	s_and_saveexec_b64 s[0:1], s[6:7]
	s_cbranch_execnz .LBB149_156
.LBB149_37:
	s_or_b64 exec, exec, s[0:1]
                                        ; implicit-def: $vgpr8_vgpr9
	s_and_saveexec_b64 s[0:1], s[8:9]
	s_cbranch_execz .LBB149_157
.LBB149_38:
	v_lshlrev_b32_e32 v1, 3, v30
	v_mov_b32_e32 v9, s57
	v_sub_co_u32_e32 v8, vcc, s56, v1
	s_nop 1
	v_subbrev_co_u32_e32 v9, vcc, 0, v9, vcc
	flat_load_dwordx2 v[8:9], v[8:9]
	s_or_b64 exec, exec, s[0:1]
                                        ; implicit-def: $vgpr10_vgpr11
	s_and_saveexec_b64 s[0:1], s[10:11]
	s_cbranch_execnz .LBB149_158
.LBB149_39:
	s_or_b64 exec, exec, s[0:1]
                                        ; implicit-def: $vgpr12_vgpr13
	s_and_saveexec_b64 s[0:1], s[12:13]
	s_cbranch_execz .LBB149_159
.LBB149_40:
	v_lshlrev_b32_e32 v1, 3, v32
	v_mov_b32_e32 v13, s57
	v_sub_co_u32_e32 v12, vcc, s56, v1
	s_nop 1
	v_subbrev_co_u32_e32 v13, vcc, 0, v13, vcc
	flat_load_dwordx2 v[12:13], v[12:13]
	s_or_b64 exec, exec, s[0:1]
                                        ; implicit-def: $vgpr14_vgpr15
	s_and_saveexec_b64 s[0:1], s[14:15]
	s_cbranch_execnz .LBB149_160
.LBB149_41:
	s_or_b64 exec, exec, s[0:1]
                                        ; implicit-def: $vgpr16_vgpr17
	s_and_saveexec_b64 s[0:1], s[16:17]
	s_cbranch_execz .LBB149_161
.LBB149_42:
	v_lshlrev_b32_e32 v1, 3, v34
	v_mov_b32_e32 v17, s57
	v_sub_co_u32_e32 v16, vcc, s56, v1
	s_nop 1
	v_subbrev_co_u32_e32 v17, vcc, 0, v17, vcc
	flat_load_dwordx2 v[16:17], v[16:17]
	s_or_b64 exec, exec, s[0:1]
                                        ; implicit-def: $vgpr18_vgpr19
	s_and_saveexec_b64 s[0:1], s[18:19]
	s_cbranch_execnz .LBB149_162
.LBB149_43:
	s_or_b64 exec, exec, s[0:1]
                                        ; implicit-def: $vgpr20_vgpr21
	s_and_saveexec_b64 s[0:1], s[20:21]
	s_cbranch_execz .LBB149_163
.LBB149_44:
	v_lshlrev_b32_e32 v1, 3, v37
	v_mov_b32_e32 v21, s57
	v_sub_co_u32_e32 v20, vcc, s56, v1
	s_nop 1
	v_subbrev_co_u32_e32 v21, vcc, 0, v21, vcc
	flat_load_dwordx2 v[20:21], v[20:21]
	s_or_b64 exec, exec, s[0:1]
                                        ; implicit-def: $vgpr22_vgpr23
	s_and_saveexec_b64 s[0:1], s[22:23]
	s_cbranch_execnz .LBB149_164
.LBB149_45:
	s_or_b64 exec, exec, s[0:1]
                                        ; implicit-def: $vgpr24_vgpr25
	s_and_saveexec_b64 s[0:1], s[24:25]
	s_cbranch_execz .LBB149_165
.LBB149_46:
	v_lshlrev_b32_e32 v1, 3, v39
	v_mov_b32_e32 v25, s57
	v_sub_co_u32_e32 v24, vcc, s56, v1
	s_nop 1
	v_subbrev_co_u32_e32 v25, vcc, 0, v25, vcc
	flat_load_dwordx2 v[24:25], v[24:25]
	s_or_b64 exec, exec, s[0:1]
                                        ; implicit-def: $vgpr26_vgpr27
	s_and_saveexec_b64 s[0:1], s[26:27]
	s_cbranch_execnz .LBB149_166
.LBB149_47:
	s_or_b64 exec, exec, s[0:1]
                                        ; implicit-def: $vgpr28_vgpr29
	s_and_saveexec_b64 s[0:1], s[28:29]
	s_cbranch_execz .LBB149_49
.LBB149_48:
	v_lshlrev_b32_e32 v1, 3, v41
	v_mov_b32_e32 v29, s57
	v_sub_co_u32_e32 v28, vcc, s56, v1
	s_nop 1
	v_subbrev_co_u32_e32 v29, vcc, 0, v29, vcc
	flat_load_dwordx2 v[28:29], v[28:29]
.LBB149_49:
	s_or_b64 exec, exec, s[0:1]
	v_mul_u32_u24_e32 v37, 14, v0
                                        ; implicit-def: $vgpr30_vgpr31
	s_and_saveexec_b64 s[0:1], s[30:31]
	s_cbranch_execz .LBB149_51
; %bb.50:
	v_lshlrev_b32_e32 v1, 3, v42
	v_mov_b32_e32 v31, s57
	v_sub_co_u32_e32 v30, vcc, s56, v1
	s_nop 1
	v_subbrev_co_u32_e32 v31, vcc, 0, v31, vcc
	flat_load_dwordx2 v[30:31], v[30:31]
.LBB149_51:
	s_or_b64 exec, exec, s[0:1]
	v_mov_b64_e32 v[78:79], 0
	s_waitcnt vmcnt(0) lgkmcnt(0)
	ds_write2st64_b64 v43, v[2:3], v[6:7] offset1:4
	ds_write2st64_b64 v43, v[8:9], v[10:11] offset0:8 offset1:12
	ds_write2st64_b64 v43, v[12:13], v[14:15] offset0:16 offset1:20
	;; [unrolled: 1-line block ×6, first 2 shown]
	v_cmp_gt_u32_e32 vcc, s69, v37
	s_mov_b64 s[10:11], 0
	s_mov_b64 s[6:7], 0
	s_mov_b32 s68, 0
	v_mov_b32_e32 v80, 0
	v_mov_b32_e32 v91, 0
	v_mov_b64_e32 v[46:47], v[78:79]
	v_mov_b32_e32 v90, 0
	v_mov_b64_e32 v[34:35], v[78:79]
	;; [unrolled: 2-line block ×12, first 2 shown]
	s_waitcnt lgkmcnt(0)
	s_barrier
	s_waitcnt lgkmcnt(0)
                                        ; implicit-def: $sgpr0_sgpr1
                                        ; implicit-def: $vgpr52_vgpr53
	s_and_saveexec_b64 s[8:9], vcc
	s_cbranch_execz .LBB149_77
; %bb.52:
	ds_read_b64 v[2:3], v36
	v_cmp_ne_u64_e32 vcc, v[4:5], v[74:75]
	v_or_b32_e32 v4, 1, v37
	v_mov_b64_e32 v[78:79], 0
	v_cndmask_b32_e64 v1, 0, 1, vcc
	v_cmp_gt_u32_e32 vcc, s69, v4
	s_mov_b64 s[12:13], 0
	s_mov_b64 s[0:1], 0
	v_mov_b32_e32 v80, 0
	v_mov_b32_e32 v91, 0
	v_mov_b64_e32 v[46:47], v[78:79]
	v_mov_b32_e32 v90, 0
	v_mov_b64_e32 v[34:35], v[78:79]
	;; [unrolled: 2-line block ×11, first 2 shown]
                                        ; implicit-def: $sgpr14_sgpr15
                                        ; implicit-def: $vgpr52_vgpr53
	s_and_saveexec_b64 s[10:11], vcc
	s_cbranch_execz .LBB149_76
; %bb.53:
	ds_read2_b64 v[14:17], v36 offset0:1 offset1:2
	v_add_u32_e32 v4, 2, v37
	v_cmp_ne_u64_e32 vcc, v[74:75], v[76:77]
	v_mov_b64_e32 v[78:79], 0
	s_mov_b64 s[16:17], 0
	v_cndmask_b32_e64 v82, 0, 1, vcc
	v_cmp_gt_u32_e32 vcc, s69, v4
	v_mov_b32_e32 v80, 0
	v_mov_b32_e32 v91, 0
	v_mov_b64_e32 v[46:47], v[78:79]
	v_mov_b32_e32 v90, 0
	v_mov_b64_e32 v[34:35], v[78:79]
	;; [unrolled: 2-line block ×10, first 2 shown]
                                        ; implicit-def: $sgpr14_sgpr15
                                        ; implicit-def: $vgpr52_vgpr53
	s_and_saveexec_b64 s[12:13], vcc
	s_cbranch_execz .LBB149_75
; %bb.54:
	v_add_u32_e32 v4, 3, v37
	v_cmp_ne_u64_e32 vcc, v[76:77], v[70:71]
	v_mov_b64_e32 v[78:79], 0
	s_waitcnt lgkmcnt(0)
	v_mov_b32_e32 v6, v16
	v_mov_b32_e32 v7, v17
	v_cndmask_b32_e64 v81, 0, 1, vcc
	v_cmp_gt_u32_e32 vcc, s69, v4
	v_mov_b32_e32 v80, 0
	v_mov_b32_e32 v91, 0
	v_mov_b64_e32 v[46:47], v[78:79]
	v_mov_b32_e32 v90, 0
	v_mov_b64_e32 v[34:35], v[78:79]
	;; [unrolled: 2-line block ×9, first 2 shown]
                                        ; implicit-def: $sgpr18_sgpr19
                                        ; implicit-def: $vgpr52_vgpr53
	s_and_saveexec_b64 s[14:15], vcc
	s_cbranch_execz .LBB149_74
; %bb.55:
	ds_read2_b64 v[22:25], v36 offset0:3 offset1:4
	v_add_u32_e32 v4, 4, v37
	v_cmp_ne_u64_e32 vcc, v[70:71], v[72:73]
	v_mov_b64_e32 v[78:79], 0
	s_mov_b64 s[20:21], 0
	v_cndmask_b32_e64 v83, 0, 1, vcc
	v_cmp_gt_u32_e32 vcc, s69, v4
	v_mov_b32_e32 v80, 0
	v_mov_b32_e32 v91, 0
	v_mov_b64_e32 v[46:47], v[78:79]
	v_mov_b32_e32 v90, 0
	v_mov_b64_e32 v[34:35], v[78:79]
	;; [unrolled: 2-line block ×8, first 2 shown]
                                        ; implicit-def: $sgpr18_sgpr19
                                        ; implicit-def: $vgpr52_vgpr53
	s_and_saveexec_b64 s[16:17], vcc
	s_cbranch_execz .LBB149_73
; %bb.56:
	v_add_u32_e32 v4, 5, v37
	v_cmp_ne_u64_e32 vcc, v[72:73], v[66:67]
	v_mov_b64_e32 v[78:79], 0
	s_waitcnt lgkmcnt(0)
	v_mov_b32_e32 v10, v24
	v_mov_b32_e32 v11, v25
	v_cndmask_b32_e64 v84, 0, 1, vcc
	v_cmp_gt_u32_e32 vcc, s69, v4
	v_mov_b32_e32 v80, 0
	v_mov_b32_e32 v91, 0
	v_mov_b64_e32 v[46:47], v[78:79]
	v_mov_b32_e32 v90, 0
	v_mov_b64_e32 v[34:35], v[78:79]
	;; [unrolled: 2-line block ×7, first 2 shown]
                                        ; implicit-def: $sgpr22_sgpr23
                                        ; implicit-def: $vgpr52_vgpr53
	s_and_saveexec_b64 s[18:19], vcc
	s_cbranch_execz .LBB149_72
; %bb.57:
	ds_read2_b64 v[30:33], v36 offset0:5 offset1:6
	v_add_u32_e32 v4, 6, v37
	v_cmp_ne_u64_e32 vcc, v[66:67], v[68:69]
	v_mov_b64_e32 v[78:79], 0
	s_mov_b64 s[24:25], 0
	v_cndmask_b32_e64 v85, 0, 1, vcc
	v_cmp_gt_u32_e32 vcc, s69, v4
	v_mov_b32_e32 v80, 0
	v_mov_b32_e32 v91, 0
	v_mov_b64_e32 v[46:47], v[78:79]
	v_mov_b32_e32 v90, 0
	v_mov_b64_e32 v[34:35], v[78:79]
	v_mov_b32_e32 v89, 0
	v_mov_b64_e32 v[42:43], v[78:79]
	v_mov_b32_e32 v88, 0
	v_mov_b64_e32 v[26:27], v[78:79]
	v_mov_b32_e32 v87, 0
	v_mov_b64_e32 v[38:39], v[78:79]
	v_mov_b32_e32 v86, 0
	v_mov_b64_e32 v[18:19], v[78:79]
                                        ; implicit-def: $sgpr22_sgpr23
                                        ; implicit-def: $vgpr52_vgpr53
	s_and_saveexec_b64 s[20:21], vcc
	s_cbranch_execz .LBB149_71
; %bb.58:
	v_add_u32_e32 v4, 7, v37
	v_cmp_ne_u64_e32 vcc, v[68:69], v[62:63]
	v_mov_b64_e32 v[78:79], 0
	s_waitcnt lgkmcnt(0)
	v_mov_b32_e32 v18, v32
	v_mov_b32_e32 v19, v33
	v_cndmask_b32_e64 v86, 0, 1, vcc
	v_cmp_gt_u32_e32 vcc, s69, v4
	v_mov_b32_e32 v80, 0
	v_mov_b32_e32 v91, 0
	v_mov_b64_e32 v[46:47], v[78:79]
	v_mov_b32_e32 v90, 0
	v_mov_b64_e32 v[34:35], v[78:79]
	;; [unrolled: 2-line block ×5, first 2 shown]
                                        ; implicit-def: $sgpr26_sgpr27
                                        ; implicit-def: $vgpr52_vgpr53
	s_and_saveexec_b64 s[22:23], vcc
	s_cbranch_execz .LBB149_70
; %bb.59:
	ds_read2_b64 v[38:41], v36 offset0:7 offset1:8
	v_add_u32_e32 v4, 8, v37
	v_cmp_ne_u64_e32 vcc, v[62:63], v[64:65]
	v_mov_b64_e32 v[78:79], 0
	s_mov_b64 s[28:29], 0
	v_cndmask_b32_e64 v87, 0, 1, vcc
	v_cmp_gt_u32_e32 vcc, s69, v4
	v_mov_b32_e32 v80, 0
	v_mov_b32_e32 v91, 0
	v_mov_b64_e32 v[46:47], v[78:79]
	v_mov_b32_e32 v90, 0
	v_mov_b64_e32 v[34:35], v[78:79]
	;; [unrolled: 2-line block ×4, first 2 shown]
                                        ; implicit-def: $sgpr26_sgpr27
                                        ; implicit-def: $vgpr52_vgpr53
	s_and_saveexec_b64 s[24:25], vcc
	s_cbranch_execz .LBB149_69
; %bb.60:
	v_add_u32_e32 v4, 9, v37
	v_cmp_ne_u64_e32 vcc, v[64:65], v[48:49]
	v_mov_b64_e32 v[78:79], 0
	s_waitcnt lgkmcnt(0)
	v_mov_b32_e32 v26, v40
	v_mov_b32_e32 v27, v41
	v_cndmask_b32_e64 v88, 0, 1, vcc
	v_cmp_gt_u32_e32 vcc, s69, v4
	v_mov_b32_e32 v80, 0
	v_mov_b32_e32 v91, 0
	v_mov_b64_e32 v[46:47], v[78:79]
	v_mov_b32_e32 v90, 0
	v_mov_b64_e32 v[34:35], v[78:79]
	;; [unrolled: 2-line block ×3, first 2 shown]
                                        ; implicit-def: $sgpr30_sgpr31
                                        ; implicit-def: $vgpr52_vgpr53
	s_and_saveexec_b64 s[26:27], vcc
	s_cbranch_execz .LBB149_68
; %bb.61:
	ds_read2_b64 v[42:45], v36 offset0:9 offset1:10
	v_add_u32_e32 v4, 10, v37
	v_cmp_ne_u64_e32 vcc, v[48:49], v[50:51]
	v_mov_b64_e32 v[78:79], 0
	s_mov_b64 s[56:57], 0
	v_cndmask_b32_e64 v89, 0, 1, vcc
	v_cmp_gt_u32_e32 vcc, s69, v4
	v_mov_b32_e32 v80, 0
	v_mov_b32_e32 v91, 0
	v_mov_b64_e32 v[46:47], v[78:79]
	v_mov_b32_e32 v90, 0
	v_mov_b64_e32 v[34:35], v[78:79]
                                        ; implicit-def: $sgpr30_sgpr31
                                        ; implicit-def: $vgpr52_vgpr53
	s_and_saveexec_b64 s[28:29], vcc
	s_cbranch_execz .LBB149_67
; %bb.62:
	v_add_u32_e32 v4, 11, v37
	v_cmp_ne_u64_e32 vcc, v[50:51], v[58:59]
	v_mov_b64_e32 v[78:79], 0
	s_waitcnt lgkmcnt(0)
	v_mov_b32_e32 v34, v44
	v_mov_b32_e32 v35, v45
	v_cndmask_b32_e64 v90, 0, 1, vcc
	v_cmp_gt_u32_e32 vcc, s69, v4
	v_mov_b32_e32 v80, 0
	v_mov_b32_e32 v91, 0
	v_mov_b64_e32 v[46:47], v[78:79]
                                        ; implicit-def: $sgpr60_sgpr61
                                        ; implicit-def: $vgpr52_vgpr53
	s_and_saveexec_b64 s[30:31], vcc
	s_cbranch_execz .LBB149_66
; %bb.63:
	ds_read2_b64 v[46:49], v36 offset0:11 offset1:12
	v_add_u32_e32 v4, 12, v37
	v_cmp_ne_u64_e32 vcc, v[58:59], v[60:61]
	v_mov_b32_e32 v80, 0
	v_mov_b64_e32 v[78:79], 0
	v_cndmask_b32_e64 v91, 0, 1, vcc
	v_cmp_gt_u32_e32 vcc, s69, v4
                                        ; implicit-def: $sgpr56_sgpr57
                                        ; implicit-def: $vgpr52_vgpr53
	s_and_saveexec_b64 s[60:61], vcc
	s_xor_b64 s[60:61], exec, s[60:61]
	s_cbranch_execz .LBB149_65
; %bb.64:
	ds_read_b64 v[52:53], v36 offset:104
	v_add_u32_e32 v4, 13, v37
	v_cmp_ne_u64_e64 s[0:1], v[60:61], v[54:55]
	v_cmp_ne_u64_e32 vcc, v[54:55], v[56:57]
	s_and_b64 s[56:57], vcc, exec
	v_cndmask_b32_e64 v80, 0, 1, s[0:1]
	v_cmp_gt_u32_e64 s[0:1], s69, v4
	s_and_b64 s[0:1], s[0:1], exec
	s_waitcnt lgkmcnt(1)
	v_mov_b64_e32 v[50:51], v[48:49]
	v_mov_b64_e32 v[78:79], v[48:49]
.LBB149_65:
	s_or_b64 exec, exec, s[60:61]
	s_and_b64 s[60:61], s[56:57], exec
	s_and_b64 s[56:57], s[0:1], exec
.LBB149_66:
	s_or_b64 exec, exec, s[30:31]
	s_and_b64 s[30:31], s[60:61], exec
	s_and_b64 s[0:1], s[56:57], exec
	s_waitcnt lgkmcnt(0)
	v_mov_b64_e32 v[36:37], v[46:47]
	v_mov_b64_e32 v[28:29], v[42:43]
	;; [unrolled: 1-line block ×6, first 2 shown]
.LBB149_67:
	s_or_b64 exec, exec, s[28:29]
	s_and_b64 s[30:31], s[30:31], exec
	s_and_b64 s[28:29], s[0:1], exec
.LBB149_68:
	s_or_b64 exec, exec, s[26:27]
	s_and_b64 s[26:27], s[30:31], exec
	s_and_b64 s[0:1], s[28:29], exec
.LBB149_69:
	s_or_b64 exec, exec, s[24:25]
	s_and_b64 s[26:27], s[26:27], exec
	s_and_b64 s[24:25], s[0:1], exec
.LBB149_70:
	s_or_b64 exec, exec, s[22:23]
	s_and_b64 s[22:23], s[26:27], exec
	s_and_b64 s[0:1], s[24:25], exec
.LBB149_71:
	s_or_b64 exec, exec, s[20:21]
	s_and_b64 s[22:23], s[22:23], exec
	s_and_b64 s[20:21], s[0:1], exec
.LBB149_72:
	s_or_b64 exec, exec, s[18:19]
	s_and_b64 s[18:19], s[22:23], exec
	s_and_b64 s[0:1], s[20:21], exec
.LBB149_73:
	s_or_b64 exec, exec, s[16:17]
	s_and_b64 s[18:19], s[18:19], exec
	s_and_b64 s[16:17], s[0:1], exec
.LBB149_74:
	s_or_b64 exec, exec, s[14:15]
	s_and_b64 s[14:15], s[18:19], exec
	s_and_b64 s[0:1], s[16:17], exec
.LBB149_75:
	s_or_b64 exec, exec, s[12:13]
	s_and_b64 s[14:15], s[14:15], exec
	s_and_b64 s[12:13], s[0:1], exec
.LBB149_76:
	s_or_b64 exec, exec, s[10:11]
	s_and_b64 s[0:1], s[14:15], exec
	s_and_b64 s[10:11], s[12:13], exec
.LBB149_77:
	s_or_b64 exec, exec, s[8:9]
	s_mov_b64 s[8:9], 0
	s_and_b64 vcc, exec, s[6:7]
	s_waitcnt lgkmcnt(0)
	v_lshlrev_b32_e32 v40, 3, v0
	s_cbranch_vccnz .LBB149_79
	s_branch .LBB149_82
.LBB149_78:
                                        ; implicit-def: $sgpr0_sgpr1
                                        ; implicit-def: $vgpr52_vgpr53
                                        ; implicit-def: $vgpr80
                                        ; implicit-def: $vgpr91
                                        ; implicit-def: $vgpr36_vgpr37
                                        ; implicit-def: $vgpr90
                                        ; implicit-def: $vgpr89
                                        ; implicit-def: $vgpr28_vgpr29
                                        ; implicit-def: $vgpr88
                                        ; implicit-def: $vgpr87
                                        ; implicit-def: $vgpr20_vgpr21
                                        ; implicit-def: $vgpr86
                                        ; implicit-def: $vgpr85
                                        ; implicit-def: $vgpr12_vgpr13
                                        ; implicit-def: $vgpr84
                                        ; implicit-def: $vgpr83
                                        ; implicit-def: $vgpr8_vgpr9
                                        ; implicit-def: $vgpr81
                                        ; implicit-def: $vgpr82
                                        ; implicit-def: $vgpr4_vgpr5
                                        ; implicit-def: $vgpr1
                                        ; implicit-def: $sgpr68
                                        ; implicit-def: $sgpr8_sgpr9
                                        ; implicit-def: $vgpr78_vgpr79
                                        ; implicit-def: $vgpr46_vgpr47
                                        ; implicit-def: $vgpr42_vgpr43
                                        ; implicit-def: $vgpr38_vgpr39
                                        ; implicit-def: $vgpr30_vgpr31
                                        ; implicit-def: $vgpr22_vgpr23
                                        ; implicit-def: $vgpr14_vgpr15
	s_and_b64 vcc, exec, s[6:7]
	v_lshlrev_b32_e32 v40, 3, v0
	s_cbranch_vccz .LBB149_82
.LBB149_79:
	v_mov_b32_e32 v1, s67
	v_sub_co_u32_e32 v34, vcc, s66, v40
	s_add_u32 s6, s66, -8
	s_nop 0
	v_subbrev_co_u32_e32 v1, vcc, 0, v1, vcc
	v_add_co_u32_e32 v2, vcc, -8, v34
	s_addc_u32 s7, s67, -1
	s_nop 0
	v_addc_co_u32_e32 v3, vcc, -1, v1, vcc
	v_add_co_u32_e32 v4, vcc, 0xfffff7f8, v34
	s_lshl_b64 s[0:1], s[52:53], 3
	s_nop 0
	v_addc_co_u32_e32 v5, vcc, -1, v1, vcc
	v_add_co_u32_e32 v6, vcc, 0xffffeff8, v34
	s_add_u32 s0, s62, s0
	s_nop 0
	v_addc_co_u32_e32 v7, vcc, -1, v1, vcc
	v_add_co_u32_e32 v8, vcc, 0xffffe7f8, v34
	s_addc_u32 s1, s63, s1
	s_nop 0
	v_addc_co_u32_e32 v9, vcc, -1, v1, vcc
	flat_load_dwordx2 v[10:11], v[2:3]
	flat_load_dwordx2 v[12:13], v[4:5]
	;; [unrolled: 1-line block ×4, first 2 shown]
	v_add_co_u32_e32 v2, vcc, 0xffffdff8, v34
	s_add_u32 s8, s0, -8
	s_nop 0
	v_addc_co_u32_e32 v3, vcc, -1, v1, vcc
	v_add_co_u32_e32 v4, vcc, 0xffffd7f8, v34
	s_addc_u32 s9, s1, -1
	s_nop 0
	v_addc_co_u32_e32 v5, vcc, -1, v1, vcc
	v_add_co_u32_e32 v6, vcc, 0xffffcff8, v34
	s_and_b64 s[0:1], s[50:51], exec
	s_nop 0
	v_addc_co_u32_e32 v7, vcc, -1, v1, vcc
	v_add_co_u32_e32 v8, vcc, 0xffffc7f8, v34
	s_cselect_b32 s0, s66, s8
	s_nop 0
	v_addc_co_u32_e32 v9, vcc, -1, v1, vcc
	flat_load_dwordx2 v[18:19], v[2:3]
	flat_load_dwordx2 v[20:21], v[4:5]
	;; [unrolled: 1-line block ×4, first 2 shown]
	v_add_co_u32_e32 v2, vcc, 0xffffbff8, v34
	s_cselect_b32 s1, s67, s9
	s_nop 0
	v_addc_co_u32_e32 v3, vcc, -1, v1, vcc
	v_add_co_u32_e32 v4, vcc, 0xffffb7f8, v34
	s_cmp_eq_u64 s[52:53], 0
	s_nop 0
	v_addc_co_u32_e32 v5, vcc, -1, v1, vcc
	v_add_co_u32_e32 v6, vcc, 0xffffaff8, v34
	s_cselect_b32 s1, s7, s1
	s_nop 0
	v_addc_co_u32_e32 v7, vcc, -1, v1, vcc
	v_add_co_u32_e32 v8, vcc, 0xffffa7f8, v34
	s_cselect_b32 s0, s6, s0
	s_nop 0
	v_addc_co_u32_e32 v9, vcc, -1, v1, vcc
	flat_load_dwordx2 v[26:27], v[2:3]
	flat_load_dwordx2 v[28:29], v[4:5]
	;; [unrolled: 1-line block ×4, first 2 shown]
	v_add_co_u32_e32 v2, vcc, 0xffff9ff8, v34
	s_movk_i32 s12, 0xf7f8
	s_nop 0
	v_addc_co_u32_e32 v3, vcc, -1, v1, vcc
	v_add_co_u32_e32 v4, vcc, 0xffff97f8, v34
	s_movk_i32 s11, 0xe7f8
	s_nop 0
	v_addc_co_u32_e32 v5, vcc, -1, v1, vcc
	flat_load_dwordx2 v[6:7], v[2:3]
	flat_load_dwordx2 v[8:9], v[4:5]
	v_mov_b32_e32 v2, s0
	v_mov_b32_e32 v3, s1
	s_movk_i32 s10, 0xd7f8
	s_movk_i32 s9, 0xc7f8
	;; [unrolled: 1-line block ×5, first 2 shown]
	s_waitcnt vmcnt(0) lgkmcnt(0)
	ds_write2st64_b64 v40, v[10:11], v[12:13] offset1:4
	ds_write2st64_b64 v40, v[14:15], v[16:17] offset0:8 offset1:12
	ds_write2st64_b64 v40, v[18:19], v[20:21] offset0:16 offset1:20
	;; [unrolled: 1-line block ×6, first 2 shown]
	s_waitcnt lgkmcnt(0)
	s_barrier
	flat_load_dwordx2 v[30:31], v[2:3]
	v_sub_co_u32_e32 v32, vcc, 0, v0
	s_nop 1
	v_subb_co_u32_e64 v33, s[0:1], 0, 0, vcc
	s_movk_i32 s0, 0x68
	s_nop 0
	v_mad_u32_u24 v1, v0, s0, v40
	ds_read_b128 v[14:17], v1
	ds_read_b128 v[2:5], v1 offset:16
	ds_read_b128 v[6:9], v1 offset:32
	;; [unrolled: 1-line block ×6, first 2 shown]
	s_movk_i32 s0, 0xff98
	v_mad_i32_i24 v34, v0, s0, v1
	s_waitcnt lgkmcnt(0)
	ds_write_b64 v34, v[28:29] offset:28672
	s_waitcnt lgkmcnt(0)
	s_barrier
	s_and_saveexec_b64 s[0:1], s[4:5]
	s_cbranch_execz .LBB149_81
; %bb.80:
	s_waitcnt vmcnt(0)
	v_mul_i32_i24_e32 v30, 0xffffff98, v0
	v_add_u32_e32 v30, v1, v30
	ds_read_b64 v[30:31], v30 offset:28664
.LBB149_81:
	s_or_b64 exec, exec, s[0:1]
	v_lshl_add_u64 v[32:33], v[32:33], 3, s[34:35]
	v_add_co_u32_e32 v34, vcc, s12, v32
	s_waitcnt lgkmcnt(0)
	s_nop 0
	v_addc_co_u32_e32 v35, vcc, -1, v33, vcc
	v_add_co_u32_e32 v36, vcc, s11, v32
	s_barrier
	s_nop 0
	v_addc_co_u32_e32 v37, vcc, -1, v33, vcc
	flat_load_dwordx2 v[38:39], v[36:37] offset:2048
	flat_load_dwordx2 v[42:43], v[36:37]
	flat_load_dwordx2 v[44:45], v[34:35] offset:2048
	flat_load_dwordx2 v[46:47], v[34:35]
	v_add_co_u32_e32 v34, vcc, s10, v32
	v_cmp_ne_u64_e64 s[0:1], v[26:27], v[28:29]
	s_nop 0
	v_addc_co_u32_e32 v35, vcc, -1, v33, vcc
	v_add_co_u32_e32 v36, vcc, s9, v32
	s_mov_b64 s[10:11], -1
	s_nop 0
	v_addc_co_u32_e32 v37, vcc, -1, v33, vcc
	flat_load_dwordx2 v[48:49], v[36:37] offset:2048
	flat_load_dwordx2 v[50:51], v[36:37]
	flat_load_dwordx2 v[52:53], v[34:35] offset:2048
	flat_load_dwordx2 v[54:55], v[34:35]
	v_add_co_u32_e32 v34, vcc, s8, v32
                                        ; implicit-def: $sgpr68
                                        ; implicit-def: $sgpr8_sgpr9
                                        ; implicit-def: $vgpr78_vgpr79
	s_nop 1
	v_addc_co_u32_e32 v35, vcc, -1, v33, vcc
	v_add_co_u32_e32 v36, vcc, s7, v32
	s_nop 1
	v_addc_co_u32_e32 v37, vcc, -1, v33, vcc
	v_add_co_u32_e32 v32, vcc, s6, v32
	flat_load_dwordx2 v[56:57], v[36:37] offset:2048
	flat_load_dwordx2 v[58:59], v[36:37]
	flat_load_dwordx2 v[60:61], v[34:35] offset:2048
	flat_load_dwordx2 v[62:63], v[34:35]
	v_addc_co_u32_e32 v33, vcc, -1, v33, vcc
	flat_load_dwordx2 v[34:35], v[32:33] offset:2048
	flat_load_dwordx2 v[36:37], v[32:33]
	v_cmp_ne_u64_e32 vcc, v[24:25], v[26:27]
	s_waitcnt vmcnt(0) lgkmcnt(0)
	ds_write2st64_b64 v40, v[44:45], v[46:47] offset1:4
	ds_write2st64_b64 v40, v[38:39], v[42:43] offset0:8 offset1:12
	ds_write2st64_b64 v40, v[52:53], v[54:55] offset0:16 offset1:20
	;; [unrolled: 1-line block ×6, first 2 shown]
	v_cndmask_b32_e64 v80, 0, 1, vcc
	v_cmp_ne_u64_e32 vcc, v[22:23], v[24:25]
	s_waitcnt lgkmcnt(0)
	s_barrier
	v_cndmask_b32_e64 v91, 0, 1, vcc
	v_cmp_ne_u64_e32 vcc, v[20:21], v[22:23]
	s_waitcnt lgkmcnt(0)
                                        ; implicit-def: $vgpr46_vgpr47
                                        ; implicit-def: $vgpr42_vgpr43
                                        ; implicit-def: $vgpr38_vgpr39
                                        ; implicit-def: $vgpr22_vgpr23
	s_nop 0
	v_cndmask_b32_e64 v90, 0, 1, vcc
	v_cmp_ne_u64_e32 vcc, v[18:19], v[20:21]
	s_nop 1
	v_cndmask_b32_e64 v89, 0, 1, vcc
	v_cmp_ne_u64_e32 vcc, v[12:13], v[18:19]
	;; [unrolled: 3-line block ×8, first 2 shown]
	ds_read_b128 v[2:5], v1
	ds_read_b128 v[6:9], v1 offset:16
	ds_read_b128 v[10:13], v1 offset:32
	;; [unrolled: 1-line block ×6, first 2 shown]
	v_cndmask_b32_e64 v81, 0, 1, vcc
	v_cmp_ne_u64_e32 vcc, v[14:15], v[16:17]
	s_nop 1
	v_cndmask_b32_e64 v82, 0, 1, vcc
	v_cmp_ne_u64_e32 vcc, v[30:31], v[14:15]
                                        ; implicit-def: $vgpr30_vgpr31
                                        ; implicit-def: $vgpr14_vgpr15
	s_nop 1
	v_cndmask_b32_e64 v1, 0, 1, vcc
.LBB149_82:
	v_mov_b64_e32 v[16:17], s[8:9]
	v_mov_b32_e32 v32, s68
	s_and_saveexec_b64 s[6:7], s[10:11]
	s_cbranch_execz .LBB149_84
; %bb.83:
	v_cndmask_b32_e64 v32, 0, 1, s[0:1]
	s_waitcnt lgkmcnt(6)
	v_mov_b64_e32 v[14:15], v[4:5]
	s_waitcnt lgkmcnt(5)
	v_mov_b64_e32 v[22:23], v[8:9]
	;; [unrolled: 2-line block ×7, first 2 shown]
	v_mov_b64_e32 v[16:17], v[52:53]
.LBB149_84:
	s_or_b64 exec, exec, s[6:7]
	s_waitcnt lgkmcnt(6)
	v_or_b32_e32 v4, v32, v80
	s_cmp_lg_u32 s47, 0
	s_waitcnt lgkmcnt(1)
	v_or_b32_e32 v36, v4, v91
	v_mbcnt_lo_u32_b32 v33, -1, 0
	s_waitcnt lgkmcnt(0)
	s_barrier
	s_cbranch_scc0 .LBB149_167
; %bb.85:
	v_mov_b32_e32 v8, 0
	v_cmp_gt_i64_e32 vcc, v[14:15], v[2:3]
	v_cmp_eq_u16_sdwa s[6:7], v82, v8 src0_sel:BYTE_0 src1_sel:DWORD
	v_cmp_eq_u16_sdwa s[8:9], v81, v8 src0_sel:BYTE_0 src1_sel:DWORD
	v_cndmask_b32_e32 v4, v2, v14, vcc
	v_cndmask_b32_e32 v5, v3, v15, vcc
	v_cndmask_b32_e64 v5, v15, v5, s[6:7]
	v_cndmask_b32_e64 v4, v14, v4, s[6:7]
	v_cmp_gt_i64_e32 vcc, v[6:7], v[4:5]
	v_cmp_eq_u16_sdwa s[10:11], v83, v8 src0_sel:BYTE_0 src1_sel:DWORD
	v_cmp_eq_u16_sdwa s[12:13], v84, v8 src0_sel:BYTE_0 src1_sel:DWORD
	v_cndmask_b32_e32 v4, v4, v6, vcc
	v_cndmask_b32_e32 v5, v5, v7, vcc
	v_cndmask_b32_e64 v5, v7, v5, s[8:9]
	v_cndmask_b32_e64 v4, v6, v4, s[8:9]
	;; [unrolled: 7-line block ×6, first 2 shown]
	v_cmp_gt_i64_e32 vcc, v[38:39], v[4:5]
	v_cmp_eq_u16_sdwa s[30:31], v32, v8 src0_sel:BYTE_0 src1_sel:DWORD
	v_and_b32_e32 v12, 0xff, v1
	v_cndmask_b32_e32 v4, v4, v38, vcc
	v_cndmask_b32_e32 v5, v5, v39, vcc
	v_cndmask_b32_e64 v5, v39, v5, s[18:19]
	v_cndmask_b32_e64 v4, v38, v4, s[18:19]
	v_cmp_gt_i64_e32 vcc, v[26:27], v[4:5]
	v_mbcnt_hi_u32_b32 v28, -1, v33
	s_nop 0
	v_cndmask_b32_e32 v4, v4, v26, vcc
	v_cndmask_b32_e32 v5, v5, v27, vcc
	v_cndmask_b32_e64 v5, v27, v5, s[20:21]
	v_cndmask_b32_e64 v4, v26, v4, s[20:21]
	v_cmp_gt_i64_e32 vcc, v[42:43], v[4:5]
	s_nop 1
	v_cndmask_b32_e32 v4, v4, v42, vcc
	v_cndmask_b32_e32 v5, v5, v43, vcc
	v_cndmask_b32_e64 v5, v43, v5, s[22:23]
	v_cndmask_b32_e64 v4, v42, v4, s[22:23]
	v_cmp_gt_i64_e32 vcc, v[34:35], v[4:5]
	;; [unrolled: 6-line block ×5, first 2 shown]
	s_nop 1
	v_cndmask_b32_e32 v4, v4, v16, vcc
	v_cndmask_b32_e64 v8, v16, v4, s[30:31]
	v_or_b32_e32 v4, v36, v90
	v_or_b32_e32 v4, v4, v89
	;; [unrolled: 1-line block ×10, first 2 shown]
	v_and_b32_e32 v4, 1, v4
	v_cndmask_b32_e32 v5, v5, v17, vcc
	v_cmp_eq_u32_e32 vcc, 1, v4
	v_cndmask_b32_e64 v9, v17, v5, s[30:31]
	v_mov_b32_dpp v4, v8 row_shr:1 row_mask:0xf bank_mask:0xf
	v_cndmask_b32_e64 v20, v12, 1, vcc
	v_and_b32_e32 v12, 15, v28
	v_mov_b32_dpp v5, v9 row_shr:1 row_mask:0xf bank_mask:0xf
	v_mov_b32_dpp v13, v20 row_shr:1 row_mask:0xf bank_mask:0xf
	v_cmp_ne_u32_e32 vcc, 0, v12
	s_and_saveexec_b64 s[0:1], vcc
; %bb.86:
	v_cmp_gt_i64_e32 vcc, v[8:9], v[4:5]
	s_nop 1
	v_cndmask_b32_e32 v4, v4, v8, vcc
	v_cndmask_b32_e32 v5, v5, v9, vcc
	v_cmp_eq_u32_e32 vcc, 0, v20
	v_and_or_b32 v20, v13, 1, v20
	s_nop 0
	v_cndmask_b32_e32 v9, v9, v5, vcc
	v_cndmask_b32_e32 v8, v8, v4, vcc
; %bb.87:
	s_or_b64 exec, exec, s[0:1]
	s_nop 0
	v_mov_b32_dpp v4, v8 row_shr:2 row_mask:0xf bank_mask:0xf
	v_mov_b32_dpp v5, v9 row_shr:2 row_mask:0xf bank_mask:0xf
	v_mov_b32_dpp v13, v20 row_shr:2 row_mask:0xf bank_mask:0xf
	v_cmp_lt_u32_e32 vcc, 1, v12
	s_and_saveexec_b64 s[0:1], vcc
; %bb.88:
	v_cmp_gt_i64_e32 vcc, v[8:9], v[4:5]
	s_nop 1
	v_cndmask_b32_e32 v4, v4, v8, vcc
	v_cndmask_b32_e32 v5, v5, v9, vcc
	v_cmp_eq_u32_e32 vcc, 0, v20
	s_nop 1
	v_cndmask_b32_e32 v8, v8, v4, vcc
	v_or_b32_e32 v4, v13, v20
	v_cndmask_b32_e32 v9, v9, v5, vcc
	v_and_b32_e32 v20, 1, v4
; %bb.89:
	s_or_b64 exec, exec, s[0:1]
	v_mov_b32_dpp v4, v8 row_shr:4 row_mask:0xf bank_mask:0xf
	v_mov_b32_dpp v5, v9 row_shr:4 row_mask:0xf bank_mask:0xf
	v_mov_b32_dpp v13, v20 row_shr:4 row_mask:0xf bank_mask:0xf
	v_cmp_lt_u32_e32 vcc, 3, v12
	s_and_saveexec_b64 s[0:1], vcc
; %bb.90:
	v_cmp_gt_i64_e32 vcc, v[8:9], v[4:5]
	s_nop 1
	v_cndmask_b32_e32 v4, v4, v8, vcc
	v_cndmask_b32_e32 v5, v5, v9, vcc
	v_cmp_eq_u32_e32 vcc, 0, v20
	s_nop 1
	v_cndmask_b32_e32 v8, v8, v4, vcc
	v_or_b32_e32 v4, v13, v20
	v_cndmask_b32_e32 v9, v9, v5, vcc
	v_and_b32_e32 v20, 1, v4
; %bb.91:
	s_or_b64 exec, exec, s[0:1]
	;; [unrolled: 18-line block ×3, first 2 shown]
	v_and_b32_e32 v13, 16, v28
	v_mov_b32_dpp v4, v8 row_bcast:15 row_mask:0xf bank_mask:0xf
	v_mov_b32_dpp v5, v9 row_bcast:15 row_mask:0xf bank_mask:0xf
	;; [unrolled: 1-line block ×3, first 2 shown]
	v_cmp_ne_u32_e32 vcc, 0, v13
	s_and_saveexec_b64 s[0:1], vcc
; %bb.94:
	v_cmp_gt_i64_e32 vcc, v[8:9], v[4:5]
	s_nop 1
	v_cndmask_b32_e32 v4, v4, v8, vcc
	v_cndmask_b32_e32 v5, v5, v9, vcc
	v_cmp_eq_u32_e32 vcc, 0, v20
	s_nop 1
	v_cndmask_b32_e32 v8, v8, v4, vcc
	v_or_b32_e32 v4, v12, v20
	v_cndmask_b32_e32 v9, v9, v5, vcc
	v_and_b32_e32 v20, 1, v4
; %bb.95:
	s_or_b64 exec, exec, s[0:1]
	v_mov_b32_dpp v4, v8 row_bcast:31 row_mask:0xf bank_mask:0xf
	v_mov_b32_dpp v5, v9 row_bcast:31 row_mask:0xf bank_mask:0xf
	;; [unrolled: 1-line block ×3, first 2 shown]
	v_cmp_lt_u32_e32 vcc, 31, v28
	v_mov_b32_e32 v12, v20
	s_and_saveexec_b64 s[0:1], vcc
; %bb.96:
	v_cmp_gt_i64_e32 vcc, v[8:9], v[4:5]
	s_nop 1
	v_cndmask_b32_e32 v4, v4, v8, vcc
	v_cndmask_b32_e32 v5, v5, v9, vcc
	v_cmp_eq_u32_e32 vcc, 0, v20
	s_nop 1
	v_cndmask_b32_e32 v8, v8, v4, vcc
	v_or_b32_e32 v4, v13, v20
	v_cndmask_b32_e32 v9, v9, v5, vcc
	v_and_b32_e32 v12, 1, v4
	v_and_b32_e32 v20, 1, v4
; %bb.97:
	s_or_b64 exec, exec, s[0:1]
	v_or_b32_e32 v4, 63, v0
	v_lshrrev_b32_e32 v21, 6, v0
	v_cmp_eq_u32_e32 vcc, v4, v0
	s_and_saveexec_b64 s[0:1], vcc
	s_cbranch_execz .LBB149_99
; %bb.98:
	v_lshlrev_b32_e32 v4, 4, v21
	ds_write_b64 v4, v[8:9]
	ds_write_b8 v4, v12 offset:8
.LBB149_99:
	s_or_b64 exec, exec, s[0:1]
	v_cmp_gt_u32_e32 vcc, 4, v0
	s_waitcnt lgkmcnt(0)
	s_barrier
	s_and_saveexec_b64 s[34:35], vcc
	s_cbranch_execz .LBB149_105
; %bb.100:
	v_lshlrev_b32_e32 v24, 4, v0
	ds_read_b64 v[4:5], v24
	ds_read_b32 v25, v24 offset:8
	v_and_b32_e32 v29, 3, v28
	v_cmp_ne_u32_e32 vcc, 0, v29
	s_waitcnt lgkmcnt(1)
	v_mov_b32_dpp v12, v4 row_shr:1 row_mask:0xf bank_mask:0xf
	v_mov_b32_dpp v13, v5 row_shr:1 row_mask:0xf bank_mask:0xf
	s_waitcnt lgkmcnt(0)
	v_mov_b32_dpp v44, v25 row_shr:1 row_mask:0xf bank_mask:0xf
	v_mov_b32_e32 v41, v25
	v_mov_b32_e32 v37, v25
	s_and_saveexec_b64 s[0:1], vcc
	s_cbranch_execz .LBB149_102
; %bb.101:
	v_mov_b32_e32 v37, 0
	v_cmp_gt_i64_e32 vcc, v[4:5], v[12:13]
	s_movk_i32 s50, 0xff00
	s_nop 0
	v_cndmask_b32_e32 v12, v12, v4, vcc
	v_cndmask_b32_e32 v13, v13, v5, vcc
	v_cmp_eq_u16_sdwa vcc, v25, v37 src0_sel:BYTE_0 src1_sel:DWORD
	s_nop 1
	v_cndmask_b32_e32 v4, v4, v12, vcc
	v_or_b32_e32 v12, v44, v25
	v_and_b32_e32 v37, 1, v12
	v_cndmask_b32_e32 v5, v5, v13, vcc
	v_and_b32_e32 v41, 1, v12
	v_and_or_b32 v25, v25, s50, v37
.LBB149_102:
	s_or_b64 exec, exec, s[0:1]
	v_mov_b32_dpp v12, v4 row_shr:2 row_mask:0xf bank_mask:0xf
	v_mov_b32_dpp v13, v5 row_shr:2 row_mask:0xf bank_mask:0xf
	;; [unrolled: 1-line block ×3, first 2 shown]
	v_cmp_lt_u32_e32 vcc, 1, v29
	s_and_saveexec_b64 s[50:51], vcc
	s_cbranch_execz .LBB149_104
; %bb.103:
	v_mov_b32_e32 v29, 0
	v_cmp_gt_i64_e32 vcc, v[4:5], v[12:13]
	s_nop 1
	v_cndmask_b32_e32 v12, v12, v4, vcc
	v_cndmask_b32_e32 v13, v13, v5, vcc
	v_cmp_eq_u16_sdwa vcc, v37, v29 src0_sel:BYTE_0 src1_sel:DWORD
	s_nop 1
	v_cndmask_b32_e32 v4, v4, v12, vcc
	v_and_b32_e32 v12, 1, v37
	v_cndmask_b32_e32 v5, v5, v13, vcc
	v_cmp_eq_u32_e32 vcc, 1, v12
	v_and_b32_e32 v12, 1, v25
	v_cmp_eq_u32_e64 s[0:1], 1, v12
	s_or_b64 s[0:1], vcc, s[0:1]
	s_nop 0
	v_cndmask_b32_e64 v41, 0, 1, s[0:1]
.LBB149_104:
	s_or_b64 exec, exec, s[50:51]
	ds_write_b64 v24, v[4:5]
	ds_write_b8 v24, v41 offset:8
.LBB149_105:
	s_or_b64 exec, exec, s[34:35]
	v_cmp_gt_u32_e32 vcc, 64, v0
	v_cmp_lt_u32_e64 s[0:1], 63, v0
	v_mov_b32_e32 v37, 0
	v_mov_b64_e32 v[4:5], 0
	s_waitcnt lgkmcnt(0)
	s_barrier
	s_and_saveexec_b64 s[34:35], s[0:1]
	s_cbranch_execz .LBB149_107
; %bb.106:
	v_lshl_add_u32 v12, v21, 4, -16
	ds_read_b64 v[4:5], v12
	ds_read_u8 v37, v12 offset:8
	s_waitcnt lgkmcnt(1)
	v_cmp_gt_i64_e64 s[0:1], v[8:9], v[4:5]
	s_nop 1
	v_cndmask_b32_e64 v12, v4, v8, s[0:1]
	v_cndmask_b32_e64 v13, v5, v9, s[0:1]
	v_cmp_eq_u32_e64 s[0:1], 0, v20
	s_nop 1
	v_cndmask_b32_e64 v8, v8, v12, s[0:1]
	v_and_b32_e32 v12, 1, v20
	v_cndmask_b32_e64 v9, v9, v13, s[0:1]
	v_cmp_eq_u32_e64 s[0:1], 1, v12
	s_waitcnt lgkmcnt(0)
	s_nop 0
	v_cndmask_b32_e64 v20, v37, 1, s[0:1]
.LBB149_107:
	s_or_b64 exec, exec, s[34:35]
	v_add_u32_e32 v12, -1, v28
	v_and_b32_e32 v13, 64, v28
	v_cmp_lt_i32_e64 s[0:1], v12, v13
	v_cmp_eq_u32_e64 s[34:35], 0, v28
	s_nop 0
	v_cndmask_b32_e64 v12, v12, v28, s[0:1]
	v_lshlrev_b32_e32 v12, 2, v12
	ds_bpermute_b32 v41, v12, v8
	ds_bpermute_b32 v44, v12, v9
	;; [unrolled: 1-line block ×3, first 2 shown]
	s_and_saveexec_b64 s[50:51], vcc
	s_cbranch_execz .LBB149_154
; %bb.108:
	v_mov_b32_e32 v13, 0
	ds_read2_b64 v[48:51], v13 offset0:6 offset1:7
	s_and_saveexec_b64 s[0:1], s[34:35]
	s_cbranch_execz .LBB149_110
; %bb.109:
	s_add_i32 s52, s47, 64
	s_mov_b32 s53, 0
	s_lshl_b64 s[56:57], s[52:53], 4
	s_add_u32 s56, s40, s56
	s_addc_u32 s57, s41, s57
	v_mov_b32_e32 v8, s52
	v_mov_b32_e32 v9, 1
	s_waitcnt lgkmcnt(0)
	global_store_dword v13, v48, s[56:57] sc1
	global_store_dword v13, v49, s[56:57] offset:4 sc1
	global_store_dword v13, v50, s[56:57] offset:8 sc1
	;; [unrolled: 1-line block ×3, first 2 shown]
	s_waitcnt vmcnt(0)
	global_store_byte v8, v9, s[44:45] sc1
.LBB149_110:
	s_or_b64 exec, exec, s[0:1]
	v_xad_u32 v8, v28, -1, s47
	v_add_u32_e32 v12, 64, v8
	s_waitcnt lgkmcnt(0)
	global_load_ubyte v51, v12, s[44:45] sc1
	s_waitcnt vmcnt(0)
	v_cmp_eq_u16_e32 vcc, 0, v51
	s_and_saveexec_b64 s[0:1], vcc
	s_cbranch_execz .LBB149_116
; %bb.111:
	v_lshl_add_u64 v[20:21], s[44:45], 0, v[12:13]
	s_mov_b32 s56, 1
	s_mov_b64 s[52:53], 0
.LBB149_112:                            ; =>This Loop Header: Depth=1
                                        ;     Child Loop BB149_113 Depth 2
	s_max_u32 s57, s56, 1
.LBB149_113:                            ;   Parent Loop BB149_112 Depth=1
                                        ; =>  This Inner Loop Header: Depth=2
	s_add_i32 s57, s57, -1
	s_cmp_eq_u32 s57, 0
	s_sleep 1
	s_cbranch_scc0 .LBB149_113
; %bb.114:                              ;   in Loop: Header=BB149_112 Depth=1
	global_load_ubyte v51, v[20:21], off sc1
	s_cmp_lt_u32 s56, 32
	s_cselect_b64 s[60:61], -1, 0
	s_cmp_lg_u64 s[60:61], 0
	s_addc_u32 s56, s56, 0
	s_waitcnt vmcnt(0)
	v_cmp_ne_u16_e32 vcc, 0, v51
	s_or_b64 s[52:53], vcc, s[52:53]
	s_andn2_b64 exec, exec, s[52:53]
	s_cbranch_execnz .LBB149_112
; %bb.115:
	s_or_b64 exec, exec, s[52:53]
.LBB149_116:
	s_or_b64 exec, exec, s[0:1]
	v_mov_b32_e32 v9, s43
	v_mov_b32_e32 v20, s41
	v_cmp_eq_u16_e32 vcc, 1, v51
	s_waitcnt vmcnt(0)
	s_nop 0
	v_cndmask_b32_e32 v21, v9, v20, vcc
	v_mov_b32_e32 v9, s42
	v_mov_b32_e32 v20, s40
	v_cndmask_b32_e32 v20, v9, v20, vcc
	v_lshl_add_u64 v[12:13], v[12:13], 4, v[20:21]
	global_load_dword v24, v[12:13], off sc1
	global_load_dword v25, v[12:13], off offset:4 sc1
	global_load_dword v29, v[12:13], off offset:8 sc1
	;; [unrolled: 1-line block ×3, first 2 shown]
	v_cmp_eq_u16_e32 vcc, 2, v51
	v_lshlrev_b64 v[12:13], v28, -1
	v_and_b32_e32 v52, 63, v28
	s_waitcnt vmcnt(0)
	v_and_b32_e32 v9, vcc_hi, v13
	v_and_b32_e32 v55, vcc_lo, v12
	v_cmp_ne_u32_e32 vcc, 63, v52
	v_or_b32_e32 v9, 0x80000000, v9
	v_ffbl_b32_e32 v9, v9
	v_addc_co_u32_e32 v20, vcc, 0, v28, vcc
	v_lshlrev_b32_e32 v53, 2, v20
	v_add_u32_e32 v9, 32, v9
	v_ffbl_b32_e32 v55, v55
	v_min_u32_e32 v9, v55, v9
	v_cmp_lt_u32_e32 vcc, v52, v9
	ds_bpermute_b32 v20, v53, v24
	ds_bpermute_b32 v21, v53, v25
	v_and_b32_e32 v62, 0xff, v29
	ds_bpermute_b32 v54, v53, v62
	s_and_saveexec_b64 s[0:1], vcc
	s_cbranch_execz .LBB149_118
; %bb.117:
	v_mov_b32_e32 v55, 0
	s_waitcnt lgkmcnt(1)
	v_cmp_gt_i64_e32 vcc, v[24:25], v[20:21]
	s_nop 1
	v_cndmask_b32_e32 v20, v20, v24, vcc
	v_cndmask_b32_e32 v21, v21, v25, vcc
	v_cmp_eq_u16_sdwa vcc, v29, v55 src0_sel:BYTE_0 src1_sel:DWORD
	s_nop 1
	v_cndmask_b32_e32 v24, v24, v20, vcc
	s_waitcnt lgkmcnt(0)
	v_or_b32_e32 v20, v54, v29
	v_cndmask_b32_e32 v25, v25, v21, vcc
	v_and_b32_e32 v29, 1, v20
	v_and_b32_e32 v62, 1, v20
.LBB149_118:
	s_or_b64 exec, exec, s[0:1]
	v_cmp_gt_u32_e32 vcc, 62, v52
	v_add_u32_e32 v55, 2, v52
	s_waitcnt lgkmcnt(2)
	v_cndmask_b32_e64 v20, 0, 1, vcc
	v_lshlrev_b32_e32 v20, 1, v20
	s_waitcnt lgkmcnt(0)
	v_add_lshl_u32 v54, v20, v28, 2
	ds_bpermute_b32 v20, v54, v24
	ds_bpermute_b32 v21, v54, v25
	ds_bpermute_b32 v56, v54, v62
	v_cmp_le_u32_e32 vcc, v55, v9
	s_and_saveexec_b64 s[52:53], vcc
	s_cbranch_execz .LBB149_120
; %bb.119:
	v_mov_b32_e32 v57, 0
	s_waitcnt lgkmcnt(1)
	v_cmp_gt_i64_e32 vcc, v[24:25], v[20:21]
	s_nop 1
	v_cndmask_b32_e32 v20, v20, v24, vcc
	v_cndmask_b32_e32 v21, v21, v25, vcc
	v_cmp_eq_u16_sdwa vcc, v29, v57 src0_sel:BYTE_0 src1_sel:DWORD
	s_nop 1
	v_cndmask_b32_e32 v24, v24, v20, vcc
	v_and_b32_e32 v20, 1, v29
	v_cndmask_b32_e32 v25, v25, v21, vcc
	v_cmp_eq_u32_e32 vcc, 1, v20
	s_waitcnt lgkmcnt(0)
	v_and_b32_e32 v20, 1, v56
	v_cmp_eq_u32_e64 s[0:1], 1, v20
	s_or_b64 s[0:1], vcc, s[0:1]
	s_nop 0
	v_cndmask_b32_e64 v29, 0, 1, s[0:1]
	v_cndmask_b32_e64 v62, 0, 1, s[0:1]
.LBB149_120:
	s_or_b64 exec, exec, s[52:53]
	v_cmp_gt_u32_e32 vcc, 60, v52
	v_add_u32_e32 v57, 4, v52
	s_waitcnt lgkmcnt(2)
	v_cndmask_b32_e64 v20, 0, 1, vcc
	v_lshlrev_b32_e32 v20, 2, v20
	s_waitcnt lgkmcnt(0)
	v_add_lshl_u32 v56, v20, v28, 2
	ds_bpermute_b32 v20, v56, v24
	ds_bpermute_b32 v21, v56, v25
	ds_bpermute_b32 v58, v56, v62
	v_cmp_le_u32_e32 vcc, v57, v9
	s_and_saveexec_b64 s[52:53], vcc
	s_cbranch_execz .LBB149_122
; %bb.121:
	v_mov_b32_e32 v59, 0
	s_waitcnt lgkmcnt(1)
	v_cmp_gt_i64_e32 vcc, v[24:25], v[20:21]
	s_nop 1
	v_cndmask_b32_e32 v20, v20, v24, vcc
	v_cndmask_b32_e32 v21, v21, v25, vcc
	v_cmp_eq_u16_sdwa vcc, v29, v59 src0_sel:BYTE_0 src1_sel:DWORD
	s_nop 1
	v_cndmask_b32_e32 v24, v24, v20, vcc
	v_and_b32_e32 v20, 1, v29
	v_cndmask_b32_e32 v25, v25, v21, vcc
	v_cmp_eq_u32_e32 vcc, 1, v20
	s_waitcnt lgkmcnt(0)
	v_and_b32_e32 v20, 1, v58
	v_cmp_eq_u32_e64 s[0:1], 1, v20
	s_or_b64 s[0:1], vcc, s[0:1]
	s_nop 0
	v_cndmask_b32_e64 v29, 0, 1, s[0:1]
	v_cndmask_b32_e64 v62, 0, 1, s[0:1]
.LBB149_122:
	;; [unrolled: 35-line block ×4, first 2 shown]
	s_or_b64 exec, exec, s[52:53]
	v_cmp_gt_u32_e32 vcc, 32, v52
	v_add_u32_e32 v64, 32, v52
	s_waitcnt lgkmcnt(2)
	v_cndmask_b32_e64 v20, 0, 1, vcc
	v_lshlrev_b32_e32 v20, 5, v20
	s_waitcnt lgkmcnt(0)
	v_add_lshl_u32 v63, v20, v28, 2
	ds_bpermute_b32 v20, v63, v24
	ds_bpermute_b32 v21, v63, v25
	;; [unrolled: 1-line block ×3, first 2 shown]
	v_cmp_le_u32_e32 vcc, v64, v9
	s_and_saveexec_b64 s[52:53], vcc
	s_cbranch_execz .LBB149_128
; %bb.127:
	v_mov_b32_e32 v9, 0
	s_waitcnt lgkmcnt(1)
	v_cmp_gt_i64_e32 vcc, v[24:25], v[20:21]
	s_nop 1
	v_cndmask_b32_e32 v20, v20, v24, vcc
	v_cndmask_b32_e32 v21, v21, v25, vcc
	v_cmp_eq_u16_sdwa vcc, v29, v9 src0_sel:BYTE_0 src1_sel:DWORD
	v_and_b32_e32 v9, 1, v29
	s_nop 0
	v_cndmask_b32_e32 v25, v25, v21, vcc
	v_cndmask_b32_e32 v24, v24, v20, vcc
	v_cmp_eq_u32_e32 vcc, 1, v9
	s_waitcnt lgkmcnt(0)
	v_and_b32_e32 v9, 1, v28
	v_cmp_eq_u32_e64 s[0:1], 1, v9
	s_or_b64 s[0:1], vcc, s[0:1]
	s_nop 0
	v_cndmask_b32_e64 v29, 0, 1, s[0:1]
.LBB149_128:
	s_or_b64 exec, exec, s[52:53]
	v_mov_b32_e32 v9, 0
	v_mov_b32_e32 v65, 2
	s_branch .LBB149_130
.LBB149_129:                            ;   in Loop: Header=BB149_130 Depth=1
	s_or_b64 exec, exec, s[56:57]
	v_cmp_gt_i64_e32 vcc, v[20:21], v[24:25]
	s_waitcnt lgkmcnt(2)
	v_and_b32_e32 v28, 1, v62
	v_subrev_u32_e32 v8, 64, v8
	v_cndmask_b32_e32 v24, v24, v20, vcc
	v_cndmask_b32_e32 v25, v25, v21, vcc
	v_cmp_eq_u16_sdwa vcc, v62, v9 src0_sel:BYTE_0 src1_sel:DWORD
	s_nop 1
	v_cndmask_b32_e32 v25, v21, v25, vcc
	v_cndmask_b32_e32 v24, v20, v24, vcc
	v_cmp_eq_u32_e32 vcc, 1, v28
	s_or_b64 s[0:1], vcc, s[52:53]
	s_waitcnt lgkmcnt(1)
	v_cndmask_b32_e64 v29, 0, 1, s[0:1]
.LBB149_130:                            ; =>This Loop Header: Depth=1
                                        ;     Child Loop BB149_133 Depth 2
                                        ;       Child Loop BB149_134 Depth 3
	v_cmp_ne_u16_sdwa s[0:1], v51, v65 src0_sel:BYTE_0 src1_sel:DWORD
	v_mov_b32_e32 v62, v29
	s_waitcnt lgkmcnt(2)
	v_cndmask_b32_e64 v20, 0, 1, s[0:1]
	;;#ASMSTART
	;;#ASMEND
	s_nop 0
	v_cmp_ne_u32_e32 vcc, 0, v20
	s_cmp_lg_u64 vcc, exec
	s_waitcnt lgkmcnt(1)
	v_mov_b64_e32 v[20:21], v[24:25]
	s_cbranch_scc1 .LBB149_149
; %bb.131:                              ;   in Loop: Header=BB149_130 Depth=1
	global_load_ubyte v51, v8, s[44:45] sc1
	s_waitcnt vmcnt(0)
	v_cmp_eq_u16_e32 vcc, 0, v51
	s_and_saveexec_b64 s[0:1], vcc
	s_cbranch_execz .LBB149_137
; %bb.132:                              ;   in Loop: Header=BB149_130 Depth=1
	v_lshl_add_u64 v[24:25], s[44:45], 0, v[8:9]
	s_mov_b32 s56, 1
	s_mov_b64 s[52:53], 0
.LBB149_133:                            ;   Parent Loop BB149_130 Depth=1
                                        ; =>  This Loop Header: Depth=2
                                        ;       Child Loop BB149_134 Depth 3
	s_max_u32 s57, s56, 1
.LBB149_134:                            ;   Parent Loop BB149_130 Depth=1
                                        ;     Parent Loop BB149_133 Depth=2
                                        ; =>    This Inner Loop Header: Depth=3
	s_add_i32 s57, s57, -1
	s_cmp_eq_u32 s57, 0
	s_sleep 1
	s_cbranch_scc0 .LBB149_134
; %bb.135:                              ;   in Loop: Header=BB149_133 Depth=2
	global_load_ubyte v51, v[24:25], off sc1
	s_cmp_lt_u32 s56, 32
	s_cselect_b64 s[60:61], -1, 0
	s_cmp_lg_u64 s[60:61], 0
	s_addc_u32 s56, s56, 0
	s_waitcnt vmcnt(0)
	v_cmp_ne_u16_e32 vcc, 0, v51
	s_or_b64 s[52:53], vcc, s[52:53]
	s_andn2_b64 exec, exec, s[52:53]
	s_cbranch_execnz .LBB149_133
; %bb.136:                              ;   in Loop: Header=BB149_130 Depth=1
	s_or_b64 exec, exec, s[52:53]
.LBB149_137:                            ;   in Loop: Header=BB149_130 Depth=1
	s_or_b64 exec, exec, s[0:1]
	v_mov_b32_e32 v24, s43
	v_mov_b32_e32 v25, s41
	v_cmp_eq_u16_e32 vcc, 1, v51
	s_waitcnt lgkmcnt(0)
	v_mov_b32_e32 v28, s40
	s_waitcnt vmcnt(0)
	v_cndmask_b32_e32 v25, v24, v25, vcc
	v_mov_b32_e32 v24, s42
	v_cndmask_b32_e32 v24, v24, v28, vcc
	v_lshl_add_u64 v[28:29], v[8:9], 4, v[24:25]
	global_load_dword v24, v[28:29], off sc1
	global_load_dword v25, v[28:29], off offset:4 sc1
	global_load_dword v66, v[28:29], off offset:8 sc1
	s_nop 0
	global_load_dword v28, v[28:29], off offset:12 sc1
	v_cmp_eq_u16_e32 vcc, 2, v51
	s_waitcnt vmcnt(2)
	ds_bpermute_b32 v29, v53, v25
	s_waitcnt vmcnt(0)
	v_and_b32_e32 v28, vcc_hi, v13
	v_or_b32_e32 v28, 0x80000000, v28
	v_and_b32_e32 v68, 0xff, v66
	v_ffbl_b32_e32 v70, v28
	ds_bpermute_b32 v28, v53, v24
	ds_bpermute_b32 v69, v53, v68
	v_and_b32_e32 v67, vcc_lo, v12
	v_add_u32_e32 v70, 32, v70
	v_ffbl_b32_e32 v67, v67
	v_min_u32_e32 v67, v67, v70
	v_cmp_lt_u32_e32 vcc, v52, v67
	s_and_saveexec_b64 s[0:1], vcc
	s_cbranch_execz .LBB149_139
; %bb.138:                              ;   in Loop: Header=BB149_130 Depth=1
	s_waitcnt lgkmcnt(1)
	v_cmp_gt_i64_e32 vcc, v[24:25], v[28:29]
	s_nop 1
	v_cndmask_b32_e32 v28, v28, v24, vcc
	v_cndmask_b32_e32 v29, v29, v25, vcc
	v_cmp_eq_u16_sdwa vcc, v66, v9 src0_sel:BYTE_0 src1_sel:DWORD
	s_nop 1
	v_cndmask_b32_e32 v24, v24, v28, vcc
	s_waitcnt lgkmcnt(0)
	v_or_b32_e32 v28, v69, v66
	v_cndmask_b32_e32 v25, v25, v29, vcc
	v_and_b32_e32 v66, 1, v28
	v_and_b32_e32 v68, 1, v28
.LBB149_139:                            ;   in Loop: Header=BB149_130 Depth=1
	s_or_b64 exec, exec, s[0:1]
	s_waitcnt lgkmcnt(1)
	ds_bpermute_b32 v28, v54, v24
	ds_bpermute_b32 v29, v54, v25
	s_waitcnt lgkmcnt(2)
	ds_bpermute_b32 v69, v54, v68
	v_and_b32_e32 v70, 1, v66
	v_cmp_le_u32_e32 vcc, v55, v67
	v_cmp_eq_u32_e64 s[52:53], 1, v70
	s_and_saveexec_b64 s[0:1], vcc
	s_cbranch_execz .LBB149_141
; %bb.140:                              ;   in Loop: Header=BB149_130 Depth=1
	s_waitcnt lgkmcnt(1)
	v_cmp_gt_i64_e32 vcc, v[24:25], v[28:29]
	s_nop 1
	v_cndmask_b32_e32 v28, v28, v24, vcc
	v_cndmask_b32_e32 v29, v29, v25, vcc
	v_cmp_eq_u16_sdwa vcc, v66, v9 src0_sel:BYTE_0 src1_sel:DWORD
	s_nop 1
	v_cndmask_b32_e32 v24, v24, v28, vcc
	s_waitcnt lgkmcnt(0)
	v_and_b32_e32 v28, 1, v69
	v_cndmask_b32_e32 v25, v25, v29, vcc
	v_cmp_eq_u32_e32 vcc, 1, v28
	s_or_b64 s[56:57], s[52:53], vcc
	v_cndmask_b32_e64 v66, 0, 1, s[56:57]
	v_cndmask_b32_e64 v68, 0, 1, s[56:57]
	s_andn2_b64 s[52:53], s[52:53], exec
	s_and_b64 s[56:57], s[56:57], exec
	s_or_b64 s[52:53], s[52:53], s[56:57]
.LBB149_141:                            ;   in Loop: Header=BB149_130 Depth=1
	s_or_b64 exec, exec, s[0:1]
	s_waitcnt lgkmcnt(2)
	ds_bpermute_b32 v28, v56, v24
	s_waitcnt lgkmcnt(2)
	ds_bpermute_b32 v29, v56, v25
	s_waitcnt lgkmcnt(2)
	ds_bpermute_b32 v69, v56, v68
	v_cmp_le_u32_e32 vcc, v57, v67
	s_and_saveexec_b64 s[56:57], vcc
	s_cbranch_execz .LBB149_143
; %bb.142:                              ;   in Loop: Header=BB149_130 Depth=1
	s_waitcnt lgkmcnt(1)
	v_cmp_gt_i64_e32 vcc, v[24:25], v[28:29]
	s_andn2_b64 s[52:53], s[52:53], exec
	s_nop 0
	v_cndmask_b32_e32 v28, v28, v24, vcc
	v_cndmask_b32_e32 v29, v29, v25, vcc
	v_cmp_eq_u16_sdwa vcc, v66, v9 src0_sel:BYTE_0 src1_sel:DWORD
	s_nop 1
	v_cndmask_b32_e32 v24, v24, v28, vcc
	v_and_b32_e32 v28, 1, v66
	v_cndmask_b32_e32 v25, v25, v29, vcc
	v_cmp_eq_u32_e32 vcc, 1, v28
	s_waitcnt lgkmcnt(0)
	v_and_b32_e32 v28, 1, v69
	v_cmp_eq_u32_e64 s[0:1], 1, v28
	s_or_b64 s[0:1], vcc, s[0:1]
	s_nop 0
	v_cndmask_b32_e64 v66, 0, 1, s[0:1]
	v_cndmask_b32_e64 v68, 0, 1, s[0:1]
	s_and_b64 s[0:1], s[0:1], exec
	s_or_b64 s[52:53], s[52:53], s[0:1]
.LBB149_143:                            ;   in Loop: Header=BB149_130 Depth=1
	s_or_b64 exec, exec, s[56:57]
	s_waitcnt lgkmcnt(2)
	ds_bpermute_b32 v28, v58, v24
	s_waitcnt lgkmcnt(2)
	ds_bpermute_b32 v29, v58, v25
	s_waitcnt lgkmcnt(2)
	ds_bpermute_b32 v69, v58, v68
	v_cmp_le_u32_e32 vcc, v59, v67
	s_and_saveexec_b64 s[56:57], vcc
	s_cbranch_execz .LBB149_145
; %bb.144:                              ;   in Loop: Header=BB149_130 Depth=1
	s_waitcnt lgkmcnt(1)
	v_cmp_gt_i64_e32 vcc, v[24:25], v[28:29]
	s_andn2_b64 s[52:53], s[52:53], exec
	s_nop 0
	v_cndmask_b32_e32 v28, v28, v24, vcc
	v_cndmask_b32_e32 v29, v29, v25, vcc
	v_cmp_eq_u16_sdwa vcc, v66, v9 src0_sel:BYTE_0 src1_sel:DWORD
	s_nop 1
	v_cndmask_b32_e32 v24, v24, v28, vcc
	v_and_b32_e32 v28, 1, v66
	v_cndmask_b32_e32 v25, v25, v29, vcc
	v_cmp_eq_u32_e32 vcc, 1, v28
	s_waitcnt lgkmcnt(0)
	v_and_b32_e32 v28, 1, v69
	v_cmp_eq_u32_e64 s[0:1], 1, v28
	s_or_b64 s[0:1], vcc, s[0:1]
	s_nop 0
	v_cndmask_b32_e64 v66, 0, 1, s[0:1]
	v_cndmask_b32_e64 v68, 0, 1, s[0:1]
	s_and_b64 s[0:1], s[0:1], exec
	s_or_b64 s[52:53], s[52:53], s[0:1]
.LBB149_145:                            ;   in Loop: Header=BB149_130 Depth=1
	;; [unrolled: 33-line block ×3, first 2 shown]
	s_or_b64 exec, exec, s[56:57]
	s_waitcnt lgkmcnt(2)
	ds_bpermute_b32 v28, v63, v24
	s_waitcnt lgkmcnt(2)
	ds_bpermute_b32 v29, v63, v25
	ds_bpermute_b32 v68, v63, v68
	v_cmp_le_u32_e32 vcc, v64, v67
	s_and_saveexec_b64 s[56:57], vcc
	s_cbranch_execz .LBB149_129
; %bb.148:                              ;   in Loop: Header=BB149_130 Depth=1
	s_waitcnt lgkmcnt(1)
	v_cmp_gt_i64_e32 vcc, v[24:25], v[28:29]
	s_andn2_b64 s[52:53], s[52:53], exec
	s_nop 0
	v_cndmask_b32_e32 v28, v28, v24, vcc
	v_cndmask_b32_e32 v29, v29, v25, vcc
	v_cmp_eq_u16_sdwa vcc, v66, v9 src0_sel:BYTE_0 src1_sel:DWORD
	s_nop 1
	v_cndmask_b32_e32 v24, v24, v28, vcc
	v_and_b32_e32 v28, 1, v66
	v_cndmask_b32_e32 v25, v25, v29, vcc
	v_cmp_eq_u32_e32 vcc, 1, v28
	s_waitcnt lgkmcnt(0)
	v_and_b32_e32 v28, 1, v68
	v_cmp_eq_u32_e64 s[0:1], 1, v28
	s_or_b64 s[0:1], vcc, s[0:1]
	s_and_b64 s[0:1], s[0:1], exec
	s_or_b64 s[52:53], s[52:53], s[0:1]
	s_branch .LBB149_129
.LBB149_149:                            ;   in Loop: Header=BB149_130 Depth=1
                                        ; implicit-def: $vgpr29
                                        ; implicit-def: $vgpr24_vgpr25
                                        ; implicit-def: $vgpr51
	s_cbranch_execz .LBB149_130
; %bb.150:
	s_and_saveexec_b64 s[0:1], s[34:35]
	s_cbranch_execz .LBB149_152
; %bb.151:
	s_mov_b32 s41, 0
	s_add_i32 s40, s47, 64
	v_mov_b32_e32 v8, 0
	v_cmp_gt_i64_e32 vcc, v[48:49], v[20:21]
	s_lshl_b64 s[52:53], s[40:41], 4
	v_and_b32_e32 v13, 1, v50
	v_cndmask_b32_e32 v9, v20, v48, vcc
	v_cndmask_b32_e32 v12, v21, v49, vcc
	v_cmp_eq_u32_sdwa vcc, v50, v8 src0_sel:BYTE_0 src1_sel:DWORD
	s_add_u32 s52, s42, s52
	v_and_b32_e32 v24, 1, v62
	v_cndmask_b32_e32 v12, v49, v12, vcc
	v_cndmask_b32_e32 v9, v48, v9, vcc
	v_cmp_eq_u32_e32 vcc, 1, v13
	s_addc_u32 s53, s43, s53
	s_nop 0
	v_cndmask_b32_e64 v13, v24, 1, vcc
	global_store_dword v8, v9, s[52:53] sc1
	global_store_dword v8, v12, s[52:53] offset:4 sc1
	global_store_dword v8, v13, s[52:53] offset:8 sc1
	;; [unrolled: 1-line block ×3, first 2 shown]
	v_mov_b32_e32 v8, s40
	v_mov_b32_e32 v9, 2
	s_waitcnt vmcnt(0) lgkmcnt(0)
	global_store_byte v8, v9, s[44:45] sc1
.LBB149_152:
	s_or_b64 exec, exec, s[0:1]
	s_and_b64 exec, exec, s[36:37]
	s_cbranch_execz .LBB149_154
; %bb.153:
	v_mov_b32_e32 v8, 0
	ds_write_b64 v8, v[20:21] offset:48
	ds_write_b8 v8, v62 offset:56
.LBB149_154:
	s_or_b64 exec, exec, s[50:51]
	s_waitcnt lgkmcnt(0)
	v_cndmask_b32_e64 v12, v45, v37, s[34:35]
	v_mov_b32_e32 v13, 0
	v_and_b32_e32 v20, 1, v1
	v_and_b32_e32 v12, 1, v12
	v_cndmask_b32_e64 v5, v44, v5, s[34:35]
	v_cndmask_b32_e64 v4, v41, v4, s[34:35]
	s_barrier
	ds_read_b64 v[8:9], v13 offset:48
	v_cmp_eq_u32_e32 vcc, 1, v20
	v_cmp_eq_u32_e64 s[0:1], 1, v12
	s_or_b64 s[0:1], vcc, s[0:1]
	v_cmp_gt_i64_e32 vcc, v[2:3], v[4:5]
	v_cndmask_b32_e64 v12, 0, 1, s[0:1]
	v_cndmask_b32_e64 v12, v12, v1, s[36:37]
	v_cndmask_b32_e32 v5, v5, v3, vcc
	v_cndmask_b32_e32 v4, v4, v2, vcc
	v_cmp_eq_u16_sdwa vcc, v1, v13 src0_sel:BYTE_0 src1_sel:DWORD
	s_nop 1
	v_cndmask_b32_e32 v4, v2, v4, vcc
	v_cndmask_b32_e32 v5, v3, v5, vcc
	v_cndmask_b32_e64 v5, v5, v3, s[36:37]
	v_cndmask_b32_e64 v4, v4, v2, s[36:37]
	s_waitcnt lgkmcnt(0)
	v_cmp_gt_i64_e32 vcc, v[4:5], v[8:9]
	s_nop 1
	v_cndmask_b32_e32 v8, v8, v4, vcc
	v_cndmask_b32_e32 v9, v9, v5, vcc
	v_cmp_eq_u16_sdwa vcc, v12, v13 src0_sel:BYTE_0 src1_sel:DWORD
	s_nop 1
	v_cndmask_b32_e32 v49, v5, v9, vcc
	v_cndmask_b32_e32 v48, v4, v8, vcc
	v_cmp_gt_i64_e32 vcc, v[14:15], v[48:49]
	s_nop 1
	v_cndmask_b32_e32 v4, v48, v14, vcc
	v_cndmask_b32_e32 v5, v49, v15, vcc
	v_cndmask_b32_e64 v51, v15, v5, s[6:7]
	v_cndmask_b32_e64 v50, v14, v4, s[6:7]
	v_cmp_gt_i64_e32 vcc, v[6:7], v[50:51]
	s_nop 1
	v_cndmask_b32_e32 v4, v50, v6, vcc
	v_cndmask_b32_e32 v5, v51, v7, vcc
	v_cndmask_b32_e64 v53, v7, v5, s[8:9]
	v_cndmask_b32_e64 v52, v6, v4, s[8:9]
	;; [unrolled: 6-line block ×13, first 2 shown]
	s_branch .LBB149_197
.LBB149_155:
	s_or_b64 exec, exec, s[0:1]
                                        ; implicit-def: $vgpr6_vgpr7
	s_and_saveexec_b64 s[0:1], s[6:7]
	s_cbranch_execz .LBB149_37
.LBB149_156:
	v_lshlrev_b32_e32 v1, 3, v1
	v_mov_b32_e32 v7, s57
	v_sub_co_u32_e32 v6, vcc, s56, v1
	s_nop 1
	v_subbrev_co_u32_e32 v7, vcc, 0, v7, vcc
	flat_load_dwordx2 v[6:7], v[6:7]
	s_or_b64 exec, exec, s[0:1]
                                        ; implicit-def: $vgpr8_vgpr9
	s_and_saveexec_b64 s[0:1], s[8:9]
	s_cbranch_execnz .LBB149_38
.LBB149_157:
	s_or_b64 exec, exec, s[0:1]
                                        ; implicit-def: $vgpr10_vgpr11
	s_and_saveexec_b64 s[0:1], s[10:11]
	s_cbranch_execz .LBB149_39
.LBB149_158:
	v_lshlrev_b32_e32 v1, 3, v31
	v_mov_b32_e32 v11, s57
	v_sub_co_u32_e32 v10, vcc, s56, v1
	s_nop 1
	v_subbrev_co_u32_e32 v11, vcc, 0, v11, vcc
	flat_load_dwordx2 v[10:11], v[10:11]
	s_or_b64 exec, exec, s[0:1]
                                        ; implicit-def: $vgpr12_vgpr13
	s_and_saveexec_b64 s[0:1], s[12:13]
	s_cbranch_execnz .LBB149_40
.LBB149_159:
	s_or_b64 exec, exec, s[0:1]
                                        ; implicit-def: $vgpr14_vgpr15
	s_and_saveexec_b64 s[0:1], s[14:15]
	s_cbranch_execz .LBB149_41
.LBB149_160:
	v_lshlrev_b32_e32 v1, 3, v33
	v_mov_b32_e32 v15, s57
	v_sub_co_u32_e32 v14, vcc, s56, v1
	s_nop 1
	v_subbrev_co_u32_e32 v15, vcc, 0, v15, vcc
	flat_load_dwordx2 v[14:15], v[14:15]
	s_or_b64 exec, exec, s[0:1]
                                        ; implicit-def: $vgpr16_vgpr17
	s_and_saveexec_b64 s[0:1], s[16:17]
	s_cbranch_execnz .LBB149_42
.LBB149_161:
	s_or_b64 exec, exec, s[0:1]
                                        ; implicit-def: $vgpr18_vgpr19
	s_and_saveexec_b64 s[0:1], s[18:19]
	s_cbranch_execz .LBB149_43
.LBB149_162:
	v_lshlrev_b32_e32 v1, 3, v35
	v_mov_b32_e32 v19, s57
	v_sub_co_u32_e32 v18, vcc, s56, v1
	s_nop 1
	v_subbrev_co_u32_e32 v19, vcc, 0, v19, vcc
	flat_load_dwordx2 v[18:19], v[18:19]
	s_or_b64 exec, exec, s[0:1]
                                        ; implicit-def: $vgpr20_vgpr21
	s_and_saveexec_b64 s[0:1], s[20:21]
	s_cbranch_execnz .LBB149_44
.LBB149_163:
	s_or_b64 exec, exec, s[0:1]
                                        ; implicit-def: $vgpr22_vgpr23
	s_and_saveexec_b64 s[0:1], s[22:23]
	s_cbranch_execz .LBB149_45
.LBB149_164:
	v_lshlrev_b32_e32 v1, 3, v38
	v_mov_b32_e32 v23, s57
	v_sub_co_u32_e32 v22, vcc, s56, v1
	s_nop 1
	v_subbrev_co_u32_e32 v23, vcc, 0, v23, vcc
	flat_load_dwordx2 v[22:23], v[22:23]
	s_or_b64 exec, exec, s[0:1]
                                        ; implicit-def: $vgpr24_vgpr25
	s_and_saveexec_b64 s[0:1], s[24:25]
	s_cbranch_execnz .LBB149_46
.LBB149_165:
	s_or_b64 exec, exec, s[0:1]
                                        ; implicit-def: $vgpr26_vgpr27
	s_and_saveexec_b64 s[0:1], s[26:27]
	s_cbranch_execz .LBB149_47
.LBB149_166:
	v_lshlrev_b32_e32 v1, 3, v40
	v_mov_b32_e32 v27, s57
	v_sub_co_u32_e32 v26, vcc, s56, v1
	s_nop 1
	v_subbrev_co_u32_e32 v27, vcc, 0, v27, vcc
	flat_load_dwordx2 v[26:27], v[26:27]
	s_or_b64 exec, exec, s[0:1]
                                        ; implicit-def: $vgpr28_vgpr29
	s_and_saveexec_b64 s[0:1], s[28:29]
	s_cbranch_execz .LBB149_49
	s_branch .LBB149_48
.LBB149_167:
                                        ; implicit-def: $vgpr74_vgpr75
                                        ; implicit-def: $vgpr70_vgpr71
                                        ; implicit-def: $vgpr66_vgpr67
                                        ; implicit-def: $vgpr62_vgpr63
                                        ; implicit-def: $vgpr58_vgpr59
                                        ; implicit-def: $vgpr54_vgpr55
                                        ; implicit-def: $vgpr50_vgpr51
	s_cbranch_execz .LBB149_197
; %bb.168:
	s_cmp_lg_u64 s[64:65], 0
	s_cselect_b32 s7, s59, 0
	s_cselect_b32 s6, s58, 0
	s_cmp_lg_u64 s[6:7], 0
	s_cselect_b64 s[0:1], -1, 0
	s_and_b64 s[8:9], s[36:37], s[0:1]
	s_and_saveexec_b64 s[0:1], s[8:9]
	s_cbranch_execz .LBB149_170
; %bb.169:
	v_mov_b32_e32 v8, 0
	global_load_dwordx2 v[4:5], v8, s[6:7]
	global_load_ubyte v9, v8, s[6:7] offset:8
	s_waitcnt vmcnt(1)
	v_cmp_gt_i64_e32 vcc, v[2:3], v[4:5]
	s_nop 1
	v_cndmask_b32_e32 v4, v4, v2, vcc
	s_waitcnt vmcnt(0)
	v_or_b32_e32 v9, v1, v9
	v_cndmask_b32_e32 v5, v5, v3, vcc
	v_cmp_eq_u16_sdwa vcc, v1, v8 src0_sel:BYTE_0 src1_sel:DWORD
	v_and_b32_e32 v1, 1, v9
	s_nop 0
	v_cndmask_b32_e32 v3, v3, v5, vcc
	v_cndmask_b32_e32 v2, v2, v4, vcc
.LBB149_170:
	s_or_b64 exec, exec, s[0:1]
	v_mov_b32_e32 v5, 0
	v_cmp_gt_i64_e32 vcc, v[14:15], v[2:3]
	v_cmp_eq_u16_sdwa s[6:7], v81, v5 src0_sel:BYTE_0 src1_sel:DWORD
	v_cmp_eq_u16_sdwa s[8:9], v83, v5 src0_sel:BYTE_0 src1_sel:DWORD
	v_cndmask_b32_e32 v8, v2, v14, vcc
	v_cndmask_b32_e32 v9, v3, v15, vcc
	v_cmp_eq_u16_sdwa vcc, v82, v5 src0_sel:BYTE_0 src1_sel:DWORD
	v_cmp_eq_u16_sdwa s[10:11], v84, v5 src0_sel:BYTE_0 src1_sel:DWORD
	v_cmp_eq_u16_sdwa s[12:13], v85, v5 src0_sel:BYTE_0 src1_sel:DWORD
	v_cndmask_b32_e32 v51, v15, v9, vcc
	v_cndmask_b32_e32 v50, v14, v8, vcc
	v_cmp_gt_i64_e64 s[0:1], v[6:7], v[50:51]
	v_cmp_eq_u16_sdwa s[14:15], v86, v5 src0_sel:BYTE_0 src1_sel:DWORD
	v_cmp_eq_u16_sdwa s[16:17], v87, v5 src0_sel:BYTE_0 src1_sel:DWORD
	v_cndmask_b32_e64 v8, v50, v6, s[0:1]
	v_cndmask_b32_e64 v9, v51, v7, s[0:1]
	v_cndmask_b32_e64 v53, v7, v9, s[6:7]
	v_cndmask_b32_e64 v52, v6, v8, s[6:7]
	v_cmp_gt_i64_e64 s[0:1], v[22:23], v[52:53]
	v_cmp_eq_u16_sdwa s[18:19], v88, v5 src0_sel:BYTE_0 src1_sel:DWORD
	v_cmp_eq_u16_sdwa s[20:21], v89, v5 src0_sel:BYTE_0 src1_sel:DWORD
	v_cndmask_b32_e64 v8, v52, v22, s[0:1]
	v_cndmask_b32_e64 v9, v53, v23, s[0:1]
	v_cndmask_b32_e64 v55, v23, v9, s[8:9]
	v_cndmask_b32_e64 v54, v22, v8, s[8:9]
	;; [unrolled: 7-line block ×4, first 2 shown]
	v_cmp_gt_i64_e64 s[0:1], v[18:19], v[58:59]
	v_or_b32_e32 v5, v36, v90
	v_or_b32_e32 v5, v5, v89
	v_cndmask_b32_e64 v8, v58, v18, s[0:1]
	v_cndmask_b32_e64 v9, v59, v19, s[0:1]
	v_cndmask_b32_e64 v61, v19, v9, s[14:15]
	v_cndmask_b32_e64 v60, v18, v8, s[14:15]
	v_cmp_gt_i64_e64 s[0:1], v[38:39], v[60:61]
	v_or_b32_e32 v5, v5, v88
	v_or_b32_e32 v5, v5, v87
	v_cndmask_b32_e64 v8, v60, v38, s[0:1]
	v_cndmask_b32_e64 v9, v61, v39, s[0:1]
	v_cndmask_b32_e64 v63, v39, v9, s[16:17]
	v_cndmask_b32_e64 v62, v38, v8, s[16:17]
	v_cmp_gt_i64_e64 s[0:1], v[26:27], v[62:63]
	v_or_b32_e32 v5, v5, v86
	v_or_b32_e32 v5, v5, v85
	v_cndmask_b32_e64 v8, v62, v26, s[0:1]
	v_cndmask_b32_e64 v9, v63, v27, s[0:1]
	v_cndmask_b32_e64 v65, v27, v9, s[18:19]
	v_cndmask_b32_e64 v64, v26, v8, s[18:19]
	v_cmp_gt_i64_e64 s[0:1], v[42:43], v[64:65]
	v_or_b32_e32 v5, v5, v84
	v_or_b32_e32 v5, v5, v83
	v_cndmask_b32_e64 v8, v64, v42, s[0:1]
	v_cndmask_b32_e64 v9, v65, v43, s[0:1]
	v_cndmask_b32_e64 v67, v43, v9, s[20:21]
	v_cndmask_b32_e64 v66, v42, v8, s[20:21]
	v_cmp_gt_i64_e64 s[0:1], v[34:35], v[66:67]
	v_or_b32_e32 v5, v5, v81
	v_or_b32_e32 v5, v5, v82
	v_cndmask_b32_e64 v8, v66, v34, s[0:1]
	v_cndmask_b32_e64 v9, v67, v35, s[0:1]
	v_cndmask_b32_e64 v69, v35, v9, s[22:23]
	v_cndmask_b32_e64 v68, v34, v8, s[22:23]
	v_cmp_gt_i64_e64 s[0:1], v[46:47], v[68:69]
	v_and_b32_e32 v5, 1, v5
	v_and_b32_e32 v4, 0xff, v1
	v_cndmask_b32_e64 v8, v68, v46, s[0:1]
	v_cndmask_b32_e64 v9, v69, v47, s[0:1]
	;; [unrolled: 1-line block ×4, first 2 shown]
	v_cmp_gt_i64_e64 s[0:1], v[78:79], v[70:71]
	v_mbcnt_hi_u32_b32 v20, -1, v33
	v_and_b32_e32 v24, 15, v20
	v_cndmask_b32_e64 v8, v70, v78, s[0:1]
	v_cndmask_b32_e64 v9, v71, v79, s[0:1]
	;; [unrolled: 1-line block ×4, first 2 shown]
	v_cmp_gt_i64_e64 s[0:1], v[16:17], v[72:73]
	s_nop 1
	v_cndmask_b32_e64 v8, v72, v16, s[0:1]
	v_cndmask_b32_e64 v9, v73, v17, s[0:1]
	v_cmp_eq_u32_e64 s[0:1], 1, v5
	v_cndmask_b32_e64 v75, v17, v9, s[28:29]
	v_cndmask_b32_e64 v74, v16, v8, s[28:29]
	;; [unrolled: 1-line block ×3, first 2 shown]
	v_mov_b32_dpp v13, v75 row_shr:1 row_mask:0xf bank_mask:0xf
	v_mov_b32_dpp v12, v74 row_shr:1 row_mask:0xf bank_mask:0xf
	;; [unrolled: 1-line block ×3, first 2 shown]
	v_cmp_ne_u32_e64 s[0:1], 0, v24
	v_mov_b64_e32 v[4:5], v[74:75]
	v_mov_b32_e32 v9, v75
	v_mov_b32_e32 v8, v74
	s_and_saveexec_b64 s[30:31], s[0:1]
; %bb.171:
	v_cmp_gt_i64_e64 s[0:1], v[74:75], v[12:13]
	s_nop 1
	v_cndmask_b32_e64 v4, v12, v74, s[0:1]
	v_cndmask_b32_e64 v5, v13, v75, s[0:1]
	v_cmp_eq_u32_e64 s[0:1], 0, v21
	v_and_or_b32 v21, v25, 1, v21
	s_nop 0
	v_cndmask_b32_e64 v5, v75, v5, s[0:1]
	v_cndmask_b32_e64 v4, v74, v4, s[0:1]
	v_mov_b32_e32 v9, v5
	v_mov_b32_e32 v8, v4
; %bb.172:
	s_or_b64 exec, exec, s[30:31]
	s_nop 0
	v_mov_b32_dpp v12, v8 row_shr:2 row_mask:0xf bank_mask:0xf
	v_mov_b32_dpp v13, v9 row_shr:2 row_mask:0xf bank_mask:0xf
	v_mov_b32_dpp v25, v21 row_shr:2 row_mask:0xf bank_mask:0xf
	v_cmp_lt_u32_e64 s[0:1], 1, v24
	s_and_saveexec_b64 s[30:31], s[0:1]
; %bb.173:
	v_cmp_gt_i64_e64 s[0:1], v[4:5], v[12:13]
	s_nop 1
	v_cndmask_b32_e64 v8, v12, v4, s[0:1]
	v_cndmask_b32_e64 v9, v13, v5, s[0:1]
	v_cmp_eq_u32_e64 s[0:1], 0, v21
	s_nop 1
	v_cndmask_b32_e64 v9, v5, v9, s[0:1]
	v_cndmask_b32_e64 v8, v4, v8, s[0:1]
	v_or_b32_e32 v4, v25, v21
	v_and_b32_e32 v21, 1, v4
	v_mov_b64_e32 v[4:5], v[8:9]
; %bb.174:
	s_or_b64 exec, exec, s[30:31]
	v_mov_b32_dpp v12, v8 row_shr:4 row_mask:0xf bank_mask:0xf
	v_mov_b32_dpp v13, v9 row_shr:4 row_mask:0xf bank_mask:0xf
	v_mov_b32_dpp v25, v21 row_shr:4 row_mask:0xf bank_mask:0xf
	v_cmp_lt_u32_e64 s[0:1], 3, v24
	s_and_saveexec_b64 s[30:31], s[0:1]
; %bb.175:
	v_cmp_gt_i64_e64 s[0:1], v[4:5], v[12:13]
	s_nop 1
	v_cndmask_b32_e64 v8, v12, v4, s[0:1]
	v_cndmask_b32_e64 v9, v13, v5, s[0:1]
	v_cmp_eq_u32_e64 s[0:1], 0, v21
	s_nop 1
	v_cndmask_b32_e64 v9, v5, v9, s[0:1]
	v_cndmask_b32_e64 v8, v4, v8, s[0:1]
	v_or_b32_e32 v4, v25, v21
	v_and_b32_e32 v21, 1, v4
	v_mov_b64_e32 v[4:5], v[8:9]
; %bb.176:
	s_or_b64 exec, exec, s[30:31]
	;; [unrolled: 19-line block ×3, first 2 shown]
	v_and_b32_e32 v25, 16, v20
	v_mov_b32_dpp v12, v8 row_bcast:15 row_mask:0xf bank_mask:0xf
	v_mov_b32_dpp v13, v9 row_bcast:15 row_mask:0xf bank_mask:0xf
	;; [unrolled: 1-line block ×3, first 2 shown]
	v_cmp_ne_u32_e64 s[0:1], 0, v25
	s_and_saveexec_b64 s[30:31], s[0:1]
; %bb.179:
	v_cmp_gt_i64_e64 s[0:1], v[4:5], v[12:13]
	s_nop 1
	v_cndmask_b32_e64 v8, v12, v4, s[0:1]
	v_cndmask_b32_e64 v9, v13, v5, s[0:1]
	v_cmp_eq_u32_e64 s[0:1], 0, v21
	s_nop 1
	v_cndmask_b32_e64 v5, v5, v9, s[0:1]
	v_cndmask_b32_e64 v4, v4, v8, s[0:1]
	v_or_b32_e32 v8, v24, v21
	v_and_b32_e32 v21, 1, v8
	v_mov_b32_e32 v9, v5
	v_mov_b32_e32 v8, v4
; %bb.180:
	s_or_b64 exec, exec, s[30:31]
	s_nop 0
	v_mov_b32_dpp v8, v8 row_bcast:31 row_mask:0xf bank_mask:0xf
	v_mov_b32_dpp v9, v9 row_bcast:31 row_mask:0xf bank_mask:0xf
	;; [unrolled: 1-line block ×3, first 2 shown]
	v_cmp_lt_u32_e64 s[0:1], 31, v20
	v_mov_b32_e32 v12, v21
	s_and_saveexec_b64 s[30:31], s[0:1]
; %bb.181:
	v_cmp_gt_i64_e64 s[0:1], v[4:5], v[8:9]
	s_nop 1
	v_cndmask_b32_e64 v8, v8, v4, s[0:1]
	v_cndmask_b32_e64 v9, v9, v5, s[0:1]
	v_cmp_eq_u32_e64 s[0:1], 0, v21
	s_nop 1
	v_cndmask_b32_e64 v4, v4, v8, s[0:1]
	v_or_b32_e32 v8, v13, v21
	v_cndmask_b32_e64 v5, v5, v9, s[0:1]
	v_and_b32_e32 v12, 1, v8
	v_and_b32_e32 v21, 1, v8
; %bb.182:
	s_or_b64 exec, exec, s[30:31]
	v_or_b32_e32 v8, 63, v0
	v_lshrrev_b32_e32 v24, 6, v0
	v_cmp_eq_u32_e64 s[0:1], v8, v0
	s_and_saveexec_b64 s[30:31], s[0:1]
	s_cbranch_execz .LBB149_184
; %bb.183:
	v_lshlrev_b32_e32 v8, 4, v24
	ds_write_b64 v8, v[4:5]
	ds_write_b8 v8, v12 offset:8
.LBB149_184:
	s_or_b64 exec, exec, s[30:31]
	v_cmp_gt_u32_e64 s[0:1], 4, v0
	s_waitcnt lgkmcnt(0)
	s_barrier
	s_and_saveexec_b64 s[34:35], s[0:1]
	s_cbranch_execz .LBB149_190
; %bb.185:
	v_lshlrev_b32_e32 v25, 4, v0
	ds_read_b64 v[8:9], v25
	ds_read_b32 v28, v25 offset:8
	v_and_b32_e32 v29, 3, v20
	v_cmp_ne_u32_e64 s[0:1], 0, v29
	s_waitcnt lgkmcnt(1)
	v_mov_b32_dpp v12, v8 row_shr:1 row_mask:0xf bank_mask:0xf
	v_mov_b32_dpp v13, v9 row_shr:1 row_mask:0xf bank_mask:0xf
	s_waitcnt lgkmcnt(0)
	v_mov_b32_dpp v36, v28 row_shr:1 row_mask:0xf bank_mask:0xf
	v_mov_b32_e32 v33, v28
	v_mov_b32_e32 v32, v28
	s_and_saveexec_b64 s[30:31], s[0:1]
	s_cbranch_execz .LBB149_187
; %bb.186:
	v_mov_b32_e32 v32, 0
	v_cmp_gt_i64_e64 s[0:1], v[8:9], v[12:13]
	s_nop 1
	v_cndmask_b32_e64 v12, v12, v8, s[0:1]
	v_cndmask_b32_e64 v13, v13, v9, s[0:1]
	v_cmp_eq_u16_sdwa s[0:1], v28, v32 src0_sel:BYTE_0 src1_sel:DWORD
	s_nop 1
	v_cndmask_b32_e64 v8, v8, v12, s[0:1]
	v_or_b32_e32 v12, v36, v28
	v_cndmask_b32_e64 v9, v9, v13, s[0:1]
	v_and_b32_e32 v32, 1, v12
	s_movk_i32 s0, 0xff00
	v_and_b32_e32 v33, 1, v12
	v_and_or_b32 v28, v28, s0, v32
.LBB149_187:
	s_or_b64 exec, exec, s[30:31]
	v_mov_b32_dpp v12, v8 row_shr:2 row_mask:0xf bank_mask:0xf
	v_mov_b32_dpp v13, v9 row_shr:2 row_mask:0xf bank_mask:0xf
	v_mov_b32_dpp v28, v28 row_shr:2 row_mask:0xf bank_mask:0xf
	v_cmp_lt_u32_e64 s[0:1], 1, v29
	s_and_saveexec_b64 s[40:41], s[0:1]
	s_cbranch_execz .LBB149_189
; %bb.188:
	v_mov_b32_e32 v29, 0
	v_cmp_gt_i64_e64 s[0:1], v[8:9], v[12:13]
	s_nop 1
	v_cndmask_b32_e64 v12, v12, v8, s[0:1]
	v_cndmask_b32_e64 v13, v13, v9, s[0:1]
	v_cmp_eq_u16_sdwa s[0:1], v32, v29 src0_sel:BYTE_0 src1_sel:DWORD
	s_nop 1
	v_cndmask_b32_e64 v8, v8, v12, s[0:1]
	v_and_b32_e32 v12, 1, v32
	v_cndmask_b32_e64 v9, v9, v13, s[0:1]
	v_cmp_eq_u32_e64 s[0:1], 1, v12
	v_and_b32_e32 v12, 1, v28
	v_cmp_eq_u32_e64 s[30:31], 1, v12
	s_or_b64 s[0:1], s[0:1], s[30:31]
	v_cndmask_b32_e64 v33, 0, 1, s[0:1]
.LBB149_189:
	s_or_b64 exec, exec, s[40:41]
	ds_write_b64 v25, v[8:9]
	ds_write_b8 v25, v33 offset:8
.LBB149_190:
	s_or_b64 exec, exec, s[34:35]
	v_cmp_lt_u32_e64 s[0:1], 63, v0
	v_mov_b64_e32 v[8:9], 0
	s_waitcnt lgkmcnt(0)
	s_barrier
	s_and_saveexec_b64 s[30:31], s[0:1]
	s_cbranch_execz .LBB149_192
; %bb.191:
	v_lshl_add_u32 v8, v24, 4, -16
	ds_read_b64 v[8:9], v8
	s_waitcnt lgkmcnt(0)
	v_cmp_gt_i64_e64 s[0:1], v[4:5], v[8:9]
	s_nop 1
	v_cndmask_b32_e64 v12, v8, v4, s[0:1]
	v_cndmask_b32_e64 v13, v9, v5, s[0:1]
	v_cmp_eq_u32_e64 s[0:1], 0, v21
	s_nop 1
	v_cndmask_b32_e64 v5, v5, v13, s[0:1]
	v_cndmask_b32_e64 v4, v4, v12, s[0:1]
.LBB149_192:
	s_or_b64 exec, exec, s[30:31]
	v_add_u32_e32 v12, -1, v20
	v_and_b32_e32 v13, 64, v20
	v_cmp_lt_i32_e64 s[0:1], v12, v13
	s_nop 1
	v_cndmask_b32_e64 v12, v12, v20, s[0:1]
	v_lshlrev_b32_e32 v12, 2, v12
	ds_bpermute_b32 v4, v12, v4
	ds_bpermute_b32 v5, v12, v5
	s_and_saveexec_b64 s[30:31], s[4:5]
	s_cbranch_execz .LBB149_194
; %bb.193:
	v_cmp_eq_u32_e64 s[0:1], 0, v20
	;;#ASMSTART
	;;#ASMEND
	s_waitcnt lgkmcnt(0)
	s_nop 0
	v_cndmask_b32_e64 v5, v5, v9, s[0:1]
	v_cndmask_b32_e64 v4, v4, v8, s[0:1]
	v_mov_b32_e32 v8, 0
	v_cmp_gt_i64_e64 s[0:1], v[2:3], v[4:5]
	s_nop 1
	v_cndmask_b32_e64 v4, v4, v2, s[0:1]
	v_cndmask_b32_e64 v5, v5, v3, s[0:1]
	v_cmp_eq_u16_sdwa s[0:1], v1, v8 src0_sel:BYTE_0 src1_sel:DWORD
	s_nop 1
	v_cndmask_b32_e64 v3, v3, v5, s[0:1]
	v_cndmask_b32_e64 v2, v2, v4, s[0:1]
	v_cmp_gt_i64_e64 s[0:1], v[14:15], v[2:3]
	s_nop 1
	v_cndmask_b32_e64 v1, v2, v14, s[0:1]
	v_cndmask_b32_e64 v4, v3, v15, s[0:1]
	v_cndmask_b32_e32 v51, v15, v4, vcc
	v_cndmask_b32_e32 v50, v14, v1, vcc
	v_cmp_gt_i64_e32 vcc, v[6:7], v[50:51]
	s_nop 1
	v_cndmask_b32_e32 v1, v50, v6, vcc
	v_cndmask_b32_e32 v4, v51, v7, vcc
	v_cndmask_b32_e64 v53, v7, v4, s[6:7]
	v_cndmask_b32_e64 v52, v6, v1, s[6:7]
	v_cmp_gt_i64_e32 vcc, v[22:23], v[52:53]
	s_nop 1
	v_cndmask_b32_e32 v1, v52, v22, vcc
	v_cndmask_b32_e32 v4, v53, v23, vcc
	v_cndmask_b32_e64 v55, v23, v4, s[8:9]
	v_cndmask_b32_e64 v54, v22, v1, s[8:9]
	;; [unrolled: 6-line block ×12, first 2 shown]
.LBB149_194:
	s_or_b64 exec, exec, s[30:31]
	s_and_saveexec_b64 s[0:1], s[36:37]
	s_cbranch_execz .LBB149_196
; %bb.195:
	v_mov_b32_e32 v1, 0
	s_waitcnt lgkmcnt(0)
	ds_read_b64 v[4:5], v1 offset:48
	ds_read_u8 v6, v1 offset:56
	s_waitcnt lgkmcnt(1)
	global_store_dword v1, v4, s[42:43] offset:1024 sc1
	global_store_dword v1, v5, s[42:43] offset:1028 sc1
	s_waitcnt lgkmcnt(0)
	global_store_dword v1, v6, s[42:43] offset:1032 sc1
	global_store_dword v1, v1, s[42:43] offset:1036 sc1
	v_mov_b32_e32 v4, 2
	s_waitcnt vmcnt(0)
	global_store_byte v1, v4, s[44:45] offset:64 sc1
.LBB149_196:
	s_or_b64 exec, exec, s[0:1]
	v_mov_b64_e32 v[48:49], v[2:3]
.LBB149_197:
	s_lshl_b64 s[0:1], s[38:39], 3
	s_add_u32 s4, s54, s0
	s_addc_u32 s5, s55, s1
	s_lshl_b64 s[0:1], s[48:49], 3
	s_add_u32 s0, s4, s0
	v_mul_u32_u24_e32 v1, 14, v0
	s_addc_u32 s1, s5, s1
	s_and_b64 vcc, exec, s[2:3]
	v_lshlrev_b32_e32 v1, 3, v1
	s_cbranch_vccz .LBB149_225
; %bb.198:
	s_movk_i32 s2, 0xff98
	v_mad_i32_i24 v2, v0, s2, v1
	s_waitcnt lgkmcnt(0)
	s_barrier
	ds_write_b128 v1, v[48:51]
	ds_write_b128 v1, v[52:55] offset:16
	ds_write_b128 v1, v[56:59] offset:32
	;; [unrolled: 1-line block ×6, first 2 shown]
	s_waitcnt lgkmcnt(0)
	s_barrier
	ds_read2st64_b64 v[26:29], v2 offset0:4 offset1:8
	ds_read2st64_b64 v[22:25], v2 offset0:12 offset1:16
	;; [unrolled: 1-line block ×6, first 2 shown]
	ds_read_b64 v[4:5], v2 offset:26624
	v_mov_b32_e32 v2, s1
	v_sub_co_u32_e32 v3, vcc, s0, v40
	s_add_i32 s33, s33, s46
	s_nop 0
	v_subbrev_co_u32_e32 v2, vcc, 0, v2, vcc
	v_cmp_gt_u32_e32 vcc, s33, v0
	s_and_saveexec_b64 s[2:3], vcc
	s_cbranch_execz .LBB149_200
; %bb.199:
	v_mul_i32_i24_e32 v30, 0xffffff98, v0
	v_add_u32_e32 v30, v1, v30
	ds_read_b64 v[30:31], v30
	v_add_co_u32_e32 v32, vcc, -8, v3
	s_nop 1
	v_addc_co_u32_e32 v33, vcc, -1, v2, vcc
	s_waitcnt lgkmcnt(0)
	flat_store_dwordx2 v[32:33], v[30:31]
.LBB149_200:
	s_or_b64 exec, exec, s[2:3]
	v_or_b32_e32 v30, 0x100, v0
	v_cmp_gt_u32_e32 vcc, s33, v30
	s_and_saveexec_b64 s[2:3], vcc
	s_cbranch_execz .LBB149_202
; %bb.201:
	v_add_co_u32_e32 v30, vcc, 0xfffff7f8, v3
	s_nop 1
	v_addc_co_u32_e32 v31, vcc, -1, v2, vcc
	s_waitcnt lgkmcnt(0)
	flat_store_dwordx2 v[30:31], v[26:27]
.LBB149_202:
	s_or_b64 exec, exec, s[2:3]
	s_waitcnt lgkmcnt(0)
	v_or_b32_e32 v26, 0x200, v0
	v_cmp_gt_u32_e32 vcc, s33, v26
	s_and_saveexec_b64 s[2:3], vcc
	s_cbranch_execz .LBB149_204
; %bb.203:
	v_add_co_u32_e32 v26, vcc, 0xffffeff8, v3
	s_nop 1
	v_addc_co_u32_e32 v27, vcc, -1, v2, vcc
	flat_store_dwordx2 v[26:27], v[28:29]
.LBB149_204:
	s_or_b64 exec, exec, s[2:3]
	v_or_b32_e32 v26, 0x300, v0
	v_cmp_gt_u32_e32 vcc, s33, v26
	s_and_saveexec_b64 s[2:3], vcc
	s_cbranch_execz .LBB149_206
; %bb.205:
	v_add_co_u32_e32 v26, vcc, 0xffffe7f8, v3
	s_nop 1
	v_addc_co_u32_e32 v27, vcc, -1, v2, vcc
	flat_store_dwordx2 v[26:27], v[22:23]
.LBB149_206:
	s_or_b64 exec, exec, s[2:3]
	;; [unrolled: 11-line block ×10, first 2 shown]
	v_sub_co_u32_e32 v6, vcc, 0, v0
	v_or_b32_e32 v10, 0xc00, v0
	s_nop 0
	v_subb_co_u32_e64 v7, s[2:3], 0, 0, vcc
	v_cmp_gt_u32_e32 vcc, s33, v10
	s_and_saveexec_b64 s[2:3], vcc
	s_cbranch_execz .LBB149_224
; %bb.223:
	v_add_co_u32_e32 v10, vcc, 0xffff9ff8, v3
	s_nop 1
	v_addc_co_u32_e32 v11, vcc, -1, v2, vcc
	flat_store_dwordx2 v[10:11], v[8:9]
.LBB149_224:
	s_or_b64 exec, exec, s[2:3]
	v_or_b32_e32 v2, 0xd00, v0
	v_cmp_gt_u32_e64 s[2:3], s33, v2
	s_branch .LBB149_227
.LBB149_225:
	s_mov_b64 s[2:3], 0
                                        ; implicit-def: $vgpr4_vgpr5
                                        ; implicit-def: $vgpr6_vgpr7
	s_cbranch_execz .LBB149_227
; %bb.226:
	s_movk_i32 s4, 0xff98
	v_sub_co_u32_e32 v6, vcc, 0, v0
	s_waitcnt lgkmcnt(0)
	s_barrier
	ds_write_b128 v1, v[48:51]
	ds_write_b128 v1, v[52:55] offset:16
	ds_write_b128 v1, v[56:59] offset:32
	;; [unrolled: 1-line block ×6, first 2 shown]
	v_mad_i32_i24 v1, v0, s4, v1
	v_subb_co_u32_e64 v7, s[4:5], 0, 0, vcc
	v_mov_b32_e32 v0, s1
	v_sub_co_u32_e32 v32, vcc, s0, v40
	s_movk_i32 s4, 0xf7f8
	s_nop 0
	v_subbrev_co_u32_e32 v33, vcc, 0, v0, vcc
	v_add_co_u32_e32 v0, vcc, s4, v32
	s_waitcnt lgkmcnt(0)
	s_barrier
	ds_read2st64_b64 v[8:11], v1 offset1:4
	ds_read2st64_b64 v[12:15], v1 offset0:8 offset1:12
	ds_read2st64_b64 v[16:19], v1 offset0:16 offset1:20
	;; [unrolled: 1-line block ×6, first 2 shown]
	v_addc_co_u32_e32 v1, vcc, -1, v33, vcc
	s_movk_i32 s4, 0xe7f8
	s_waitcnt lgkmcnt(0)
	flat_store_dwordx2 v[0:1], v[8:9] offset:2048
	flat_store_dwordx2 v[0:1], v[10:11]
	v_add_co_u32_e32 v0, vcc, s4, v32
	s_movk_i32 s4, 0xd7f8
	s_nop 0
	v_addc_co_u32_e32 v1, vcc, -1, v33, vcc
	flat_store_dwordx2 v[0:1], v[12:13] offset:2048
	flat_store_dwordx2 v[0:1], v[14:15]
	v_add_co_u32_e32 v0, vcc, s4, v32
	s_movk_i32 s4, 0xc7f8
	s_nop 0
	v_addc_co_u32_e32 v1, vcc, -1, v33, vcc
	;; [unrolled: 6-line block ×3, first 2 shown]
	flat_store_dwordx2 v[0:1], v[20:21] offset:2048
	flat_store_dwordx2 v[0:1], v[22:23]
	v_add_co_u32_e32 v0, vcc, s4, v32
	s_or_b64 s[2:3], s[2:3], exec
	s_nop 0
	v_addc_co_u32_e32 v1, vcc, -1, v33, vcc
	flat_store_dwordx2 v[0:1], v[24:25] offset:2048
	flat_store_dwordx2 v[0:1], v[26:27]
	v_add_co_u32_e32 v0, vcc, 0xffffaff8, v32
	s_nop 1
	v_addc_co_u32_e32 v1, vcc, -1, v33, vcc
	flat_store_dwordx2 v[0:1], v[28:29]
	v_add_co_u32_e32 v0, vcc, 0xffffa7f8, v32
	s_nop 1
	v_addc_co_u32_e32 v1, vcc, -1, v33, vcc
	;; [unrolled: 4-line block ×3, first 2 shown]
	flat_store_dwordx2 v[0:1], v[2:3]
.LBB149_227:
	s_and_saveexec_b64 s[4:5], s[2:3]
	s_cbranch_execz .LBB149_229
; %bb.228:
	v_lshl_add_u64 v[0:1], v[6:7], 3, s[0:1]
	v_add_co_u32_e32 v0, vcc, 0xffff97f8, v0
	s_nop 1
	v_addc_co_u32_e32 v1, vcc, -1, v1, vcc
	s_waitcnt lgkmcnt(0)
	flat_store_dwordx2 v[0:1], v[4:5]
	s_endpgm
.LBB149_229:
	s_endpgm
	.section	.rodata,"a",@progbits
	.p2align	6, 0x0
	.amdhsa_kernel _ZN7rocprim17ROCPRIM_400000_NS6detail17trampoline_kernelINS0_14default_configENS1_27scan_by_key_config_selectorIllEEZZNS1_16scan_by_key_implILNS1_25lookback_scan_determinismE0ELb0ES3_N6thrust23THRUST_200600_302600_NS16reverse_iteratorIPKlEESD_NSA_IPlEElN6hipcub16HIPCUB_304000_NS3MaxENSH_8EqualityElEE10hipError_tPvRmT2_T3_T4_T5_mT6_T7_P12ihipStream_tbENKUlT_T0_E_clISt17integral_constantIbLb1EES10_EEDaSV_SW_EUlSV_E_NS1_11comp_targetILNS1_3genE5ELNS1_11target_archE942ELNS1_3gpuE9ELNS1_3repE0EEENS1_30default_config_static_selectorELNS0_4arch9wavefront6targetE1EEEvT1_
		.amdhsa_group_segment_fixed_size 32768
		.amdhsa_private_segment_fixed_size 0
		.amdhsa_kernarg_size 136
		.amdhsa_user_sgpr_count 2
		.amdhsa_user_sgpr_dispatch_ptr 0
		.amdhsa_user_sgpr_queue_ptr 0
		.amdhsa_user_sgpr_kernarg_segment_ptr 1
		.amdhsa_user_sgpr_dispatch_id 0
		.amdhsa_user_sgpr_kernarg_preload_length 0
		.amdhsa_user_sgpr_kernarg_preload_offset 0
		.amdhsa_user_sgpr_private_segment_size 0
		.amdhsa_uses_dynamic_stack 0
		.amdhsa_enable_private_segment 0
		.amdhsa_system_sgpr_workgroup_id_x 1
		.amdhsa_system_sgpr_workgroup_id_y 0
		.amdhsa_system_sgpr_workgroup_id_z 0
		.amdhsa_system_sgpr_workgroup_info 0
		.amdhsa_system_vgpr_workitem_id 0
		.amdhsa_next_free_vgpr 92
		.amdhsa_next_free_sgpr 70
		.amdhsa_accum_offset 92
		.amdhsa_reserve_vcc 1
		.amdhsa_float_round_mode_32 0
		.amdhsa_float_round_mode_16_64 0
		.amdhsa_float_denorm_mode_32 3
		.amdhsa_float_denorm_mode_16_64 3
		.amdhsa_dx10_clamp 1
		.amdhsa_ieee_mode 1
		.amdhsa_fp16_overflow 0
		.amdhsa_tg_split 0
		.amdhsa_exception_fp_ieee_invalid_op 0
		.amdhsa_exception_fp_denorm_src 0
		.amdhsa_exception_fp_ieee_div_zero 0
		.amdhsa_exception_fp_ieee_overflow 0
		.amdhsa_exception_fp_ieee_underflow 0
		.amdhsa_exception_fp_ieee_inexact 0
		.amdhsa_exception_int_div_zero 0
	.end_amdhsa_kernel
	.section	.text._ZN7rocprim17ROCPRIM_400000_NS6detail17trampoline_kernelINS0_14default_configENS1_27scan_by_key_config_selectorIllEEZZNS1_16scan_by_key_implILNS1_25lookback_scan_determinismE0ELb0ES3_N6thrust23THRUST_200600_302600_NS16reverse_iteratorIPKlEESD_NSA_IPlEElN6hipcub16HIPCUB_304000_NS3MaxENSH_8EqualityElEE10hipError_tPvRmT2_T3_T4_T5_mT6_T7_P12ihipStream_tbENKUlT_T0_E_clISt17integral_constantIbLb1EES10_EEDaSV_SW_EUlSV_E_NS1_11comp_targetILNS1_3genE5ELNS1_11target_archE942ELNS1_3gpuE9ELNS1_3repE0EEENS1_30default_config_static_selectorELNS0_4arch9wavefront6targetE1EEEvT1_,"axG",@progbits,_ZN7rocprim17ROCPRIM_400000_NS6detail17trampoline_kernelINS0_14default_configENS1_27scan_by_key_config_selectorIllEEZZNS1_16scan_by_key_implILNS1_25lookback_scan_determinismE0ELb0ES3_N6thrust23THRUST_200600_302600_NS16reverse_iteratorIPKlEESD_NSA_IPlEElN6hipcub16HIPCUB_304000_NS3MaxENSH_8EqualityElEE10hipError_tPvRmT2_T3_T4_T5_mT6_T7_P12ihipStream_tbENKUlT_T0_E_clISt17integral_constantIbLb1EES10_EEDaSV_SW_EUlSV_E_NS1_11comp_targetILNS1_3genE5ELNS1_11target_archE942ELNS1_3gpuE9ELNS1_3repE0EEENS1_30default_config_static_selectorELNS0_4arch9wavefront6targetE1EEEvT1_,comdat
.Lfunc_end149:
	.size	_ZN7rocprim17ROCPRIM_400000_NS6detail17trampoline_kernelINS0_14default_configENS1_27scan_by_key_config_selectorIllEEZZNS1_16scan_by_key_implILNS1_25lookback_scan_determinismE0ELb0ES3_N6thrust23THRUST_200600_302600_NS16reverse_iteratorIPKlEESD_NSA_IPlEElN6hipcub16HIPCUB_304000_NS3MaxENSH_8EqualityElEE10hipError_tPvRmT2_T3_T4_T5_mT6_T7_P12ihipStream_tbENKUlT_T0_E_clISt17integral_constantIbLb1EES10_EEDaSV_SW_EUlSV_E_NS1_11comp_targetILNS1_3genE5ELNS1_11target_archE942ELNS1_3gpuE9ELNS1_3repE0EEENS1_30default_config_static_selectorELNS0_4arch9wavefront6targetE1EEEvT1_, .Lfunc_end149-_ZN7rocprim17ROCPRIM_400000_NS6detail17trampoline_kernelINS0_14default_configENS1_27scan_by_key_config_selectorIllEEZZNS1_16scan_by_key_implILNS1_25lookback_scan_determinismE0ELb0ES3_N6thrust23THRUST_200600_302600_NS16reverse_iteratorIPKlEESD_NSA_IPlEElN6hipcub16HIPCUB_304000_NS3MaxENSH_8EqualityElEE10hipError_tPvRmT2_T3_T4_T5_mT6_T7_P12ihipStream_tbENKUlT_T0_E_clISt17integral_constantIbLb1EES10_EEDaSV_SW_EUlSV_E_NS1_11comp_targetILNS1_3genE5ELNS1_11target_archE942ELNS1_3gpuE9ELNS1_3repE0EEENS1_30default_config_static_selectorELNS0_4arch9wavefront6targetE1EEEvT1_
                                        ; -- End function
	.section	.AMDGPU.csdata,"",@progbits
; Kernel info:
; codeLenInByte = 14132
; NumSgprs: 76
; NumVgprs: 92
; NumAgprs: 0
; TotalNumVgprs: 92
; ScratchSize: 0
; MemoryBound: 0
; FloatMode: 240
; IeeeMode: 1
; LDSByteSize: 32768 bytes/workgroup (compile time only)
; SGPRBlocks: 9
; VGPRBlocks: 11
; NumSGPRsForWavesPerEU: 76
; NumVGPRsForWavesPerEU: 92
; AccumOffset: 92
; Occupancy: 2
; WaveLimiterHint : 1
; COMPUTE_PGM_RSRC2:SCRATCH_EN: 0
; COMPUTE_PGM_RSRC2:USER_SGPR: 2
; COMPUTE_PGM_RSRC2:TRAP_HANDLER: 0
; COMPUTE_PGM_RSRC2:TGID_X_EN: 1
; COMPUTE_PGM_RSRC2:TGID_Y_EN: 0
; COMPUTE_PGM_RSRC2:TGID_Z_EN: 0
; COMPUTE_PGM_RSRC2:TIDIG_COMP_CNT: 0
; COMPUTE_PGM_RSRC3_GFX90A:ACCUM_OFFSET: 22
; COMPUTE_PGM_RSRC3_GFX90A:TG_SPLIT: 0
	.section	.text._ZN7rocprim17ROCPRIM_400000_NS6detail17trampoline_kernelINS0_14default_configENS1_27scan_by_key_config_selectorIllEEZZNS1_16scan_by_key_implILNS1_25lookback_scan_determinismE0ELb0ES3_N6thrust23THRUST_200600_302600_NS16reverse_iteratorIPKlEESD_NSA_IPlEElN6hipcub16HIPCUB_304000_NS3MaxENSH_8EqualityElEE10hipError_tPvRmT2_T3_T4_T5_mT6_T7_P12ihipStream_tbENKUlT_T0_E_clISt17integral_constantIbLb1EES10_EEDaSV_SW_EUlSV_E_NS1_11comp_targetILNS1_3genE4ELNS1_11target_archE910ELNS1_3gpuE8ELNS1_3repE0EEENS1_30default_config_static_selectorELNS0_4arch9wavefront6targetE1EEEvT1_,"axG",@progbits,_ZN7rocprim17ROCPRIM_400000_NS6detail17trampoline_kernelINS0_14default_configENS1_27scan_by_key_config_selectorIllEEZZNS1_16scan_by_key_implILNS1_25lookback_scan_determinismE0ELb0ES3_N6thrust23THRUST_200600_302600_NS16reverse_iteratorIPKlEESD_NSA_IPlEElN6hipcub16HIPCUB_304000_NS3MaxENSH_8EqualityElEE10hipError_tPvRmT2_T3_T4_T5_mT6_T7_P12ihipStream_tbENKUlT_T0_E_clISt17integral_constantIbLb1EES10_EEDaSV_SW_EUlSV_E_NS1_11comp_targetILNS1_3genE4ELNS1_11target_archE910ELNS1_3gpuE8ELNS1_3repE0EEENS1_30default_config_static_selectorELNS0_4arch9wavefront6targetE1EEEvT1_,comdat
	.protected	_ZN7rocprim17ROCPRIM_400000_NS6detail17trampoline_kernelINS0_14default_configENS1_27scan_by_key_config_selectorIllEEZZNS1_16scan_by_key_implILNS1_25lookback_scan_determinismE0ELb0ES3_N6thrust23THRUST_200600_302600_NS16reverse_iteratorIPKlEESD_NSA_IPlEElN6hipcub16HIPCUB_304000_NS3MaxENSH_8EqualityElEE10hipError_tPvRmT2_T3_T4_T5_mT6_T7_P12ihipStream_tbENKUlT_T0_E_clISt17integral_constantIbLb1EES10_EEDaSV_SW_EUlSV_E_NS1_11comp_targetILNS1_3genE4ELNS1_11target_archE910ELNS1_3gpuE8ELNS1_3repE0EEENS1_30default_config_static_selectorELNS0_4arch9wavefront6targetE1EEEvT1_ ; -- Begin function _ZN7rocprim17ROCPRIM_400000_NS6detail17trampoline_kernelINS0_14default_configENS1_27scan_by_key_config_selectorIllEEZZNS1_16scan_by_key_implILNS1_25lookback_scan_determinismE0ELb0ES3_N6thrust23THRUST_200600_302600_NS16reverse_iteratorIPKlEESD_NSA_IPlEElN6hipcub16HIPCUB_304000_NS3MaxENSH_8EqualityElEE10hipError_tPvRmT2_T3_T4_T5_mT6_T7_P12ihipStream_tbENKUlT_T0_E_clISt17integral_constantIbLb1EES10_EEDaSV_SW_EUlSV_E_NS1_11comp_targetILNS1_3genE4ELNS1_11target_archE910ELNS1_3gpuE8ELNS1_3repE0EEENS1_30default_config_static_selectorELNS0_4arch9wavefront6targetE1EEEvT1_
	.globl	_ZN7rocprim17ROCPRIM_400000_NS6detail17trampoline_kernelINS0_14default_configENS1_27scan_by_key_config_selectorIllEEZZNS1_16scan_by_key_implILNS1_25lookback_scan_determinismE0ELb0ES3_N6thrust23THRUST_200600_302600_NS16reverse_iteratorIPKlEESD_NSA_IPlEElN6hipcub16HIPCUB_304000_NS3MaxENSH_8EqualityElEE10hipError_tPvRmT2_T3_T4_T5_mT6_T7_P12ihipStream_tbENKUlT_T0_E_clISt17integral_constantIbLb1EES10_EEDaSV_SW_EUlSV_E_NS1_11comp_targetILNS1_3genE4ELNS1_11target_archE910ELNS1_3gpuE8ELNS1_3repE0EEENS1_30default_config_static_selectorELNS0_4arch9wavefront6targetE1EEEvT1_
	.p2align	8
	.type	_ZN7rocprim17ROCPRIM_400000_NS6detail17trampoline_kernelINS0_14default_configENS1_27scan_by_key_config_selectorIllEEZZNS1_16scan_by_key_implILNS1_25lookback_scan_determinismE0ELb0ES3_N6thrust23THRUST_200600_302600_NS16reverse_iteratorIPKlEESD_NSA_IPlEElN6hipcub16HIPCUB_304000_NS3MaxENSH_8EqualityElEE10hipError_tPvRmT2_T3_T4_T5_mT6_T7_P12ihipStream_tbENKUlT_T0_E_clISt17integral_constantIbLb1EES10_EEDaSV_SW_EUlSV_E_NS1_11comp_targetILNS1_3genE4ELNS1_11target_archE910ELNS1_3gpuE8ELNS1_3repE0EEENS1_30default_config_static_selectorELNS0_4arch9wavefront6targetE1EEEvT1_,@function
_ZN7rocprim17ROCPRIM_400000_NS6detail17trampoline_kernelINS0_14default_configENS1_27scan_by_key_config_selectorIllEEZZNS1_16scan_by_key_implILNS1_25lookback_scan_determinismE0ELb0ES3_N6thrust23THRUST_200600_302600_NS16reverse_iteratorIPKlEESD_NSA_IPlEElN6hipcub16HIPCUB_304000_NS3MaxENSH_8EqualityElEE10hipError_tPvRmT2_T3_T4_T5_mT6_T7_P12ihipStream_tbENKUlT_T0_E_clISt17integral_constantIbLb1EES10_EEDaSV_SW_EUlSV_E_NS1_11comp_targetILNS1_3genE4ELNS1_11target_archE910ELNS1_3gpuE8ELNS1_3repE0EEENS1_30default_config_static_selectorELNS0_4arch9wavefront6targetE1EEEvT1_: ; @_ZN7rocprim17ROCPRIM_400000_NS6detail17trampoline_kernelINS0_14default_configENS1_27scan_by_key_config_selectorIllEEZZNS1_16scan_by_key_implILNS1_25lookback_scan_determinismE0ELb0ES3_N6thrust23THRUST_200600_302600_NS16reverse_iteratorIPKlEESD_NSA_IPlEElN6hipcub16HIPCUB_304000_NS3MaxENSH_8EqualityElEE10hipError_tPvRmT2_T3_T4_T5_mT6_T7_P12ihipStream_tbENKUlT_T0_E_clISt17integral_constantIbLb1EES10_EEDaSV_SW_EUlSV_E_NS1_11comp_targetILNS1_3genE4ELNS1_11target_archE910ELNS1_3gpuE8ELNS1_3repE0EEENS1_30default_config_static_selectorELNS0_4arch9wavefront6targetE1EEEvT1_
; %bb.0:
	.section	.rodata,"a",@progbits
	.p2align	6, 0x0
	.amdhsa_kernel _ZN7rocprim17ROCPRIM_400000_NS6detail17trampoline_kernelINS0_14default_configENS1_27scan_by_key_config_selectorIllEEZZNS1_16scan_by_key_implILNS1_25lookback_scan_determinismE0ELb0ES3_N6thrust23THRUST_200600_302600_NS16reverse_iteratorIPKlEESD_NSA_IPlEElN6hipcub16HIPCUB_304000_NS3MaxENSH_8EqualityElEE10hipError_tPvRmT2_T3_T4_T5_mT6_T7_P12ihipStream_tbENKUlT_T0_E_clISt17integral_constantIbLb1EES10_EEDaSV_SW_EUlSV_E_NS1_11comp_targetILNS1_3genE4ELNS1_11target_archE910ELNS1_3gpuE8ELNS1_3repE0EEENS1_30default_config_static_selectorELNS0_4arch9wavefront6targetE1EEEvT1_
		.amdhsa_group_segment_fixed_size 0
		.amdhsa_private_segment_fixed_size 0
		.amdhsa_kernarg_size 136
		.amdhsa_user_sgpr_count 2
		.amdhsa_user_sgpr_dispatch_ptr 0
		.amdhsa_user_sgpr_queue_ptr 0
		.amdhsa_user_sgpr_kernarg_segment_ptr 1
		.amdhsa_user_sgpr_dispatch_id 0
		.amdhsa_user_sgpr_kernarg_preload_length 0
		.amdhsa_user_sgpr_kernarg_preload_offset 0
		.amdhsa_user_sgpr_private_segment_size 0
		.amdhsa_uses_dynamic_stack 0
		.amdhsa_enable_private_segment 0
		.amdhsa_system_sgpr_workgroup_id_x 1
		.amdhsa_system_sgpr_workgroup_id_y 0
		.amdhsa_system_sgpr_workgroup_id_z 0
		.amdhsa_system_sgpr_workgroup_info 0
		.amdhsa_system_vgpr_workitem_id 0
		.amdhsa_next_free_vgpr 1
		.amdhsa_next_free_sgpr 0
		.amdhsa_accum_offset 4
		.amdhsa_reserve_vcc 0
		.amdhsa_float_round_mode_32 0
		.amdhsa_float_round_mode_16_64 0
		.amdhsa_float_denorm_mode_32 3
		.amdhsa_float_denorm_mode_16_64 3
		.amdhsa_dx10_clamp 1
		.amdhsa_ieee_mode 1
		.amdhsa_fp16_overflow 0
		.amdhsa_tg_split 0
		.amdhsa_exception_fp_ieee_invalid_op 0
		.amdhsa_exception_fp_denorm_src 0
		.amdhsa_exception_fp_ieee_div_zero 0
		.amdhsa_exception_fp_ieee_overflow 0
		.amdhsa_exception_fp_ieee_underflow 0
		.amdhsa_exception_fp_ieee_inexact 0
		.amdhsa_exception_int_div_zero 0
	.end_amdhsa_kernel
	.section	.text._ZN7rocprim17ROCPRIM_400000_NS6detail17trampoline_kernelINS0_14default_configENS1_27scan_by_key_config_selectorIllEEZZNS1_16scan_by_key_implILNS1_25lookback_scan_determinismE0ELb0ES3_N6thrust23THRUST_200600_302600_NS16reverse_iteratorIPKlEESD_NSA_IPlEElN6hipcub16HIPCUB_304000_NS3MaxENSH_8EqualityElEE10hipError_tPvRmT2_T3_T4_T5_mT6_T7_P12ihipStream_tbENKUlT_T0_E_clISt17integral_constantIbLb1EES10_EEDaSV_SW_EUlSV_E_NS1_11comp_targetILNS1_3genE4ELNS1_11target_archE910ELNS1_3gpuE8ELNS1_3repE0EEENS1_30default_config_static_selectorELNS0_4arch9wavefront6targetE1EEEvT1_,"axG",@progbits,_ZN7rocprim17ROCPRIM_400000_NS6detail17trampoline_kernelINS0_14default_configENS1_27scan_by_key_config_selectorIllEEZZNS1_16scan_by_key_implILNS1_25lookback_scan_determinismE0ELb0ES3_N6thrust23THRUST_200600_302600_NS16reverse_iteratorIPKlEESD_NSA_IPlEElN6hipcub16HIPCUB_304000_NS3MaxENSH_8EqualityElEE10hipError_tPvRmT2_T3_T4_T5_mT6_T7_P12ihipStream_tbENKUlT_T0_E_clISt17integral_constantIbLb1EES10_EEDaSV_SW_EUlSV_E_NS1_11comp_targetILNS1_3genE4ELNS1_11target_archE910ELNS1_3gpuE8ELNS1_3repE0EEENS1_30default_config_static_selectorELNS0_4arch9wavefront6targetE1EEEvT1_,comdat
.Lfunc_end150:
	.size	_ZN7rocprim17ROCPRIM_400000_NS6detail17trampoline_kernelINS0_14default_configENS1_27scan_by_key_config_selectorIllEEZZNS1_16scan_by_key_implILNS1_25lookback_scan_determinismE0ELb0ES3_N6thrust23THRUST_200600_302600_NS16reverse_iteratorIPKlEESD_NSA_IPlEElN6hipcub16HIPCUB_304000_NS3MaxENSH_8EqualityElEE10hipError_tPvRmT2_T3_T4_T5_mT6_T7_P12ihipStream_tbENKUlT_T0_E_clISt17integral_constantIbLb1EES10_EEDaSV_SW_EUlSV_E_NS1_11comp_targetILNS1_3genE4ELNS1_11target_archE910ELNS1_3gpuE8ELNS1_3repE0EEENS1_30default_config_static_selectorELNS0_4arch9wavefront6targetE1EEEvT1_, .Lfunc_end150-_ZN7rocprim17ROCPRIM_400000_NS6detail17trampoline_kernelINS0_14default_configENS1_27scan_by_key_config_selectorIllEEZZNS1_16scan_by_key_implILNS1_25lookback_scan_determinismE0ELb0ES3_N6thrust23THRUST_200600_302600_NS16reverse_iteratorIPKlEESD_NSA_IPlEElN6hipcub16HIPCUB_304000_NS3MaxENSH_8EqualityElEE10hipError_tPvRmT2_T3_T4_T5_mT6_T7_P12ihipStream_tbENKUlT_T0_E_clISt17integral_constantIbLb1EES10_EEDaSV_SW_EUlSV_E_NS1_11comp_targetILNS1_3genE4ELNS1_11target_archE910ELNS1_3gpuE8ELNS1_3repE0EEENS1_30default_config_static_selectorELNS0_4arch9wavefront6targetE1EEEvT1_
                                        ; -- End function
	.section	.AMDGPU.csdata,"",@progbits
; Kernel info:
; codeLenInByte = 0
; NumSgprs: 6
; NumVgprs: 0
; NumAgprs: 0
; TotalNumVgprs: 0
; ScratchSize: 0
; MemoryBound: 0
; FloatMode: 240
; IeeeMode: 1
; LDSByteSize: 0 bytes/workgroup (compile time only)
; SGPRBlocks: 0
; VGPRBlocks: 0
; NumSGPRsForWavesPerEU: 6
; NumVGPRsForWavesPerEU: 1
; AccumOffset: 4
; Occupancy: 8
; WaveLimiterHint : 0
; COMPUTE_PGM_RSRC2:SCRATCH_EN: 0
; COMPUTE_PGM_RSRC2:USER_SGPR: 2
; COMPUTE_PGM_RSRC2:TRAP_HANDLER: 0
; COMPUTE_PGM_RSRC2:TGID_X_EN: 1
; COMPUTE_PGM_RSRC2:TGID_Y_EN: 0
; COMPUTE_PGM_RSRC2:TGID_Z_EN: 0
; COMPUTE_PGM_RSRC2:TIDIG_COMP_CNT: 0
; COMPUTE_PGM_RSRC3_GFX90A:ACCUM_OFFSET: 0
; COMPUTE_PGM_RSRC3_GFX90A:TG_SPLIT: 0
	.section	.text._ZN7rocprim17ROCPRIM_400000_NS6detail17trampoline_kernelINS0_14default_configENS1_27scan_by_key_config_selectorIllEEZZNS1_16scan_by_key_implILNS1_25lookback_scan_determinismE0ELb0ES3_N6thrust23THRUST_200600_302600_NS16reverse_iteratorIPKlEESD_NSA_IPlEElN6hipcub16HIPCUB_304000_NS3MaxENSH_8EqualityElEE10hipError_tPvRmT2_T3_T4_T5_mT6_T7_P12ihipStream_tbENKUlT_T0_E_clISt17integral_constantIbLb1EES10_EEDaSV_SW_EUlSV_E_NS1_11comp_targetILNS1_3genE3ELNS1_11target_archE908ELNS1_3gpuE7ELNS1_3repE0EEENS1_30default_config_static_selectorELNS0_4arch9wavefront6targetE1EEEvT1_,"axG",@progbits,_ZN7rocprim17ROCPRIM_400000_NS6detail17trampoline_kernelINS0_14default_configENS1_27scan_by_key_config_selectorIllEEZZNS1_16scan_by_key_implILNS1_25lookback_scan_determinismE0ELb0ES3_N6thrust23THRUST_200600_302600_NS16reverse_iteratorIPKlEESD_NSA_IPlEElN6hipcub16HIPCUB_304000_NS3MaxENSH_8EqualityElEE10hipError_tPvRmT2_T3_T4_T5_mT6_T7_P12ihipStream_tbENKUlT_T0_E_clISt17integral_constantIbLb1EES10_EEDaSV_SW_EUlSV_E_NS1_11comp_targetILNS1_3genE3ELNS1_11target_archE908ELNS1_3gpuE7ELNS1_3repE0EEENS1_30default_config_static_selectorELNS0_4arch9wavefront6targetE1EEEvT1_,comdat
	.protected	_ZN7rocprim17ROCPRIM_400000_NS6detail17trampoline_kernelINS0_14default_configENS1_27scan_by_key_config_selectorIllEEZZNS1_16scan_by_key_implILNS1_25lookback_scan_determinismE0ELb0ES3_N6thrust23THRUST_200600_302600_NS16reverse_iteratorIPKlEESD_NSA_IPlEElN6hipcub16HIPCUB_304000_NS3MaxENSH_8EqualityElEE10hipError_tPvRmT2_T3_T4_T5_mT6_T7_P12ihipStream_tbENKUlT_T0_E_clISt17integral_constantIbLb1EES10_EEDaSV_SW_EUlSV_E_NS1_11comp_targetILNS1_3genE3ELNS1_11target_archE908ELNS1_3gpuE7ELNS1_3repE0EEENS1_30default_config_static_selectorELNS0_4arch9wavefront6targetE1EEEvT1_ ; -- Begin function _ZN7rocprim17ROCPRIM_400000_NS6detail17trampoline_kernelINS0_14default_configENS1_27scan_by_key_config_selectorIllEEZZNS1_16scan_by_key_implILNS1_25lookback_scan_determinismE0ELb0ES3_N6thrust23THRUST_200600_302600_NS16reverse_iteratorIPKlEESD_NSA_IPlEElN6hipcub16HIPCUB_304000_NS3MaxENSH_8EqualityElEE10hipError_tPvRmT2_T3_T4_T5_mT6_T7_P12ihipStream_tbENKUlT_T0_E_clISt17integral_constantIbLb1EES10_EEDaSV_SW_EUlSV_E_NS1_11comp_targetILNS1_3genE3ELNS1_11target_archE908ELNS1_3gpuE7ELNS1_3repE0EEENS1_30default_config_static_selectorELNS0_4arch9wavefront6targetE1EEEvT1_
	.globl	_ZN7rocprim17ROCPRIM_400000_NS6detail17trampoline_kernelINS0_14default_configENS1_27scan_by_key_config_selectorIllEEZZNS1_16scan_by_key_implILNS1_25lookback_scan_determinismE0ELb0ES3_N6thrust23THRUST_200600_302600_NS16reverse_iteratorIPKlEESD_NSA_IPlEElN6hipcub16HIPCUB_304000_NS3MaxENSH_8EqualityElEE10hipError_tPvRmT2_T3_T4_T5_mT6_T7_P12ihipStream_tbENKUlT_T0_E_clISt17integral_constantIbLb1EES10_EEDaSV_SW_EUlSV_E_NS1_11comp_targetILNS1_3genE3ELNS1_11target_archE908ELNS1_3gpuE7ELNS1_3repE0EEENS1_30default_config_static_selectorELNS0_4arch9wavefront6targetE1EEEvT1_
	.p2align	8
	.type	_ZN7rocprim17ROCPRIM_400000_NS6detail17trampoline_kernelINS0_14default_configENS1_27scan_by_key_config_selectorIllEEZZNS1_16scan_by_key_implILNS1_25lookback_scan_determinismE0ELb0ES3_N6thrust23THRUST_200600_302600_NS16reverse_iteratorIPKlEESD_NSA_IPlEElN6hipcub16HIPCUB_304000_NS3MaxENSH_8EqualityElEE10hipError_tPvRmT2_T3_T4_T5_mT6_T7_P12ihipStream_tbENKUlT_T0_E_clISt17integral_constantIbLb1EES10_EEDaSV_SW_EUlSV_E_NS1_11comp_targetILNS1_3genE3ELNS1_11target_archE908ELNS1_3gpuE7ELNS1_3repE0EEENS1_30default_config_static_selectorELNS0_4arch9wavefront6targetE1EEEvT1_,@function
_ZN7rocprim17ROCPRIM_400000_NS6detail17trampoline_kernelINS0_14default_configENS1_27scan_by_key_config_selectorIllEEZZNS1_16scan_by_key_implILNS1_25lookback_scan_determinismE0ELb0ES3_N6thrust23THRUST_200600_302600_NS16reverse_iteratorIPKlEESD_NSA_IPlEElN6hipcub16HIPCUB_304000_NS3MaxENSH_8EqualityElEE10hipError_tPvRmT2_T3_T4_T5_mT6_T7_P12ihipStream_tbENKUlT_T0_E_clISt17integral_constantIbLb1EES10_EEDaSV_SW_EUlSV_E_NS1_11comp_targetILNS1_3genE3ELNS1_11target_archE908ELNS1_3gpuE7ELNS1_3repE0EEENS1_30default_config_static_selectorELNS0_4arch9wavefront6targetE1EEEvT1_: ; @_ZN7rocprim17ROCPRIM_400000_NS6detail17trampoline_kernelINS0_14default_configENS1_27scan_by_key_config_selectorIllEEZZNS1_16scan_by_key_implILNS1_25lookback_scan_determinismE0ELb0ES3_N6thrust23THRUST_200600_302600_NS16reverse_iteratorIPKlEESD_NSA_IPlEElN6hipcub16HIPCUB_304000_NS3MaxENSH_8EqualityElEE10hipError_tPvRmT2_T3_T4_T5_mT6_T7_P12ihipStream_tbENKUlT_T0_E_clISt17integral_constantIbLb1EES10_EEDaSV_SW_EUlSV_E_NS1_11comp_targetILNS1_3genE3ELNS1_11target_archE908ELNS1_3gpuE7ELNS1_3repE0EEENS1_30default_config_static_selectorELNS0_4arch9wavefront6targetE1EEEvT1_
; %bb.0:
	.section	.rodata,"a",@progbits
	.p2align	6, 0x0
	.amdhsa_kernel _ZN7rocprim17ROCPRIM_400000_NS6detail17trampoline_kernelINS0_14default_configENS1_27scan_by_key_config_selectorIllEEZZNS1_16scan_by_key_implILNS1_25lookback_scan_determinismE0ELb0ES3_N6thrust23THRUST_200600_302600_NS16reverse_iteratorIPKlEESD_NSA_IPlEElN6hipcub16HIPCUB_304000_NS3MaxENSH_8EqualityElEE10hipError_tPvRmT2_T3_T4_T5_mT6_T7_P12ihipStream_tbENKUlT_T0_E_clISt17integral_constantIbLb1EES10_EEDaSV_SW_EUlSV_E_NS1_11comp_targetILNS1_3genE3ELNS1_11target_archE908ELNS1_3gpuE7ELNS1_3repE0EEENS1_30default_config_static_selectorELNS0_4arch9wavefront6targetE1EEEvT1_
		.amdhsa_group_segment_fixed_size 0
		.amdhsa_private_segment_fixed_size 0
		.amdhsa_kernarg_size 136
		.amdhsa_user_sgpr_count 2
		.amdhsa_user_sgpr_dispatch_ptr 0
		.amdhsa_user_sgpr_queue_ptr 0
		.amdhsa_user_sgpr_kernarg_segment_ptr 1
		.amdhsa_user_sgpr_dispatch_id 0
		.amdhsa_user_sgpr_kernarg_preload_length 0
		.amdhsa_user_sgpr_kernarg_preload_offset 0
		.amdhsa_user_sgpr_private_segment_size 0
		.amdhsa_uses_dynamic_stack 0
		.amdhsa_enable_private_segment 0
		.amdhsa_system_sgpr_workgroup_id_x 1
		.amdhsa_system_sgpr_workgroup_id_y 0
		.amdhsa_system_sgpr_workgroup_id_z 0
		.amdhsa_system_sgpr_workgroup_info 0
		.amdhsa_system_vgpr_workitem_id 0
		.amdhsa_next_free_vgpr 1
		.amdhsa_next_free_sgpr 0
		.amdhsa_accum_offset 4
		.amdhsa_reserve_vcc 0
		.amdhsa_float_round_mode_32 0
		.amdhsa_float_round_mode_16_64 0
		.amdhsa_float_denorm_mode_32 3
		.amdhsa_float_denorm_mode_16_64 3
		.amdhsa_dx10_clamp 1
		.amdhsa_ieee_mode 1
		.amdhsa_fp16_overflow 0
		.amdhsa_tg_split 0
		.amdhsa_exception_fp_ieee_invalid_op 0
		.amdhsa_exception_fp_denorm_src 0
		.amdhsa_exception_fp_ieee_div_zero 0
		.amdhsa_exception_fp_ieee_overflow 0
		.amdhsa_exception_fp_ieee_underflow 0
		.amdhsa_exception_fp_ieee_inexact 0
		.amdhsa_exception_int_div_zero 0
	.end_amdhsa_kernel
	.section	.text._ZN7rocprim17ROCPRIM_400000_NS6detail17trampoline_kernelINS0_14default_configENS1_27scan_by_key_config_selectorIllEEZZNS1_16scan_by_key_implILNS1_25lookback_scan_determinismE0ELb0ES3_N6thrust23THRUST_200600_302600_NS16reverse_iteratorIPKlEESD_NSA_IPlEElN6hipcub16HIPCUB_304000_NS3MaxENSH_8EqualityElEE10hipError_tPvRmT2_T3_T4_T5_mT6_T7_P12ihipStream_tbENKUlT_T0_E_clISt17integral_constantIbLb1EES10_EEDaSV_SW_EUlSV_E_NS1_11comp_targetILNS1_3genE3ELNS1_11target_archE908ELNS1_3gpuE7ELNS1_3repE0EEENS1_30default_config_static_selectorELNS0_4arch9wavefront6targetE1EEEvT1_,"axG",@progbits,_ZN7rocprim17ROCPRIM_400000_NS6detail17trampoline_kernelINS0_14default_configENS1_27scan_by_key_config_selectorIllEEZZNS1_16scan_by_key_implILNS1_25lookback_scan_determinismE0ELb0ES3_N6thrust23THRUST_200600_302600_NS16reverse_iteratorIPKlEESD_NSA_IPlEElN6hipcub16HIPCUB_304000_NS3MaxENSH_8EqualityElEE10hipError_tPvRmT2_T3_T4_T5_mT6_T7_P12ihipStream_tbENKUlT_T0_E_clISt17integral_constantIbLb1EES10_EEDaSV_SW_EUlSV_E_NS1_11comp_targetILNS1_3genE3ELNS1_11target_archE908ELNS1_3gpuE7ELNS1_3repE0EEENS1_30default_config_static_selectorELNS0_4arch9wavefront6targetE1EEEvT1_,comdat
.Lfunc_end151:
	.size	_ZN7rocprim17ROCPRIM_400000_NS6detail17trampoline_kernelINS0_14default_configENS1_27scan_by_key_config_selectorIllEEZZNS1_16scan_by_key_implILNS1_25lookback_scan_determinismE0ELb0ES3_N6thrust23THRUST_200600_302600_NS16reverse_iteratorIPKlEESD_NSA_IPlEElN6hipcub16HIPCUB_304000_NS3MaxENSH_8EqualityElEE10hipError_tPvRmT2_T3_T4_T5_mT6_T7_P12ihipStream_tbENKUlT_T0_E_clISt17integral_constantIbLb1EES10_EEDaSV_SW_EUlSV_E_NS1_11comp_targetILNS1_3genE3ELNS1_11target_archE908ELNS1_3gpuE7ELNS1_3repE0EEENS1_30default_config_static_selectorELNS0_4arch9wavefront6targetE1EEEvT1_, .Lfunc_end151-_ZN7rocprim17ROCPRIM_400000_NS6detail17trampoline_kernelINS0_14default_configENS1_27scan_by_key_config_selectorIllEEZZNS1_16scan_by_key_implILNS1_25lookback_scan_determinismE0ELb0ES3_N6thrust23THRUST_200600_302600_NS16reverse_iteratorIPKlEESD_NSA_IPlEElN6hipcub16HIPCUB_304000_NS3MaxENSH_8EqualityElEE10hipError_tPvRmT2_T3_T4_T5_mT6_T7_P12ihipStream_tbENKUlT_T0_E_clISt17integral_constantIbLb1EES10_EEDaSV_SW_EUlSV_E_NS1_11comp_targetILNS1_3genE3ELNS1_11target_archE908ELNS1_3gpuE7ELNS1_3repE0EEENS1_30default_config_static_selectorELNS0_4arch9wavefront6targetE1EEEvT1_
                                        ; -- End function
	.section	.AMDGPU.csdata,"",@progbits
; Kernel info:
; codeLenInByte = 0
; NumSgprs: 6
; NumVgprs: 0
; NumAgprs: 0
; TotalNumVgprs: 0
; ScratchSize: 0
; MemoryBound: 0
; FloatMode: 240
; IeeeMode: 1
; LDSByteSize: 0 bytes/workgroup (compile time only)
; SGPRBlocks: 0
; VGPRBlocks: 0
; NumSGPRsForWavesPerEU: 6
; NumVGPRsForWavesPerEU: 1
; AccumOffset: 4
; Occupancy: 8
; WaveLimiterHint : 0
; COMPUTE_PGM_RSRC2:SCRATCH_EN: 0
; COMPUTE_PGM_RSRC2:USER_SGPR: 2
; COMPUTE_PGM_RSRC2:TRAP_HANDLER: 0
; COMPUTE_PGM_RSRC2:TGID_X_EN: 1
; COMPUTE_PGM_RSRC2:TGID_Y_EN: 0
; COMPUTE_PGM_RSRC2:TGID_Z_EN: 0
; COMPUTE_PGM_RSRC2:TIDIG_COMP_CNT: 0
; COMPUTE_PGM_RSRC3_GFX90A:ACCUM_OFFSET: 0
; COMPUTE_PGM_RSRC3_GFX90A:TG_SPLIT: 0
	.section	.text._ZN7rocprim17ROCPRIM_400000_NS6detail17trampoline_kernelINS0_14default_configENS1_27scan_by_key_config_selectorIllEEZZNS1_16scan_by_key_implILNS1_25lookback_scan_determinismE0ELb0ES3_N6thrust23THRUST_200600_302600_NS16reverse_iteratorIPKlEESD_NSA_IPlEElN6hipcub16HIPCUB_304000_NS3MaxENSH_8EqualityElEE10hipError_tPvRmT2_T3_T4_T5_mT6_T7_P12ihipStream_tbENKUlT_T0_E_clISt17integral_constantIbLb1EES10_EEDaSV_SW_EUlSV_E_NS1_11comp_targetILNS1_3genE2ELNS1_11target_archE906ELNS1_3gpuE6ELNS1_3repE0EEENS1_30default_config_static_selectorELNS0_4arch9wavefront6targetE1EEEvT1_,"axG",@progbits,_ZN7rocprim17ROCPRIM_400000_NS6detail17trampoline_kernelINS0_14default_configENS1_27scan_by_key_config_selectorIllEEZZNS1_16scan_by_key_implILNS1_25lookback_scan_determinismE0ELb0ES3_N6thrust23THRUST_200600_302600_NS16reverse_iteratorIPKlEESD_NSA_IPlEElN6hipcub16HIPCUB_304000_NS3MaxENSH_8EqualityElEE10hipError_tPvRmT2_T3_T4_T5_mT6_T7_P12ihipStream_tbENKUlT_T0_E_clISt17integral_constantIbLb1EES10_EEDaSV_SW_EUlSV_E_NS1_11comp_targetILNS1_3genE2ELNS1_11target_archE906ELNS1_3gpuE6ELNS1_3repE0EEENS1_30default_config_static_selectorELNS0_4arch9wavefront6targetE1EEEvT1_,comdat
	.protected	_ZN7rocprim17ROCPRIM_400000_NS6detail17trampoline_kernelINS0_14default_configENS1_27scan_by_key_config_selectorIllEEZZNS1_16scan_by_key_implILNS1_25lookback_scan_determinismE0ELb0ES3_N6thrust23THRUST_200600_302600_NS16reverse_iteratorIPKlEESD_NSA_IPlEElN6hipcub16HIPCUB_304000_NS3MaxENSH_8EqualityElEE10hipError_tPvRmT2_T3_T4_T5_mT6_T7_P12ihipStream_tbENKUlT_T0_E_clISt17integral_constantIbLb1EES10_EEDaSV_SW_EUlSV_E_NS1_11comp_targetILNS1_3genE2ELNS1_11target_archE906ELNS1_3gpuE6ELNS1_3repE0EEENS1_30default_config_static_selectorELNS0_4arch9wavefront6targetE1EEEvT1_ ; -- Begin function _ZN7rocprim17ROCPRIM_400000_NS6detail17trampoline_kernelINS0_14default_configENS1_27scan_by_key_config_selectorIllEEZZNS1_16scan_by_key_implILNS1_25lookback_scan_determinismE0ELb0ES3_N6thrust23THRUST_200600_302600_NS16reverse_iteratorIPKlEESD_NSA_IPlEElN6hipcub16HIPCUB_304000_NS3MaxENSH_8EqualityElEE10hipError_tPvRmT2_T3_T4_T5_mT6_T7_P12ihipStream_tbENKUlT_T0_E_clISt17integral_constantIbLb1EES10_EEDaSV_SW_EUlSV_E_NS1_11comp_targetILNS1_3genE2ELNS1_11target_archE906ELNS1_3gpuE6ELNS1_3repE0EEENS1_30default_config_static_selectorELNS0_4arch9wavefront6targetE1EEEvT1_
	.globl	_ZN7rocprim17ROCPRIM_400000_NS6detail17trampoline_kernelINS0_14default_configENS1_27scan_by_key_config_selectorIllEEZZNS1_16scan_by_key_implILNS1_25lookback_scan_determinismE0ELb0ES3_N6thrust23THRUST_200600_302600_NS16reverse_iteratorIPKlEESD_NSA_IPlEElN6hipcub16HIPCUB_304000_NS3MaxENSH_8EqualityElEE10hipError_tPvRmT2_T3_T4_T5_mT6_T7_P12ihipStream_tbENKUlT_T0_E_clISt17integral_constantIbLb1EES10_EEDaSV_SW_EUlSV_E_NS1_11comp_targetILNS1_3genE2ELNS1_11target_archE906ELNS1_3gpuE6ELNS1_3repE0EEENS1_30default_config_static_selectorELNS0_4arch9wavefront6targetE1EEEvT1_
	.p2align	8
	.type	_ZN7rocprim17ROCPRIM_400000_NS6detail17trampoline_kernelINS0_14default_configENS1_27scan_by_key_config_selectorIllEEZZNS1_16scan_by_key_implILNS1_25lookback_scan_determinismE0ELb0ES3_N6thrust23THRUST_200600_302600_NS16reverse_iteratorIPKlEESD_NSA_IPlEElN6hipcub16HIPCUB_304000_NS3MaxENSH_8EqualityElEE10hipError_tPvRmT2_T3_T4_T5_mT6_T7_P12ihipStream_tbENKUlT_T0_E_clISt17integral_constantIbLb1EES10_EEDaSV_SW_EUlSV_E_NS1_11comp_targetILNS1_3genE2ELNS1_11target_archE906ELNS1_3gpuE6ELNS1_3repE0EEENS1_30default_config_static_selectorELNS0_4arch9wavefront6targetE1EEEvT1_,@function
_ZN7rocprim17ROCPRIM_400000_NS6detail17trampoline_kernelINS0_14default_configENS1_27scan_by_key_config_selectorIllEEZZNS1_16scan_by_key_implILNS1_25lookback_scan_determinismE0ELb0ES3_N6thrust23THRUST_200600_302600_NS16reverse_iteratorIPKlEESD_NSA_IPlEElN6hipcub16HIPCUB_304000_NS3MaxENSH_8EqualityElEE10hipError_tPvRmT2_T3_T4_T5_mT6_T7_P12ihipStream_tbENKUlT_T0_E_clISt17integral_constantIbLb1EES10_EEDaSV_SW_EUlSV_E_NS1_11comp_targetILNS1_3genE2ELNS1_11target_archE906ELNS1_3gpuE6ELNS1_3repE0EEENS1_30default_config_static_selectorELNS0_4arch9wavefront6targetE1EEEvT1_: ; @_ZN7rocprim17ROCPRIM_400000_NS6detail17trampoline_kernelINS0_14default_configENS1_27scan_by_key_config_selectorIllEEZZNS1_16scan_by_key_implILNS1_25lookback_scan_determinismE0ELb0ES3_N6thrust23THRUST_200600_302600_NS16reverse_iteratorIPKlEESD_NSA_IPlEElN6hipcub16HIPCUB_304000_NS3MaxENSH_8EqualityElEE10hipError_tPvRmT2_T3_T4_T5_mT6_T7_P12ihipStream_tbENKUlT_T0_E_clISt17integral_constantIbLb1EES10_EEDaSV_SW_EUlSV_E_NS1_11comp_targetILNS1_3genE2ELNS1_11target_archE906ELNS1_3gpuE6ELNS1_3repE0EEENS1_30default_config_static_selectorELNS0_4arch9wavefront6targetE1EEEvT1_
; %bb.0:
	.section	.rodata,"a",@progbits
	.p2align	6, 0x0
	.amdhsa_kernel _ZN7rocprim17ROCPRIM_400000_NS6detail17trampoline_kernelINS0_14default_configENS1_27scan_by_key_config_selectorIllEEZZNS1_16scan_by_key_implILNS1_25lookback_scan_determinismE0ELb0ES3_N6thrust23THRUST_200600_302600_NS16reverse_iteratorIPKlEESD_NSA_IPlEElN6hipcub16HIPCUB_304000_NS3MaxENSH_8EqualityElEE10hipError_tPvRmT2_T3_T4_T5_mT6_T7_P12ihipStream_tbENKUlT_T0_E_clISt17integral_constantIbLb1EES10_EEDaSV_SW_EUlSV_E_NS1_11comp_targetILNS1_3genE2ELNS1_11target_archE906ELNS1_3gpuE6ELNS1_3repE0EEENS1_30default_config_static_selectorELNS0_4arch9wavefront6targetE1EEEvT1_
		.amdhsa_group_segment_fixed_size 0
		.amdhsa_private_segment_fixed_size 0
		.amdhsa_kernarg_size 136
		.amdhsa_user_sgpr_count 2
		.amdhsa_user_sgpr_dispatch_ptr 0
		.amdhsa_user_sgpr_queue_ptr 0
		.amdhsa_user_sgpr_kernarg_segment_ptr 1
		.amdhsa_user_sgpr_dispatch_id 0
		.amdhsa_user_sgpr_kernarg_preload_length 0
		.amdhsa_user_sgpr_kernarg_preload_offset 0
		.amdhsa_user_sgpr_private_segment_size 0
		.amdhsa_uses_dynamic_stack 0
		.amdhsa_enable_private_segment 0
		.amdhsa_system_sgpr_workgroup_id_x 1
		.amdhsa_system_sgpr_workgroup_id_y 0
		.amdhsa_system_sgpr_workgroup_id_z 0
		.amdhsa_system_sgpr_workgroup_info 0
		.amdhsa_system_vgpr_workitem_id 0
		.amdhsa_next_free_vgpr 1
		.amdhsa_next_free_sgpr 0
		.amdhsa_accum_offset 4
		.amdhsa_reserve_vcc 0
		.amdhsa_float_round_mode_32 0
		.amdhsa_float_round_mode_16_64 0
		.amdhsa_float_denorm_mode_32 3
		.amdhsa_float_denorm_mode_16_64 3
		.amdhsa_dx10_clamp 1
		.amdhsa_ieee_mode 1
		.amdhsa_fp16_overflow 0
		.amdhsa_tg_split 0
		.amdhsa_exception_fp_ieee_invalid_op 0
		.amdhsa_exception_fp_denorm_src 0
		.amdhsa_exception_fp_ieee_div_zero 0
		.amdhsa_exception_fp_ieee_overflow 0
		.amdhsa_exception_fp_ieee_underflow 0
		.amdhsa_exception_fp_ieee_inexact 0
		.amdhsa_exception_int_div_zero 0
	.end_amdhsa_kernel
	.section	.text._ZN7rocprim17ROCPRIM_400000_NS6detail17trampoline_kernelINS0_14default_configENS1_27scan_by_key_config_selectorIllEEZZNS1_16scan_by_key_implILNS1_25lookback_scan_determinismE0ELb0ES3_N6thrust23THRUST_200600_302600_NS16reverse_iteratorIPKlEESD_NSA_IPlEElN6hipcub16HIPCUB_304000_NS3MaxENSH_8EqualityElEE10hipError_tPvRmT2_T3_T4_T5_mT6_T7_P12ihipStream_tbENKUlT_T0_E_clISt17integral_constantIbLb1EES10_EEDaSV_SW_EUlSV_E_NS1_11comp_targetILNS1_3genE2ELNS1_11target_archE906ELNS1_3gpuE6ELNS1_3repE0EEENS1_30default_config_static_selectorELNS0_4arch9wavefront6targetE1EEEvT1_,"axG",@progbits,_ZN7rocprim17ROCPRIM_400000_NS6detail17trampoline_kernelINS0_14default_configENS1_27scan_by_key_config_selectorIllEEZZNS1_16scan_by_key_implILNS1_25lookback_scan_determinismE0ELb0ES3_N6thrust23THRUST_200600_302600_NS16reverse_iteratorIPKlEESD_NSA_IPlEElN6hipcub16HIPCUB_304000_NS3MaxENSH_8EqualityElEE10hipError_tPvRmT2_T3_T4_T5_mT6_T7_P12ihipStream_tbENKUlT_T0_E_clISt17integral_constantIbLb1EES10_EEDaSV_SW_EUlSV_E_NS1_11comp_targetILNS1_3genE2ELNS1_11target_archE906ELNS1_3gpuE6ELNS1_3repE0EEENS1_30default_config_static_selectorELNS0_4arch9wavefront6targetE1EEEvT1_,comdat
.Lfunc_end152:
	.size	_ZN7rocprim17ROCPRIM_400000_NS6detail17trampoline_kernelINS0_14default_configENS1_27scan_by_key_config_selectorIllEEZZNS1_16scan_by_key_implILNS1_25lookback_scan_determinismE0ELb0ES3_N6thrust23THRUST_200600_302600_NS16reverse_iteratorIPKlEESD_NSA_IPlEElN6hipcub16HIPCUB_304000_NS3MaxENSH_8EqualityElEE10hipError_tPvRmT2_T3_T4_T5_mT6_T7_P12ihipStream_tbENKUlT_T0_E_clISt17integral_constantIbLb1EES10_EEDaSV_SW_EUlSV_E_NS1_11comp_targetILNS1_3genE2ELNS1_11target_archE906ELNS1_3gpuE6ELNS1_3repE0EEENS1_30default_config_static_selectorELNS0_4arch9wavefront6targetE1EEEvT1_, .Lfunc_end152-_ZN7rocprim17ROCPRIM_400000_NS6detail17trampoline_kernelINS0_14default_configENS1_27scan_by_key_config_selectorIllEEZZNS1_16scan_by_key_implILNS1_25lookback_scan_determinismE0ELb0ES3_N6thrust23THRUST_200600_302600_NS16reverse_iteratorIPKlEESD_NSA_IPlEElN6hipcub16HIPCUB_304000_NS3MaxENSH_8EqualityElEE10hipError_tPvRmT2_T3_T4_T5_mT6_T7_P12ihipStream_tbENKUlT_T0_E_clISt17integral_constantIbLb1EES10_EEDaSV_SW_EUlSV_E_NS1_11comp_targetILNS1_3genE2ELNS1_11target_archE906ELNS1_3gpuE6ELNS1_3repE0EEENS1_30default_config_static_selectorELNS0_4arch9wavefront6targetE1EEEvT1_
                                        ; -- End function
	.section	.AMDGPU.csdata,"",@progbits
; Kernel info:
; codeLenInByte = 0
; NumSgprs: 6
; NumVgprs: 0
; NumAgprs: 0
; TotalNumVgprs: 0
; ScratchSize: 0
; MemoryBound: 0
; FloatMode: 240
; IeeeMode: 1
; LDSByteSize: 0 bytes/workgroup (compile time only)
; SGPRBlocks: 0
; VGPRBlocks: 0
; NumSGPRsForWavesPerEU: 6
; NumVGPRsForWavesPerEU: 1
; AccumOffset: 4
; Occupancy: 8
; WaveLimiterHint : 0
; COMPUTE_PGM_RSRC2:SCRATCH_EN: 0
; COMPUTE_PGM_RSRC2:USER_SGPR: 2
; COMPUTE_PGM_RSRC2:TRAP_HANDLER: 0
; COMPUTE_PGM_RSRC2:TGID_X_EN: 1
; COMPUTE_PGM_RSRC2:TGID_Y_EN: 0
; COMPUTE_PGM_RSRC2:TGID_Z_EN: 0
; COMPUTE_PGM_RSRC2:TIDIG_COMP_CNT: 0
; COMPUTE_PGM_RSRC3_GFX90A:ACCUM_OFFSET: 0
; COMPUTE_PGM_RSRC3_GFX90A:TG_SPLIT: 0
	.section	.text._ZN7rocprim17ROCPRIM_400000_NS6detail17trampoline_kernelINS0_14default_configENS1_27scan_by_key_config_selectorIllEEZZNS1_16scan_by_key_implILNS1_25lookback_scan_determinismE0ELb0ES3_N6thrust23THRUST_200600_302600_NS16reverse_iteratorIPKlEESD_NSA_IPlEElN6hipcub16HIPCUB_304000_NS3MaxENSH_8EqualityElEE10hipError_tPvRmT2_T3_T4_T5_mT6_T7_P12ihipStream_tbENKUlT_T0_E_clISt17integral_constantIbLb1EES10_EEDaSV_SW_EUlSV_E_NS1_11comp_targetILNS1_3genE10ELNS1_11target_archE1200ELNS1_3gpuE4ELNS1_3repE0EEENS1_30default_config_static_selectorELNS0_4arch9wavefront6targetE1EEEvT1_,"axG",@progbits,_ZN7rocprim17ROCPRIM_400000_NS6detail17trampoline_kernelINS0_14default_configENS1_27scan_by_key_config_selectorIllEEZZNS1_16scan_by_key_implILNS1_25lookback_scan_determinismE0ELb0ES3_N6thrust23THRUST_200600_302600_NS16reverse_iteratorIPKlEESD_NSA_IPlEElN6hipcub16HIPCUB_304000_NS3MaxENSH_8EqualityElEE10hipError_tPvRmT2_T3_T4_T5_mT6_T7_P12ihipStream_tbENKUlT_T0_E_clISt17integral_constantIbLb1EES10_EEDaSV_SW_EUlSV_E_NS1_11comp_targetILNS1_3genE10ELNS1_11target_archE1200ELNS1_3gpuE4ELNS1_3repE0EEENS1_30default_config_static_selectorELNS0_4arch9wavefront6targetE1EEEvT1_,comdat
	.protected	_ZN7rocprim17ROCPRIM_400000_NS6detail17trampoline_kernelINS0_14default_configENS1_27scan_by_key_config_selectorIllEEZZNS1_16scan_by_key_implILNS1_25lookback_scan_determinismE0ELb0ES3_N6thrust23THRUST_200600_302600_NS16reverse_iteratorIPKlEESD_NSA_IPlEElN6hipcub16HIPCUB_304000_NS3MaxENSH_8EqualityElEE10hipError_tPvRmT2_T3_T4_T5_mT6_T7_P12ihipStream_tbENKUlT_T0_E_clISt17integral_constantIbLb1EES10_EEDaSV_SW_EUlSV_E_NS1_11comp_targetILNS1_3genE10ELNS1_11target_archE1200ELNS1_3gpuE4ELNS1_3repE0EEENS1_30default_config_static_selectorELNS0_4arch9wavefront6targetE1EEEvT1_ ; -- Begin function _ZN7rocprim17ROCPRIM_400000_NS6detail17trampoline_kernelINS0_14default_configENS1_27scan_by_key_config_selectorIllEEZZNS1_16scan_by_key_implILNS1_25lookback_scan_determinismE0ELb0ES3_N6thrust23THRUST_200600_302600_NS16reverse_iteratorIPKlEESD_NSA_IPlEElN6hipcub16HIPCUB_304000_NS3MaxENSH_8EqualityElEE10hipError_tPvRmT2_T3_T4_T5_mT6_T7_P12ihipStream_tbENKUlT_T0_E_clISt17integral_constantIbLb1EES10_EEDaSV_SW_EUlSV_E_NS1_11comp_targetILNS1_3genE10ELNS1_11target_archE1200ELNS1_3gpuE4ELNS1_3repE0EEENS1_30default_config_static_selectorELNS0_4arch9wavefront6targetE1EEEvT1_
	.globl	_ZN7rocprim17ROCPRIM_400000_NS6detail17trampoline_kernelINS0_14default_configENS1_27scan_by_key_config_selectorIllEEZZNS1_16scan_by_key_implILNS1_25lookback_scan_determinismE0ELb0ES3_N6thrust23THRUST_200600_302600_NS16reverse_iteratorIPKlEESD_NSA_IPlEElN6hipcub16HIPCUB_304000_NS3MaxENSH_8EqualityElEE10hipError_tPvRmT2_T3_T4_T5_mT6_T7_P12ihipStream_tbENKUlT_T0_E_clISt17integral_constantIbLb1EES10_EEDaSV_SW_EUlSV_E_NS1_11comp_targetILNS1_3genE10ELNS1_11target_archE1200ELNS1_3gpuE4ELNS1_3repE0EEENS1_30default_config_static_selectorELNS0_4arch9wavefront6targetE1EEEvT1_
	.p2align	8
	.type	_ZN7rocprim17ROCPRIM_400000_NS6detail17trampoline_kernelINS0_14default_configENS1_27scan_by_key_config_selectorIllEEZZNS1_16scan_by_key_implILNS1_25lookback_scan_determinismE0ELb0ES3_N6thrust23THRUST_200600_302600_NS16reverse_iteratorIPKlEESD_NSA_IPlEElN6hipcub16HIPCUB_304000_NS3MaxENSH_8EqualityElEE10hipError_tPvRmT2_T3_T4_T5_mT6_T7_P12ihipStream_tbENKUlT_T0_E_clISt17integral_constantIbLb1EES10_EEDaSV_SW_EUlSV_E_NS1_11comp_targetILNS1_3genE10ELNS1_11target_archE1200ELNS1_3gpuE4ELNS1_3repE0EEENS1_30default_config_static_selectorELNS0_4arch9wavefront6targetE1EEEvT1_,@function
_ZN7rocprim17ROCPRIM_400000_NS6detail17trampoline_kernelINS0_14default_configENS1_27scan_by_key_config_selectorIllEEZZNS1_16scan_by_key_implILNS1_25lookback_scan_determinismE0ELb0ES3_N6thrust23THRUST_200600_302600_NS16reverse_iteratorIPKlEESD_NSA_IPlEElN6hipcub16HIPCUB_304000_NS3MaxENSH_8EqualityElEE10hipError_tPvRmT2_T3_T4_T5_mT6_T7_P12ihipStream_tbENKUlT_T0_E_clISt17integral_constantIbLb1EES10_EEDaSV_SW_EUlSV_E_NS1_11comp_targetILNS1_3genE10ELNS1_11target_archE1200ELNS1_3gpuE4ELNS1_3repE0EEENS1_30default_config_static_selectorELNS0_4arch9wavefront6targetE1EEEvT1_: ; @_ZN7rocprim17ROCPRIM_400000_NS6detail17trampoline_kernelINS0_14default_configENS1_27scan_by_key_config_selectorIllEEZZNS1_16scan_by_key_implILNS1_25lookback_scan_determinismE0ELb0ES3_N6thrust23THRUST_200600_302600_NS16reverse_iteratorIPKlEESD_NSA_IPlEElN6hipcub16HIPCUB_304000_NS3MaxENSH_8EqualityElEE10hipError_tPvRmT2_T3_T4_T5_mT6_T7_P12ihipStream_tbENKUlT_T0_E_clISt17integral_constantIbLb1EES10_EEDaSV_SW_EUlSV_E_NS1_11comp_targetILNS1_3genE10ELNS1_11target_archE1200ELNS1_3gpuE4ELNS1_3repE0EEENS1_30default_config_static_selectorELNS0_4arch9wavefront6targetE1EEEvT1_
; %bb.0:
	.section	.rodata,"a",@progbits
	.p2align	6, 0x0
	.amdhsa_kernel _ZN7rocprim17ROCPRIM_400000_NS6detail17trampoline_kernelINS0_14default_configENS1_27scan_by_key_config_selectorIllEEZZNS1_16scan_by_key_implILNS1_25lookback_scan_determinismE0ELb0ES3_N6thrust23THRUST_200600_302600_NS16reverse_iteratorIPKlEESD_NSA_IPlEElN6hipcub16HIPCUB_304000_NS3MaxENSH_8EqualityElEE10hipError_tPvRmT2_T3_T4_T5_mT6_T7_P12ihipStream_tbENKUlT_T0_E_clISt17integral_constantIbLb1EES10_EEDaSV_SW_EUlSV_E_NS1_11comp_targetILNS1_3genE10ELNS1_11target_archE1200ELNS1_3gpuE4ELNS1_3repE0EEENS1_30default_config_static_selectorELNS0_4arch9wavefront6targetE1EEEvT1_
		.amdhsa_group_segment_fixed_size 0
		.amdhsa_private_segment_fixed_size 0
		.amdhsa_kernarg_size 136
		.amdhsa_user_sgpr_count 2
		.amdhsa_user_sgpr_dispatch_ptr 0
		.amdhsa_user_sgpr_queue_ptr 0
		.amdhsa_user_sgpr_kernarg_segment_ptr 1
		.amdhsa_user_sgpr_dispatch_id 0
		.amdhsa_user_sgpr_kernarg_preload_length 0
		.amdhsa_user_sgpr_kernarg_preload_offset 0
		.amdhsa_user_sgpr_private_segment_size 0
		.amdhsa_uses_dynamic_stack 0
		.amdhsa_enable_private_segment 0
		.amdhsa_system_sgpr_workgroup_id_x 1
		.amdhsa_system_sgpr_workgroup_id_y 0
		.amdhsa_system_sgpr_workgroup_id_z 0
		.amdhsa_system_sgpr_workgroup_info 0
		.amdhsa_system_vgpr_workitem_id 0
		.amdhsa_next_free_vgpr 1
		.amdhsa_next_free_sgpr 0
		.amdhsa_accum_offset 4
		.amdhsa_reserve_vcc 0
		.amdhsa_float_round_mode_32 0
		.amdhsa_float_round_mode_16_64 0
		.amdhsa_float_denorm_mode_32 3
		.amdhsa_float_denorm_mode_16_64 3
		.amdhsa_dx10_clamp 1
		.amdhsa_ieee_mode 1
		.amdhsa_fp16_overflow 0
		.amdhsa_tg_split 0
		.amdhsa_exception_fp_ieee_invalid_op 0
		.amdhsa_exception_fp_denorm_src 0
		.amdhsa_exception_fp_ieee_div_zero 0
		.amdhsa_exception_fp_ieee_overflow 0
		.amdhsa_exception_fp_ieee_underflow 0
		.amdhsa_exception_fp_ieee_inexact 0
		.amdhsa_exception_int_div_zero 0
	.end_amdhsa_kernel
	.section	.text._ZN7rocprim17ROCPRIM_400000_NS6detail17trampoline_kernelINS0_14default_configENS1_27scan_by_key_config_selectorIllEEZZNS1_16scan_by_key_implILNS1_25lookback_scan_determinismE0ELb0ES3_N6thrust23THRUST_200600_302600_NS16reverse_iteratorIPKlEESD_NSA_IPlEElN6hipcub16HIPCUB_304000_NS3MaxENSH_8EqualityElEE10hipError_tPvRmT2_T3_T4_T5_mT6_T7_P12ihipStream_tbENKUlT_T0_E_clISt17integral_constantIbLb1EES10_EEDaSV_SW_EUlSV_E_NS1_11comp_targetILNS1_3genE10ELNS1_11target_archE1200ELNS1_3gpuE4ELNS1_3repE0EEENS1_30default_config_static_selectorELNS0_4arch9wavefront6targetE1EEEvT1_,"axG",@progbits,_ZN7rocprim17ROCPRIM_400000_NS6detail17trampoline_kernelINS0_14default_configENS1_27scan_by_key_config_selectorIllEEZZNS1_16scan_by_key_implILNS1_25lookback_scan_determinismE0ELb0ES3_N6thrust23THRUST_200600_302600_NS16reverse_iteratorIPKlEESD_NSA_IPlEElN6hipcub16HIPCUB_304000_NS3MaxENSH_8EqualityElEE10hipError_tPvRmT2_T3_T4_T5_mT6_T7_P12ihipStream_tbENKUlT_T0_E_clISt17integral_constantIbLb1EES10_EEDaSV_SW_EUlSV_E_NS1_11comp_targetILNS1_3genE10ELNS1_11target_archE1200ELNS1_3gpuE4ELNS1_3repE0EEENS1_30default_config_static_selectorELNS0_4arch9wavefront6targetE1EEEvT1_,comdat
.Lfunc_end153:
	.size	_ZN7rocprim17ROCPRIM_400000_NS6detail17trampoline_kernelINS0_14default_configENS1_27scan_by_key_config_selectorIllEEZZNS1_16scan_by_key_implILNS1_25lookback_scan_determinismE0ELb0ES3_N6thrust23THRUST_200600_302600_NS16reverse_iteratorIPKlEESD_NSA_IPlEElN6hipcub16HIPCUB_304000_NS3MaxENSH_8EqualityElEE10hipError_tPvRmT2_T3_T4_T5_mT6_T7_P12ihipStream_tbENKUlT_T0_E_clISt17integral_constantIbLb1EES10_EEDaSV_SW_EUlSV_E_NS1_11comp_targetILNS1_3genE10ELNS1_11target_archE1200ELNS1_3gpuE4ELNS1_3repE0EEENS1_30default_config_static_selectorELNS0_4arch9wavefront6targetE1EEEvT1_, .Lfunc_end153-_ZN7rocprim17ROCPRIM_400000_NS6detail17trampoline_kernelINS0_14default_configENS1_27scan_by_key_config_selectorIllEEZZNS1_16scan_by_key_implILNS1_25lookback_scan_determinismE0ELb0ES3_N6thrust23THRUST_200600_302600_NS16reverse_iteratorIPKlEESD_NSA_IPlEElN6hipcub16HIPCUB_304000_NS3MaxENSH_8EqualityElEE10hipError_tPvRmT2_T3_T4_T5_mT6_T7_P12ihipStream_tbENKUlT_T0_E_clISt17integral_constantIbLb1EES10_EEDaSV_SW_EUlSV_E_NS1_11comp_targetILNS1_3genE10ELNS1_11target_archE1200ELNS1_3gpuE4ELNS1_3repE0EEENS1_30default_config_static_selectorELNS0_4arch9wavefront6targetE1EEEvT1_
                                        ; -- End function
	.section	.AMDGPU.csdata,"",@progbits
; Kernel info:
; codeLenInByte = 0
; NumSgprs: 6
; NumVgprs: 0
; NumAgprs: 0
; TotalNumVgprs: 0
; ScratchSize: 0
; MemoryBound: 0
; FloatMode: 240
; IeeeMode: 1
; LDSByteSize: 0 bytes/workgroup (compile time only)
; SGPRBlocks: 0
; VGPRBlocks: 0
; NumSGPRsForWavesPerEU: 6
; NumVGPRsForWavesPerEU: 1
; AccumOffset: 4
; Occupancy: 8
; WaveLimiterHint : 0
; COMPUTE_PGM_RSRC2:SCRATCH_EN: 0
; COMPUTE_PGM_RSRC2:USER_SGPR: 2
; COMPUTE_PGM_RSRC2:TRAP_HANDLER: 0
; COMPUTE_PGM_RSRC2:TGID_X_EN: 1
; COMPUTE_PGM_RSRC2:TGID_Y_EN: 0
; COMPUTE_PGM_RSRC2:TGID_Z_EN: 0
; COMPUTE_PGM_RSRC2:TIDIG_COMP_CNT: 0
; COMPUTE_PGM_RSRC3_GFX90A:ACCUM_OFFSET: 0
; COMPUTE_PGM_RSRC3_GFX90A:TG_SPLIT: 0
	.section	.text._ZN7rocprim17ROCPRIM_400000_NS6detail17trampoline_kernelINS0_14default_configENS1_27scan_by_key_config_selectorIllEEZZNS1_16scan_by_key_implILNS1_25lookback_scan_determinismE0ELb0ES3_N6thrust23THRUST_200600_302600_NS16reverse_iteratorIPKlEESD_NSA_IPlEElN6hipcub16HIPCUB_304000_NS3MaxENSH_8EqualityElEE10hipError_tPvRmT2_T3_T4_T5_mT6_T7_P12ihipStream_tbENKUlT_T0_E_clISt17integral_constantIbLb1EES10_EEDaSV_SW_EUlSV_E_NS1_11comp_targetILNS1_3genE9ELNS1_11target_archE1100ELNS1_3gpuE3ELNS1_3repE0EEENS1_30default_config_static_selectorELNS0_4arch9wavefront6targetE1EEEvT1_,"axG",@progbits,_ZN7rocprim17ROCPRIM_400000_NS6detail17trampoline_kernelINS0_14default_configENS1_27scan_by_key_config_selectorIllEEZZNS1_16scan_by_key_implILNS1_25lookback_scan_determinismE0ELb0ES3_N6thrust23THRUST_200600_302600_NS16reverse_iteratorIPKlEESD_NSA_IPlEElN6hipcub16HIPCUB_304000_NS3MaxENSH_8EqualityElEE10hipError_tPvRmT2_T3_T4_T5_mT6_T7_P12ihipStream_tbENKUlT_T0_E_clISt17integral_constantIbLb1EES10_EEDaSV_SW_EUlSV_E_NS1_11comp_targetILNS1_3genE9ELNS1_11target_archE1100ELNS1_3gpuE3ELNS1_3repE0EEENS1_30default_config_static_selectorELNS0_4arch9wavefront6targetE1EEEvT1_,comdat
	.protected	_ZN7rocprim17ROCPRIM_400000_NS6detail17trampoline_kernelINS0_14default_configENS1_27scan_by_key_config_selectorIllEEZZNS1_16scan_by_key_implILNS1_25lookback_scan_determinismE0ELb0ES3_N6thrust23THRUST_200600_302600_NS16reverse_iteratorIPKlEESD_NSA_IPlEElN6hipcub16HIPCUB_304000_NS3MaxENSH_8EqualityElEE10hipError_tPvRmT2_T3_T4_T5_mT6_T7_P12ihipStream_tbENKUlT_T0_E_clISt17integral_constantIbLb1EES10_EEDaSV_SW_EUlSV_E_NS1_11comp_targetILNS1_3genE9ELNS1_11target_archE1100ELNS1_3gpuE3ELNS1_3repE0EEENS1_30default_config_static_selectorELNS0_4arch9wavefront6targetE1EEEvT1_ ; -- Begin function _ZN7rocprim17ROCPRIM_400000_NS6detail17trampoline_kernelINS0_14default_configENS1_27scan_by_key_config_selectorIllEEZZNS1_16scan_by_key_implILNS1_25lookback_scan_determinismE0ELb0ES3_N6thrust23THRUST_200600_302600_NS16reverse_iteratorIPKlEESD_NSA_IPlEElN6hipcub16HIPCUB_304000_NS3MaxENSH_8EqualityElEE10hipError_tPvRmT2_T3_T4_T5_mT6_T7_P12ihipStream_tbENKUlT_T0_E_clISt17integral_constantIbLb1EES10_EEDaSV_SW_EUlSV_E_NS1_11comp_targetILNS1_3genE9ELNS1_11target_archE1100ELNS1_3gpuE3ELNS1_3repE0EEENS1_30default_config_static_selectorELNS0_4arch9wavefront6targetE1EEEvT1_
	.globl	_ZN7rocprim17ROCPRIM_400000_NS6detail17trampoline_kernelINS0_14default_configENS1_27scan_by_key_config_selectorIllEEZZNS1_16scan_by_key_implILNS1_25lookback_scan_determinismE0ELb0ES3_N6thrust23THRUST_200600_302600_NS16reverse_iteratorIPKlEESD_NSA_IPlEElN6hipcub16HIPCUB_304000_NS3MaxENSH_8EqualityElEE10hipError_tPvRmT2_T3_T4_T5_mT6_T7_P12ihipStream_tbENKUlT_T0_E_clISt17integral_constantIbLb1EES10_EEDaSV_SW_EUlSV_E_NS1_11comp_targetILNS1_3genE9ELNS1_11target_archE1100ELNS1_3gpuE3ELNS1_3repE0EEENS1_30default_config_static_selectorELNS0_4arch9wavefront6targetE1EEEvT1_
	.p2align	8
	.type	_ZN7rocprim17ROCPRIM_400000_NS6detail17trampoline_kernelINS0_14default_configENS1_27scan_by_key_config_selectorIllEEZZNS1_16scan_by_key_implILNS1_25lookback_scan_determinismE0ELb0ES3_N6thrust23THRUST_200600_302600_NS16reverse_iteratorIPKlEESD_NSA_IPlEElN6hipcub16HIPCUB_304000_NS3MaxENSH_8EqualityElEE10hipError_tPvRmT2_T3_T4_T5_mT6_T7_P12ihipStream_tbENKUlT_T0_E_clISt17integral_constantIbLb1EES10_EEDaSV_SW_EUlSV_E_NS1_11comp_targetILNS1_3genE9ELNS1_11target_archE1100ELNS1_3gpuE3ELNS1_3repE0EEENS1_30default_config_static_selectorELNS0_4arch9wavefront6targetE1EEEvT1_,@function
_ZN7rocprim17ROCPRIM_400000_NS6detail17trampoline_kernelINS0_14default_configENS1_27scan_by_key_config_selectorIllEEZZNS1_16scan_by_key_implILNS1_25lookback_scan_determinismE0ELb0ES3_N6thrust23THRUST_200600_302600_NS16reverse_iteratorIPKlEESD_NSA_IPlEElN6hipcub16HIPCUB_304000_NS3MaxENSH_8EqualityElEE10hipError_tPvRmT2_T3_T4_T5_mT6_T7_P12ihipStream_tbENKUlT_T0_E_clISt17integral_constantIbLb1EES10_EEDaSV_SW_EUlSV_E_NS1_11comp_targetILNS1_3genE9ELNS1_11target_archE1100ELNS1_3gpuE3ELNS1_3repE0EEENS1_30default_config_static_selectorELNS0_4arch9wavefront6targetE1EEEvT1_: ; @_ZN7rocprim17ROCPRIM_400000_NS6detail17trampoline_kernelINS0_14default_configENS1_27scan_by_key_config_selectorIllEEZZNS1_16scan_by_key_implILNS1_25lookback_scan_determinismE0ELb0ES3_N6thrust23THRUST_200600_302600_NS16reverse_iteratorIPKlEESD_NSA_IPlEElN6hipcub16HIPCUB_304000_NS3MaxENSH_8EqualityElEE10hipError_tPvRmT2_T3_T4_T5_mT6_T7_P12ihipStream_tbENKUlT_T0_E_clISt17integral_constantIbLb1EES10_EEDaSV_SW_EUlSV_E_NS1_11comp_targetILNS1_3genE9ELNS1_11target_archE1100ELNS1_3gpuE3ELNS1_3repE0EEENS1_30default_config_static_selectorELNS0_4arch9wavefront6targetE1EEEvT1_
; %bb.0:
	.section	.rodata,"a",@progbits
	.p2align	6, 0x0
	.amdhsa_kernel _ZN7rocprim17ROCPRIM_400000_NS6detail17trampoline_kernelINS0_14default_configENS1_27scan_by_key_config_selectorIllEEZZNS1_16scan_by_key_implILNS1_25lookback_scan_determinismE0ELb0ES3_N6thrust23THRUST_200600_302600_NS16reverse_iteratorIPKlEESD_NSA_IPlEElN6hipcub16HIPCUB_304000_NS3MaxENSH_8EqualityElEE10hipError_tPvRmT2_T3_T4_T5_mT6_T7_P12ihipStream_tbENKUlT_T0_E_clISt17integral_constantIbLb1EES10_EEDaSV_SW_EUlSV_E_NS1_11comp_targetILNS1_3genE9ELNS1_11target_archE1100ELNS1_3gpuE3ELNS1_3repE0EEENS1_30default_config_static_selectorELNS0_4arch9wavefront6targetE1EEEvT1_
		.amdhsa_group_segment_fixed_size 0
		.amdhsa_private_segment_fixed_size 0
		.amdhsa_kernarg_size 136
		.amdhsa_user_sgpr_count 2
		.amdhsa_user_sgpr_dispatch_ptr 0
		.amdhsa_user_sgpr_queue_ptr 0
		.amdhsa_user_sgpr_kernarg_segment_ptr 1
		.amdhsa_user_sgpr_dispatch_id 0
		.amdhsa_user_sgpr_kernarg_preload_length 0
		.amdhsa_user_sgpr_kernarg_preload_offset 0
		.amdhsa_user_sgpr_private_segment_size 0
		.amdhsa_uses_dynamic_stack 0
		.amdhsa_enable_private_segment 0
		.amdhsa_system_sgpr_workgroup_id_x 1
		.amdhsa_system_sgpr_workgroup_id_y 0
		.amdhsa_system_sgpr_workgroup_id_z 0
		.amdhsa_system_sgpr_workgroup_info 0
		.amdhsa_system_vgpr_workitem_id 0
		.amdhsa_next_free_vgpr 1
		.amdhsa_next_free_sgpr 0
		.amdhsa_accum_offset 4
		.amdhsa_reserve_vcc 0
		.amdhsa_float_round_mode_32 0
		.amdhsa_float_round_mode_16_64 0
		.amdhsa_float_denorm_mode_32 3
		.amdhsa_float_denorm_mode_16_64 3
		.amdhsa_dx10_clamp 1
		.amdhsa_ieee_mode 1
		.amdhsa_fp16_overflow 0
		.amdhsa_tg_split 0
		.amdhsa_exception_fp_ieee_invalid_op 0
		.amdhsa_exception_fp_denorm_src 0
		.amdhsa_exception_fp_ieee_div_zero 0
		.amdhsa_exception_fp_ieee_overflow 0
		.amdhsa_exception_fp_ieee_underflow 0
		.amdhsa_exception_fp_ieee_inexact 0
		.amdhsa_exception_int_div_zero 0
	.end_amdhsa_kernel
	.section	.text._ZN7rocprim17ROCPRIM_400000_NS6detail17trampoline_kernelINS0_14default_configENS1_27scan_by_key_config_selectorIllEEZZNS1_16scan_by_key_implILNS1_25lookback_scan_determinismE0ELb0ES3_N6thrust23THRUST_200600_302600_NS16reverse_iteratorIPKlEESD_NSA_IPlEElN6hipcub16HIPCUB_304000_NS3MaxENSH_8EqualityElEE10hipError_tPvRmT2_T3_T4_T5_mT6_T7_P12ihipStream_tbENKUlT_T0_E_clISt17integral_constantIbLb1EES10_EEDaSV_SW_EUlSV_E_NS1_11comp_targetILNS1_3genE9ELNS1_11target_archE1100ELNS1_3gpuE3ELNS1_3repE0EEENS1_30default_config_static_selectorELNS0_4arch9wavefront6targetE1EEEvT1_,"axG",@progbits,_ZN7rocprim17ROCPRIM_400000_NS6detail17trampoline_kernelINS0_14default_configENS1_27scan_by_key_config_selectorIllEEZZNS1_16scan_by_key_implILNS1_25lookback_scan_determinismE0ELb0ES3_N6thrust23THRUST_200600_302600_NS16reverse_iteratorIPKlEESD_NSA_IPlEElN6hipcub16HIPCUB_304000_NS3MaxENSH_8EqualityElEE10hipError_tPvRmT2_T3_T4_T5_mT6_T7_P12ihipStream_tbENKUlT_T0_E_clISt17integral_constantIbLb1EES10_EEDaSV_SW_EUlSV_E_NS1_11comp_targetILNS1_3genE9ELNS1_11target_archE1100ELNS1_3gpuE3ELNS1_3repE0EEENS1_30default_config_static_selectorELNS0_4arch9wavefront6targetE1EEEvT1_,comdat
.Lfunc_end154:
	.size	_ZN7rocprim17ROCPRIM_400000_NS6detail17trampoline_kernelINS0_14default_configENS1_27scan_by_key_config_selectorIllEEZZNS1_16scan_by_key_implILNS1_25lookback_scan_determinismE0ELb0ES3_N6thrust23THRUST_200600_302600_NS16reverse_iteratorIPKlEESD_NSA_IPlEElN6hipcub16HIPCUB_304000_NS3MaxENSH_8EqualityElEE10hipError_tPvRmT2_T3_T4_T5_mT6_T7_P12ihipStream_tbENKUlT_T0_E_clISt17integral_constantIbLb1EES10_EEDaSV_SW_EUlSV_E_NS1_11comp_targetILNS1_3genE9ELNS1_11target_archE1100ELNS1_3gpuE3ELNS1_3repE0EEENS1_30default_config_static_selectorELNS0_4arch9wavefront6targetE1EEEvT1_, .Lfunc_end154-_ZN7rocprim17ROCPRIM_400000_NS6detail17trampoline_kernelINS0_14default_configENS1_27scan_by_key_config_selectorIllEEZZNS1_16scan_by_key_implILNS1_25lookback_scan_determinismE0ELb0ES3_N6thrust23THRUST_200600_302600_NS16reverse_iteratorIPKlEESD_NSA_IPlEElN6hipcub16HIPCUB_304000_NS3MaxENSH_8EqualityElEE10hipError_tPvRmT2_T3_T4_T5_mT6_T7_P12ihipStream_tbENKUlT_T0_E_clISt17integral_constantIbLb1EES10_EEDaSV_SW_EUlSV_E_NS1_11comp_targetILNS1_3genE9ELNS1_11target_archE1100ELNS1_3gpuE3ELNS1_3repE0EEENS1_30default_config_static_selectorELNS0_4arch9wavefront6targetE1EEEvT1_
                                        ; -- End function
	.section	.AMDGPU.csdata,"",@progbits
; Kernel info:
; codeLenInByte = 0
; NumSgprs: 6
; NumVgprs: 0
; NumAgprs: 0
; TotalNumVgprs: 0
; ScratchSize: 0
; MemoryBound: 0
; FloatMode: 240
; IeeeMode: 1
; LDSByteSize: 0 bytes/workgroup (compile time only)
; SGPRBlocks: 0
; VGPRBlocks: 0
; NumSGPRsForWavesPerEU: 6
; NumVGPRsForWavesPerEU: 1
; AccumOffset: 4
; Occupancy: 8
; WaveLimiterHint : 0
; COMPUTE_PGM_RSRC2:SCRATCH_EN: 0
; COMPUTE_PGM_RSRC2:USER_SGPR: 2
; COMPUTE_PGM_RSRC2:TRAP_HANDLER: 0
; COMPUTE_PGM_RSRC2:TGID_X_EN: 1
; COMPUTE_PGM_RSRC2:TGID_Y_EN: 0
; COMPUTE_PGM_RSRC2:TGID_Z_EN: 0
; COMPUTE_PGM_RSRC2:TIDIG_COMP_CNT: 0
; COMPUTE_PGM_RSRC3_GFX90A:ACCUM_OFFSET: 0
; COMPUTE_PGM_RSRC3_GFX90A:TG_SPLIT: 0
	.section	.text._ZN7rocprim17ROCPRIM_400000_NS6detail17trampoline_kernelINS0_14default_configENS1_27scan_by_key_config_selectorIllEEZZNS1_16scan_by_key_implILNS1_25lookback_scan_determinismE0ELb0ES3_N6thrust23THRUST_200600_302600_NS16reverse_iteratorIPKlEESD_NSA_IPlEElN6hipcub16HIPCUB_304000_NS3MaxENSH_8EqualityElEE10hipError_tPvRmT2_T3_T4_T5_mT6_T7_P12ihipStream_tbENKUlT_T0_E_clISt17integral_constantIbLb1EES10_EEDaSV_SW_EUlSV_E_NS1_11comp_targetILNS1_3genE8ELNS1_11target_archE1030ELNS1_3gpuE2ELNS1_3repE0EEENS1_30default_config_static_selectorELNS0_4arch9wavefront6targetE1EEEvT1_,"axG",@progbits,_ZN7rocprim17ROCPRIM_400000_NS6detail17trampoline_kernelINS0_14default_configENS1_27scan_by_key_config_selectorIllEEZZNS1_16scan_by_key_implILNS1_25lookback_scan_determinismE0ELb0ES3_N6thrust23THRUST_200600_302600_NS16reverse_iteratorIPKlEESD_NSA_IPlEElN6hipcub16HIPCUB_304000_NS3MaxENSH_8EqualityElEE10hipError_tPvRmT2_T3_T4_T5_mT6_T7_P12ihipStream_tbENKUlT_T0_E_clISt17integral_constantIbLb1EES10_EEDaSV_SW_EUlSV_E_NS1_11comp_targetILNS1_3genE8ELNS1_11target_archE1030ELNS1_3gpuE2ELNS1_3repE0EEENS1_30default_config_static_selectorELNS0_4arch9wavefront6targetE1EEEvT1_,comdat
	.protected	_ZN7rocprim17ROCPRIM_400000_NS6detail17trampoline_kernelINS0_14default_configENS1_27scan_by_key_config_selectorIllEEZZNS1_16scan_by_key_implILNS1_25lookback_scan_determinismE0ELb0ES3_N6thrust23THRUST_200600_302600_NS16reverse_iteratorIPKlEESD_NSA_IPlEElN6hipcub16HIPCUB_304000_NS3MaxENSH_8EqualityElEE10hipError_tPvRmT2_T3_T4_T5_mT6_T7_P12ihipStream_tbENKUlT_T0_E_clISt17integral_constantIbLb1EES10_EEDaSV_SW_EUlSV_E_NS1_11comp_targetILNS1_3genE8ELNS1_11target_archE1030ELNS1_3gpuE2ELNS1_3repE0EEENS1_30default_config_static_selectorELNS0_4arch9wavefront6targetE1EEEvT1_ ; -- Begin function _ZN7rocprim17ROCPRIM_400000_NS6detail17trampoline_kernelINS0_14default_configENS1_27scan_by_key_config_selectorIllEEZZNS1_16scan_by_key_implILNS1_25lookback_scan_determinismE0ELb0ES3_N6thrust23THRUST_200600_302600_NS16reverse_iteratorIPKlEESD_NSA_IPlEElN6hipcub16HIPCUB_304000_NS3MaxENSH_8EqualityElEE10hipError_tPvRmT2_T3_T4_T5_mT6_T7_P12ihipStream_tbENKUlT_T0_E_clISt17integral_constantIbLb1EES10_EEDaSV_SW_EUlSV_E_NS1_11comp_targetILNS1_3genE8ELNS1_11target_archE1030ELNS1_3gpuE2ELNS1_3repE0EEENS1_30default_config_static_selectorELNS0_4arch9wavefront6targetE1EEEvT1_
	.globl	_ZN7rocprim17ROCPRIM_400000_NS6detail17trampoline_kernelINS0_14default_configENS1_27scan_by_key_config_selectorIllEEZZNS1_16scan_by_key_implILNS1_25lookback_scan_determinismE0ELb0ES3_N6thrust23THRUST_200600_302600_NS16reverse_iteratorIPKlEESD_NSA_IPlEElN6hipcub16HIPCUB_304000_NS3MaxENSH_8EqualityElEE10hipError_tPvRmT2_T3_T4_T5_mT6_T7_P12ihipStream_tbENKUlT_T0_E_clISt17integral_constantIbLb1EES10_EEDaSV_SW_EUlSV_E_NS1_11comp_targetILNS1_3genE8ELNS1_11target_archE1030ELNS1_3gpuE2ELNS1_3repE0EEENS1_30default_config_static_selectorELNS0_4arch9wavefront6targetE1EEEvT1_
	.p2align	8
	.type	_ZN7rocprim17ROCPRIM_400000_NS6detail17trampoline_kernelINS0_14default_configENS1_27scan_by_key_config_selectorIllEEZZNS1_16scan_by_key_implILNS1_25lookback_scan_determinismE0ELb0ES3_N6thrust23THRUST_200600_302600_NS16reverse_iteratorIPKlEESD_NSA_IPlEElN6hipcub16HIPCUB_304000_NS3MaxENSH_8EqualityElEE10hipError_tPvRmT2_T3_T4_T5_mT6_T7_P12ihipStream_tbENKUlT_T0_E_clISt17integral_constantIbLb1EES10_EEDaSV_SW_EUlSV_E_NS1_11comp_targetILNS1_3genE8ELNS1_11target_archE1030ELNS1_3gpuE2ELNS1_3repE0EEENS1_30default_config_static_selectorELNS0_4arch9wavefront6targetE1EEEvT1_,@function
_ZN7rocprim17ROCPRIM_400000_NS6detail17trampoline_kernelINS0_14default_configENS1_27scan_by_key_config_selectorIllEEZZNS1_16scan_by_key_implILNS1_25lookback_scan_determinismE0ELb0ES3_N6thrust23THRUST_200600_302600_NS16reverse_iteratorIPKlEESD_NSA_IPlEElN6hipcub16HIPCUB_304000_NS3MaxENSH_8EqualityElEE10hipError_tPvRmT2_T3_T4_T5_mT6_T7_P12ihipStream_tbENKUlT_T0_E_clISt17integral_constantIbLb1EES10_EEDaSV_SW_EUlSV_E_NS1_11comp_targetILNS1_3genE8ELNS1_11target_archE1030ELNS1_3gpuE2ELNS1_3repE0EEENS1_30default_config_static_selectorELNS0_4arch9wavefront6targetE1EEEvT1_: ; @_ZN7rocprim17ROCPRIM_400000_NS6detail17trampoline_kernelINS0_14default_configENS1_27scan_by_key_config_selectorIllEEZZNS1_16scan_by_key_implILNS1_25lookback_scan_determinismE0ELb0ES3_N6thrust23THRUST_200600_302600_NS16reverse_iteratorIPKlEESD_NSA_IPlEElN6hipcub16HIPCUB_304000_NS3MaxENSH_8EqualityElEE10hipError_tPvRmT2_T3_T4_T5_mT6_T7_P12ihipStream_tbENKUlT_T0_E_clISt17integral_constantIbLb1EES10_EEDaSV_SW_EUlSV_E_NS1_11comp_targetILNS1_3genE8ELNS1_11target_archE1030ELNS1_3gpuE2ELNS1_3repE0EEENS1_30default_config_static_selectorELNS0_4arch9wavefront6targetE1EEEvT1_
; %bb.0:
	.section	.rodata,"a",@progbits
	.p2align	6, 0x0
	.amdhsa_kernel _ZN7rocprim17ROCPRIM_400000_NS6detail17trampoline_kernelINS0_14default_configENS1_27scan_by_key_config_selectorIllEEZZNS1_16scan_by_key_implILNS1_25lookback_scan_determinismE0ELb0ES3_N6thrust23THRUST_200600_302600_NS16reverse_iteratorIPKlEESD_NSA_IPlEElN6hipcub16HIPCUB_304000_NS3MaxENSH_8EqualityElEE10hipError_tPvRmT2_T3_T4_T5_mT6_T7_P12ihipStream_tbENKUlT_T0_E_clISt17integral_constantIbLb1EES10_EEDaSV_SW_EUlSV_E_NS1_11comp_targetILNS1_3genE8ELNS1_11target_archE1030ELNS1_3gpuE2ELNS1_3repE0EEENS1_30default_config_static_selectorELNS0_4arch9wavefront6targetE1EEEvT1_
		.amdhsa_group_segment_fixed_size 0
		.amdhsa_private_segment_fixed_size 0
		.amdhsa_kernarg_size 136
		.amdhsa_user_sgpr_count 2
		.amdhsa_user_sgpr_dispatch_ptr 0
		.amdhsa_user_sgpr_queue_ptr 0
		.amdhsa_user_sgpr_kernarg_segment_ptr 1
		.amdhsa_user_sgpr_dispatch_id 0
		.amdhsa_user_sgpr_kernarg_preload_length 0
		.amdhsa_user_sgpr_kernarg_preload_offset 0
		.amdhsa_user_sgpr_private_segment_size 0
		.amdhsa_uses_dynamic_stack 0
		.amdhsa_enable_private_segment 0
		.amdhsa_system_sgpr_workgroup_id_x 1
		.amdhsa_system_sgpr_workgroup_id_y 0
		.amdhsa_system_sgpr_workgroup_id_z 0
		.amdhsa_system_sgpr_workgroup_info 0
		.amdhsa_system_vgpr_workitem_id 0
		.amdhsa_next_free_vgpr 1
		.amdhsa_next_free_sgpr 0
		.amdhsa_accum_offset 4
		.amdhsa_reserve_vcc 0
		.amdhsa_float_round_mode_32 0
		.amdhsa_float_round_mode_16_64 0
		.amdhsa_float_denorm_mode_32 3
		.amdhsa_float_denorm_mode_16_64 3
		.amdhsa_dx10_clamp 1
		.amdhsa_ieee_mode 1
		.amdhsa_fp16_overflow 0
		.amdhsa_tg_split 0
		.amdhsa_exception_fp_ieee_invalid_op 0
		.amdhsa_exception_fp_denorm_src 0
		.amdhsa_exception_fp_ieee_div_zero 0
		.amdhsa_exception_fp_ieee_overflow 0
		.amdhsa_exception_fp_ieee_underflow 0
		.amdhsa_exception_fp_ieee_inexact 0
		.amdhsa_exception_int_div_zero 0
	.end_amdhsa_kernel
	.section	.text._ZN7rocprim17ROCPRIM_400000_NS6detail17trampoline_kernelINS0_14default_configENS1_27scan_by_key_config_selectorIllEEZZNS1_16scan_by_key_implILNS1_25lookback_scan_determinismE0ELb0ES3_N6thrust23THRUST_200600_302600_NS16reverse_iteratorIPKlEESD_NSA_IPlEElN6hipcub16HIPCUB_304000_NS3MaxENSH_8EqualityElEE10hipError_tPvRmT2_T3_T4_T5_mT6_T7_P12ihipStream_tbENKUlT_T0_E_clISt17integral_constantIbLb1EES10_EEDaSV_SW_EUlSV_E_NS1_11comp_targetILNS1_3genE8ELNS1_11target_archE1030ELNS1_3gpuE2ELNS1_3repE0EEENS1_30default_config_static_selectorELNS0_4arch9wavefront6targetE1EEEvT1_,"axG",@progbits,_ZN7rocprim17ROCPRIM_400000_NS6detail17trampoline_kernelINS0_14default_configENS1_27scan_by_key_config_selectorIllEEZZNS1_16scan_by_key_implILNS1_25lookback_scan_determinismE0ELb0ES3_N6thrust23THRUST_200600_302600_NS16reverse_iteratorIPKlEESD_NSA_IPlEElN6hipcub16HIPCUB_304000_NS3MaxENSH_8EqualityElEE10hipError_tPvRmT2_T3_T4_T5_mT6_T7_P12ihipStream_tbENKUlT_T0_E_clISt17integral_constantIbLb1EES10_EEDaSV_SW_EUlSV_E_NS1_11comp_targetILNS1_3genE8ELNS1_11target_archE1030ELNS1_3gpuE2ELNS1_3repE0EEENS1_30default_config_static_selectorELNS0_4arch9wavefront6targetE1EEEvT1_,comdat
.Lfunc_end155:
	.size	_ZN7rocprim17ROCPRIM_400000_NS6detail17trampoline_kernelINS0_14default_configENS1_27scan_by_key_config_selectorIllEEZZNS1_16scan_by_key_implILNS1_25lookback_scan_determinismE0ELb0ES3_N6thrust23THRUST_200600_302600_NS16reverse_iteratorIPKlEESD_NSA_IPlEElN6hipcub16HIPCUB_304000_NS3MaxENSH_8EqualityElEE10hipError_tPvRmT2_T3_T4_T5_mT6_T7_P12ihipStream_tbENKUlT_T0_E_clISt17integral_constantIbLb1EES10_EEDaSV_SW_EUlSV_E_NS1_11comp_targetILNS1_3genE8ELNS1_11target_archE1030ELNS1_3gpuE2ELNS1_3repE0EEENS1_30default_config_static_selectorELNS0_4arch9wavefront6targetE1EEEvT1_, .Lfunc_end155-_ZN7rocprim17ROCPRIM_400000_NS6detail17trampoline_kernelINS0_14default_configENS1_27scan_by_key_config_selectorIllEEZZNS1_16scan_by_key_implILNS1_25lookback_scan_determinismE0ELb0ES3_N6thrust23THRUST_200600_302600_NS16reverse_iteratorIPKlEESD_NSA_IPlEElN6hipcub16HIPCUB_304000_NS3MaxENSH_8EqualityElEE10hipError_tPvRmT2_T3_T4_T5_mT6_T7_P12ihipStream_tbENKUlT_T0_E_clISt17integral_constantIbLb1EES10_EEDaSV_SW_EUlSV_E_NS1_11comp_targetILNS1_3genE8ELNS1_11target_archE1030ELNS1_3gpuE2ELNS1_3repE0EEENS1_30default_config_static_selectorELNS0_4arch9wavefront6targetE1EEEvT1_
                                        ; -- End function
	.section	.AMDGPU.csdata,"",@progbits
; Kernel info:
; codeLenInByte = 0
; NumSgprs: 6
; NumVgprs: 0
; NumAgprs: 0
; TotalNumVgprs: 0
; ScratchSize: 0
; MemoryBound: 0
; FloatMode: 240
; IeeeMode: 1
; LDSByteSize: 0 bytes/workgroup (compile time only)
; SGPRBlocks: 0
; VGPRBlocks: 0
; NumSGPRsForWavesPerEU: 6
; NumVGPRsForWavesPerEU: 1
; AccumOffset: 4
; Occupancy: 8
; WaveLimiterHint : 0
; COMPUTE_PGM_RSRC2:SCRATCH_EN: 0
; COMPUTE_PGM_RSRC2:USER_SGPR: 2
; COMPUTE_PGM_RSRC2:TRAP_HANDLER: 0
; COMPUTE_PGM_RSRC2:TGID_X_EN: 1
; COMPUTE_PGM_RSRC2:TGID_Y_EN: 0
; COMPUTE_PGM_RSRC2:TGID_Z_EN: 0
; COMPUTE_PGM_RSRC2:TIDIG_COMP_CNT: 0
; COMPUTE_PGM_RSRC3_GFX90A:ACCUM_OFFSET: 0
; COMPUTE_PGM_RSRC3_GFX90A:TG_SPLIT: 0
	.section	.text._ZN7rocprim17ROCPRIM_400000_NS6detail30init_device_scan_by_key_kernelINS1_19lookback_scan_stateINS0_5tupleIJlbEEELb1ELb0EEEN6thrust23THRUST_200600_302600_NS16reverse_iteratorIPKlEEjNS1_16block_id_wrapperIjLb0EEEEEvT_jjPNSF_10value_typeET0_PNSt15iterator_traitsISI_E10value_typeEmT1_T2_,"axG",@progbits,_ZN7rocprim17ROCPRIM_400000_NS6detail30init_device_scan_by_key_kernelINS1_19lookback_scan_stateINS0_5tupleIJlbEEELb1ELb0EEEN6thrust23THRUST_200600_302600_NS16reverse_iteratorIPKlEEjNS1_16block_id_wrapperIjLb0EEEEEvT_jjPNSF_10value_typeET0_PNSt15iterator_traitsISI_E10value_typeEmT1_T2_,comdat
	.protected	_ZN7rocprim17ROCPRIM_400000_NS6detail30init_device_scan_by_key_kernelINS1_19lookback_scan_stateINS0_5tupleIJlbEEELb1ELb0EEEN6thrust23THRUST_200600_302600_NS16reverse_iteratorIPKlEEjNS1_16block_id_wrapperIjLb0EEEEEvT_jjPNSF_10value_typeET0_PNSt15iterator_traitsISI_E10value_typeEmT1_T2_ ; -- Begin function _ZN7rocprim17ROCPRIM_400000_NS6detail30init_device_scan_by_key_kernelINS1_19lookback_scan_stateINS0_5tupleIJlbEEELb1ELb0EEEN6thrust23THRUST_200600_302600_NS16reverse_iteratorIPKlEEjNS1_16block_id_wrapperIjLb0EEEEEvT_jjPNSF_10value_typeET0_PNSt15iterator_traitsISI_E10value_typeEmT1_T2_
	.globl	_ZN7rocprim17ROCPRIM_400000_NS6detail30init_device_scan_by_key_kernelINS1_19lookback_scan_stateINS0_5tupleIJlbEEELb1ELb0EEEN6thrust23THRUST_200600_302600_NS16reverse_iteratorIPKlEEjNS1_16block_id_wrapperIjLb0EEEEEvT_jjPNSF_10value_typeET0_PNSt15iterator_traitsISI_E10value_typeEmT1_T2_
	.p2align	8
	.type	_ZN7rocprim17ROCPRIM_400000_NS6detail30init_device_scan_by_key_kernelINS1_19lookback_scan_stateINS0_5tupleIJlbEEELb1ELb0EEEN6thrust23THRUST_200600_302600_NS16reverse_iteratorIPKlEEjNS1_16block_id_wrapperIjLb0EEEEEvT_jjPNSF_10value_typeET0_PNSt15iterator_traitsISI_E10value_typeEmT1_T2_,@function
_ZN7rocprim17ROCPRIM_400000_NS6detail30init_device_scan_by_key_kernelINS1_19lookback_scan_stateINS0_5tupleIJlbEEELb1ELb0EEEN6thrust23THRUST_200600_302600_NS16reverse_iteratorIPKlEEjNS1_16block_id_wrapperIjLb0EEEEEvT_jjPNSF_10value_typeET0_PNSt15iterator_traitsISI_E10value_typeEmT1_T2_: ; @_ZN7rocprim17ROCPRIM_400000_NS6detail30init_device_scan_by_key_kernelINS1_19lookback_scan_stateINS0_5tupleIJlbEEELb1ELb0EEEN6thrust23THRUST_200600_302600_NS16reverse_iteratorIPKlEEjNS1_16block_id_wrapperIjLb0EEEEEvT_jjPNSF_10value_typeET0_PNSt15iterator_traitsISI_E10value_typeEmT1_T2_
; %bb.0:
	s_load_dword s3, s[0:1], 0x54
	s_load_dwordx8 s[4:11], s[0:1], 0x10
	s_load_dword s20, s[0:1], 0x48
	s_waitcnt lgkmcnt(0)
	s_and_b32 s21, s3, 0xffff
	s_mul_i32 s2, s2, s21
	s_cmp_eq_u64 s[8:9], 0
	v_add_u32_e32 v0, s2, v0
	s_cbranch_scc1 .LBB156_11
; %bb.1:
	s_cmp_lt_u32 s7, s6
	s_cselect_b32 s2, s7, 0
	s_mov_b32 s17, 0
	v_cmp_eq_u32_e32 vcc, s2, v0
	s_and_saveexec_b64 s[2:3], vcc
	s_cbranch_execz .LBB156_10
; %bb.2:
	s_add_i32 s16, s7, 64
	v_mov_b32_e32 v1, s16
	global_load_ubyte v1, v1, s[4:5] sc1
	s_load_dwordx4 s[12:15], s[0:1], 0x0
	s_add_u32 s18, s4, s16
	s_addc_u32 s19, s5, 0
	s_waitcnt vmcnt(0)
	v_cmp_ne_u16_e32 vcc, 0, v1
	v_readfirstlane_b32 s7, v1
	s_cbranch_vccz .LBB156_4
; %bb.3:
	s_and_b32 s7, 0xffff, s7
	s_branch .LBB156_9
.LBB156_4:
	s_mov_b32 s7, 1
	v_mov_b32_e32 v1, 0
.LBB156_5:                              ; =>This Loop Header: Depth=1
                                        ;     Child Loop BB156_6 Depth 2
	s_max_u32 s22, s7, 1
.LBB156_6:                              ;   Parent Loop BB156_5 Depth=1
                                        ; =>  This Inner Loop Header: Depth=2
	s_add_i32 s22, s22, -1
	s_cmp_eq_u32 s22, 0
	s_sleep 1
	s_cbranch_scc0 .LBB156_6
; %bb.7:                                ;   in Loop: Header=BB156_5 Depth=1
	global_load_ubyte v2, v1, s[18:19] sc1
	s_cmp_lt_u32 s7, 32
	s_cselect_b64 s[22:23], -1, 0
	s_cmp_lg_u64 s[22:23], 0
	s_addc_u32 s7, s7, 0
	s_waitcnt vmcnt(0)
	v_cmp_ne_u16_e32 vcc, 0, v2
	v_readfirstlane_b32 s22, v2
	s_cbranch_vccz .LBB156_5
; %bb.8:
	s_and_b32 s7, 0xffff, s22
.LBB156_9:
	s_cmp_eq_u32 s7, 1
	s_waitcnt lgkmcnt(0)
	s_cselect_b32 s7, s13, s15
	s_cselect_b32 s14, s12, s14
	s_lshl_b64 s[12:13], s[16:17], 4
	s_add_u32 s12, s14, s12
	s_addc_u32 s13, s7, s13
	v_mov_b32_e32 v1, 0
	s_waitcnt vmcnt(0)
	global_load_dword v2, v1, s[12:13] sc1
	global_load_dword v3, v1, s[12:13] offset:4 sc1
	global_load_dword v4, v1, s[12:13] offset:8 sc1
	;; [unrolled: 1-line block ×3, first 2 shown]
	s_waitcnt vmcnt(2)
	global_store_dwordx2 v1, v[2:3], s[8:9]
	s_waitcnt vmcnt(2)
	global_store_byte v1, v4, s[8:9] offset:8
.LBB156_10:
	s_or_b64 exec, exec, s[2:3]
.LBB156_11:
	v_cmp_gt_u32_e32 vcc, s6, v0
	s_and_saveexec_b64 s[2:3], vcc
	s_cbranch_execz .LBB156_13
; %bb.12:
	v_add_u32_e32 v1, 64, v0
	v_mov_b32_e32 v2, 0
	global_store_byte v1, v2, s[4:5]
.LBB156_13:
	s_or_b64 exec, exec, s[2:3]
	v_cmp_gt_u32_e32 vcc, 64, v0
	v_mov_b32_e32 v1, 0
	s_and_saveexec_b64 s[2:3], vcc
	s_cbranch_execz .LBB156_15
; %bb.14:
	v_lshl_add_u64 v[2:3], s[4:5], 0, v[0:1]
	v_mov_b32_e32 v4, 0xff
	global_store_byte v[2:3], v4, off
.LBB156_15:
	s_or_b64 exec, exec, s[2:3]
	s_load_dwordx2 s[2:3], s[0:1], 0x38
	s_waitcnt lgkmcnt(0)
	v_cmp_gt_u64_e32 vcc, s[2:3], v[0:1]
	s_and_saveexec_b64 s[4:5], vcc
	s_cbranch_execz .LBB156_18
; %bb.16:
	s_load_dword s6, s[0:1], 0x40
	s_load_dwordx2 s[8:9], s[0:1], 0x30
	v_mov_b32_e32 v3, 0
	s_mul_i32 s0, s20, s21
	v_mov_b32_e32 v4, s11
	s_waitcnt lgkmcnt(0)
	s_add_i32 s4, s6, -1
	v_mov_b32_e32 v2, s4
	v_mad_u64_u32 v[2:3], s[4:5], s6, v0, v[2:3]
	v_lshlrev_b64 v[2:3], 3, v[2:3]
	s_mul_hi_u32 s5, s6, s0
	s_mul_i32 s4, s6, s0
	v_sub_co_u32_e32 v2, vcc, s10, v2
	s_lshl_b64 s[6:7], s[4:5], 3
	s_mov_b32 s1, 0
	v_subb_co_u32_e32 v3, vcc, v4, v3, vcc
	s_sub_u32 s6, 0, s6
	v_lshl_add_u64 v[2:3], v[2:3], 0, -8
	s_mov_b64 s[4:5], 0
	s_subb_u32 s7, 0, s7
	s_waitcnt vmcnt(2)
	v_lshl_add_u64 v[4:5], v[0:1], 3, s[8:9]
	s_lshl_b64 s[8:9], s[0:1], 3
.LBB156_17:                             ; =>This Inner Loop Header: Depth=1
	global_load_dwordx2 v[6:7], v[2:3], off
	v_lshl_add_u64 v[0:1], v[0:1], 0, s[0:1]
	v_cmp_le_u64_e32 vcc, s[2:3], v[0:1]
	v_lshl_add_u64 v[2:3], v[2:3], 0, s[6:7]
	s_or_b64 s[4:5], vcc, s[4:5]
	s_waitcnt vmcnt(0)
	global_store_dwordx2 v[4:5], v[6:7], off
	v_lshl_add_u64 v[4:5], v[4:5], 0, s[8:9]
	s_andn2_b64 exec, exec, s[4:5]
	s_cbranch_execnz .LBB156_17
.LBB156_18:
	s_endpgm
	.section	.rodata,"a",@progbits
	.p2align	6, 0x0
	.amdhsa_kernel _ZN7rocprim17ROCPRIM_400000_NS6detail30init_device_scan_by_key_kernelINS1_19lookback_scan_stateINS0_5tupleIJlbEEELb1ELb0EEEN6thrust23THRUST_200600_302600_NS16reverse_iteratorIPKlEEjNS1_16block_id_wrapperIjLb0EEEEEvT_jjPNSF_10value_typeET0_PNSt15iterator_traitsISI_E10value_typeEmT1_T2_
		.amdhsa_group_segment_fixed_size 0
		.amdhsa_private_segment_fixed_size 0
		.amdhsa_kernarg_size 328
		.amdhsa_user_sgpr_count 2
		.amdhsa_user_sgpr_dispatch_ptr 0
		.amdhsa_user_sgpr_queue_ptr 0
		.amdhsa_user_sgpr_kernarg_segment_ptr 1
		.amdhsa_user_sgpr_dispatch_id 0
		.amdhsa_user_sgpr_kernarg_preload_length 0
		.amdhsa_user_sgpr_kernarg_preload_offset 0
		.amdhsa_user_sgpr_private_segment_size 0
		.amdhsa_uses_dynamic_stack 0
		.amdhsa_enable_private_segment 0
		.amdhsa_system_sgpr_workgroup_id_x 1
		.amdhsa_system_sgpr_workgroup_id_y 0
		.amdhsa_system_sgpr_workgroup_id_z 0
		.amdhsa_system_sgpr_workgroup_info 0
		.amdhsa_system_vgpr_workitem_id 0
		.amdhsa_next_free_vgpr 8
		.amdhsa_next_free_sgpr 24
		.amdhsa_accum_offset 8
		.amdhsa_reserve_vcc 1
		.amdhsa_float_round_mode_32 0
		.amdhsa_float_round_mode_16_64 0
		.amdhsa_float_denorm_mode_32 3
		.amdhsa_float_denorm_mode_16_64 3
		.amdhsa_dx10_clamp 1
		.amdhsa_ieee_mode 1
		.amdhsa_fp16_overflow 0
		.amdhsa_tg_split 0
		.amdhsa_exception_fp_ieee_invalid_op 0
		.amdhsa_exception_fp_denorm_src 0
		.amdhsa_exception_fp_ieee_div_zero 0
		.amdhsa_exception_fp_ieee_overflow 0
		.amdhsa_exception_fp_ieee_underflow 0
		.amdhsa_exception_fp_ieee_inexact 0
		.amdhsa_exception_int_div_zero 0
	.end_amdhsa_kernel
	.section	.text._ZN7rocprim17ROCPRIM_400000_NS6detail30init_device_scan_by_key_kernelINS1_19lookback_scan_stateINS0_5tupleIJlbEEELb1ELb0EEEN6thrust23THRUST_200600_302600_NS16reverse_iteratorIPKlEEjNS1_16block_id_wrapperIjLb0EEEEEvT_jjPNSF_10value_typeET0_PNSt15iterator_traitsISI_E10value_typeEmT1_T2_,"axG",@progbits,_ZN7rocprim17ROCPRIM_400000_NS6detail30init_device_scan_by_key_kernelINS1_19lookback_scan_stateINS0_5tupleIJlbEEELb1ELb0EEEN6thrust23THRUST_200600_302600_NS16reverse_iteratorIPKlEEjNS1_16block_id_wrapperIjLb0EEEEEvT_jjPNSF_10value_typeET0_PNSt15iterator_traitsISI_E10value_typeEmT1_T2_,comdat
.Lfunc_end156:
	.size	_ZN7rocprim17ROCPRIM_400000_NS6detail30init_device_scan_by_key_kernelINS1_19lookback_scan_stateINS0_5tupleIJlbEEELb1ELb0EEEN6thrust23THRUST_200600_302600_NS16reverse_iteratorIPKlEEjNS1_16block_id_wrapperIjLb0EEEEEvT_jjPNSF_10value_typeET0_PNSt15iterator_traitsISI_E10value_typeEmT1_T2_, .Lfunc_end156-_ZN7rocprim17ROCPRIM_400000_NS6detail30init_device_scan_by_key_kernelINS1_19lookback_scan_stateINS0_5tupleIJlbEEELb1ELb0EEEN6thrust23THRUST_200600_302600_NS16reverse_iteratorIPKlEEjNS1_16block_id_wrapperIjLb0EEEEEvT_jjPNSF_10value_typeET0_PNSt15iterator_traitsISI_E10value_typeEmT1_T2_
                                        ; -- End function
	.section	.AMDGPU.csdata,"",@progbits
; Kernel info:
; codeLenInByte = 588
; NumSgprs: 30
; NumVgprs: 8
; NumAgprs: 0
; TotalNumVgprs: 8
; ScratchSize: 0
; MemoryBound: 0
; FloatMode: 240
; IeeeMode: 1
; LDSByteSize: 0 bytes/workgroup (compile time only)
; SGPRBlocks: 3
; VGPRBlocks: 0
; NumSGPRsForWavesPerEU: 30
; NumVGPRsForWavesPerEU: 8
; AccumOffset: 8
; Occupancy: 8
; WaveLimiterHint : 0
; COMPUTE_PGM_RSRC2:SCRATCH_EN: 0
; COMPUTE_PGM_RSRC2:USER_SGPR: 2
; COMPUTE_PGM_RSRC2:TRAP_HANDLER: 0
; COMPUTE_PGM_RSRC2:TGID_X_EN: 1
; COMPUTE_PGM_RSRC2:TGID_Y_EN: 0
; COMPUTE_PGM_RSRC2:TGID_Z_EN: 0
; COMPUTE_PGM_RSRC2:TIDIG_COMP_CNT: 0
; COMPUTE_PGM_RSRC3_GFX90A:ACCUM_OFFSET: 1
; COMPUTE_PGM_RSRC3_GFX90A:TG_SPLIT: 0
	.section	.text._ZN7rocprim17ROCPRIM_400000_NS6detail17trampoline_kernelINS0_14default_configENS1_27scan_by_key_config_selectorIllEEZZNS1_16scan_by_key_implILNS1_25lookback_scan_determinismE0ELb0ES3_N6thrust23THRUST_200600_302600_NS16reverse_iteratorIPKlEESD_NSA_IPlEElN6hipcub16HIPCUB_304000_NS3MaxENSH_8EqualityElEE10hipError_tPvRmT2_T3_T4_T5_mT6_T7_P12ihipStream_tbENKUlT_T0_E_clISt17integral_constantIbLb1EESZ_IbLb0EEEEDaSV_SW_EUlSV_E_NS1_11comp_targetILNS1_3genE0ELNS1_11target_archE4294967295ELNS1_3gpuE0ELNS1_3repE0EEENS1_30default_config_static_selectorELNS0_4arch9wavefront6targetE1EEEvT1_,"axG",@progbits,_ZN7rocprim17ROCPRIM_400000_NS6detail17trampoline_kernelINS0_14default_configENS1_27scan_by_key_config_selectorIllEEZZNS1_16scan_by_key_implILNS1_25lookback_scan_determinismE0ELb0ES3_N6thrust23THRUST_200600_302600_NS16reverse_iteratorIPKlEESD_NSA_IPlEElN6hipcub16HIPCUB_304000_NS3MaxENSH_8EqualityElEE10hipError_tPvRmT2_T3_T4_T5_mT6_T7_P12ihipStream_tbENKUlT_T0_E_clISt17integral_constantIbLb1EESZ_IbLb0EEEEDaSV_SW_EUlSV_E_NS1_11comp_targetILNS1_3genE0ELNS1_11target_archE4294967295ELNS1_3gpuE0ELNS1_3repE0EEENS1_30default_config_static_selectorELNS0_4arch9wavefront6targetE1EEEvT1_,comdat
	.protected	_ZN7rocprim17ROCPRIM_400000_NS6detail17trampoline_kernelINS0_14default_configENS1_27scan_by_key_config_selectorIllEEZZNS1_16scan_by_key_implILNS1_25lookback_scan_determinismE0ELb0ES3_N6thrust23THRUST_200600_302600_NS16reverse_iteratorIPKlEESD_NSA_IPlEElN6hipcub16HIPCUB_304000_NS3MaxENSH_8EqualityElEE10hipError_tPvRmT2_T3_T4_T5_mT6_T7_P12ihipStream_tbENKUlT_T0_E_clISt17integral_constantIbLb1EESZ_IbLb0EEEEDaSV_SW_EUlSV_E_NS1_11comp_targetILNS1_3genE0ELNS1_11target_archE4294967295ELNS1_3gpuE0ELNS1_3repE0EEENS1_30default_config_static_selectorELNS0_4arch9wavefront6targetE1EEEvT1_ ; -- Begin function _ZN7rocprim17ROCPRIM_400000_NS6detail17trampoline_kernelINS0_14default_configENS1_27scan_by_key_config_selectorIllEEZZNS1_16scan_by_key_implILNS1_25lookback_scan_determinismE0ELb0ES3_N6thrust23THRUST_200600_302600_NS16reverse_iteratorIPKlEESD_NSA_IPlEElN6hipcub16HIPCUB_304000_NS3MaxENSH_8EqualityElEE10hipError_tPvRmT2_T3_T4_T5_mT6_T7_P12ihipStream_tbENKUlT_T0_E_clISt17integral_constantIbLb1EESZ_IbLb0EEEEDaSV_SW_EUlSV_E_NS1_11comp_targetILNS1_3genE0ELNS1_11target_archE4294967295ELNS1_3gpuE0ELNS1_3repE0EEENS1_30default_config_static_selectorELNS0_4arch9wavefront6targetE1EEEvT1_
	.globl	_ZN7rocprim17ROCPRIM_400000_NS6detail17trampoline_kernelINS0_14default_configENS1_27scan_by_key_config_selectorIllEEZZNS1_16scan_by_key_implILNS1_25lookback_scan_determinismE0ELb0ES3_N6thrust23THRUST_200600_302600_NS16reverse_iteratorIPKlEESD_NSA_IPlEElN6hipcub16HIPCUB_304000_NS3MaxENSH_8EqualityElEE10hipError_tPvRmT2_T3_T4_T5_mT6_T7_P12ihipStream_tbENKUlT_T0_E_clISt17integral_constantIbLb1EESZ_IbLb0EEEEDaSV_SW_EUlSV_E_NS1_11comp_targetILNS1_3genE0ELNS1_11target_archE4294967295ELNS1_3gpuE0ELNS1_3repE0EEENS1_30default_config_static_selectorELNS0_4arch9wavefront6targetE1EEEvT1_
	.p2align	8
	.type	_ZN7rocprim17ROCPRIM_400000_NS6detail17trampoline_kernelINS0_14default_configENS1_27scan_by_key_config_selectorIllEEZZNS1_16scan_by_key_implILNS1_25lookback_scan_determinismE0ELb0ES3_N6thrust23THRUST_200600_302600_NS16reverse_iteratorIPKlEESD_NSA_IPlEElN6hipcub16HIPCUB_304000_NS3MaxENSH_8EqualityElEE10hipError_tPvRmT2_T3_T4_T5_mT6_T7_P12ihipStream_tbENKUlT_T0_E_clISt17integral_constantIbLb1EESZ_IbLb0EEEEDaSV_SW_EUlSV_E_NS1_11comp_targetILNS1_3genE0ELNS1_11target_archE4294967295ELNS1_3gpuE0ELNS1_3repE0EEENS1_30default_config_static_selectorELNS0_4arch9wavefront6targetE1EEEvT1_,@function
_ZN7rocprim17ROCPRIM_400000_NS6detail17trampoline_kernelINS0_14default_configENS1_27scan_by_key_config_selectorIllEEZZNS1_16scan_by_key_implILNS1_25lookback_scan_determinismE0ELb0ES3_N6thrust23THRUST_200600_302600_NS16reverse_iteratorIPKlEESD_NSA_IPlEElN6hipcub16HIPCUB_304000_NS3MaxENSH_8EqualityElEE10hipError_tPvRmT2_T3_T4_T5_mT6_T7_P12ihipStream_tbENKUlT_T0_E_clISt17integral_constantIbLb1EESZ_IbLb0EEEEDaSV_SW_EUlSV_E_NS1_11comp_targetILNS1_3genE0ELNS1_11target_archE4294967295ELNS1_3gpuE0ELNS1_3repE0EEENS1_30default_config_static_selectorELNS0_4arch9wavefront6targetE1EEEvT1_: ; @_ZN7rocprim17ROCPRIM_400000_NS6detail17trampoline_kernelINS0_14default_configENS1_27scan_by_key_config_selectorIllEEZZNS1_16scan_by_key_implILNS1_25lookback_scan_determinismE0ELb0ES3_N6thrust23THRUST_200600_302600_NS16reverse_iteratorIPKlEESD_NSA_IPlEElN6hipcub16HIPCUB_304000_NS3MaxENSH_8EqualityElEE10hipError_tPvRmT2_T3_T4_T5_mT6_T7_P12ihipStream_tbENKUlT_T0_E_clISt17integral_constantIbLb1EESZ_IbLb0EEEEDaSV_SW_EUlSV_E_NS1_11comp_targetILNS1_3genE0ELNS1_11target_archE4294967295ELNS1_3gpuE0ELNS1_3repE0EEENS1_30default_config_static_selectorELNS0_4arch9wavefront6targetE1EEEvT1_
; %bb.0:
	.section	.rodata,"a",@progbits
	.p2align	6, 0x0
	.amdhsa_kernel _ZN7rocprim17ROCPRIM_400000_NS6detail17trampoline_kernelINS0_14default_configENS1_27scan_by_key_config_selectorIllEEZZNS1_16scan_by_key_implILNS1_25lookback_scan_determinismE0ELb0ES3_N6thrust23THRUST_200600_302600_NS16reverse_iteratorIPKlEESD_NSA_IPlEElN6hipcub16HIPCUB_304000_NS3MaxENSH_8EqualityElEE10hipError_tPvRmT2_T3_T4_T5_mT6_T7_P12ihipStream_tbENKUlT_T0_E_clISt17integral_constantIbLb1EESZ_IbLb0EEEEDaSV_SW_EUlSV_E_NS1_11comp_targetILNS1_3genE0ELNS1_11target_archE4294967295ELNS1_3gpuE0ELNS1_3repE0EEENS1_30default_config_static_selectorELNS0_4arch9wavefront6targetE1EEEvT1_
		.amdhsa_group_segment_fixed_size 0
		.amdhsa_private_segment_fixed_size 0
		.amdhsa_kernarg_size 136
		.amdhsa_user_sgpr_count 2
		.amdhsa_user_sgpr_dispatch_ptr 0
		.amdhsa_user_sgpr_queue_ptr 0
		.amdhsa_user_sgpr_kernarg_segment_ptr 1
		.amdhsa_user_sgpr_dispatch_id 0
		.amdhsa_user_sgpr_kernarg_preload_length 0
		.amdhsa_user_sgpr_kernarg_preload_offset 0
		.amdhsa_user_sgpr_private_segment_size 0
		.amdhsa_uses_dynamic_stack 0
		.amdhsa_enable_private_segment 0
		.amdhsa_system_sgpr_workgroup_id_x 1
		.amdhsa_system_sgpr_workgroup_id_y 0
		.amdhsa_system_sgpr_workgroup_id_z 0
		.amdhsa_system_sgpr_workgroup_info 0
		.amdhsa_system_vgpr_workitem_id 0
		.amdhsa_next_free_vgpr 1
		.amdhsa_next_free_sgpr 0
		.amdhsa_accum_offset 4
		.amdhsa_reserve_vcc 0
		.amdhsa_float_round_mode_32 0
		.amdhsa_float_round_mode_16_64 0
		.amdhsa_float_denorm_mode_32 3
		.amdhsa_float_denorm_mode_16_64 3
		.amdhsa_dx10_clamp 1
		.amdhsa_ieee_mode 1
		.amdhsa_fp16_overflow 0
		.amdhsa_tg_split 0
		.amdhsa_exception_fp_ieee_invalid_op 0
		.amdhsa_exception_fp_denorm_src 0
		.amdhsa_exception_fp_ieee_div_zero 0
		.amdhsa_exception_fp_ieee_overflow 0
		.amdhsa_exception_fp_ieee_underflow 0
		.amdhsa_exception_fp_ieee_inexact 0
		.amdhsa_exception_int_div_zero 0
	.end_amdhsa_kernel
	.section	.text._ZN7rocprim17ROCPRIM_400000_NS6detail17trampoline_kernelINS0_14default_configENS1_27scan_by_key_config_selectorIllEEZZNS1_16scan_by_key_implILNS1_25lookback_scan_determinismE0ELb0ES3_N6thrust23THRUST_200600_302600_NS16reverse_iteratorIPKlEESD_NSA_IPlEElN6hipcub16HIPCUB_304000_NS3MaxENSH_8EqualityElEE10hipError_tPvRmT2_T3_T4_T5_mT6_T7_P12ihipStream_tbENKUlT_T0_E_clISt17integral_constantIbLb1EESZ_IbLb0EEEEDaSV_SW_EUlSV_E_NS1_11comp_targetILNS1_3genE0ELNS1_11target_archE4294967295ELNS1_3gpuE0ELNS1_3repE0EEENS1_30default_config_static_selectorELNS0_4arch9wavefront6targetE1EEEvT1_,"axG",@progbits,_ZN7rocprim17ROCPRIM_400000_NS6detail17trampoline_kernelINS0_14default_configENS1_27scan_by_key_config_selectorIllEEZZNS1_16scan_by_key_implILNS1_25lookback_scan_determinismE0ELb0ES3_N6thrust23THRUST_200600_302600_NS16reverse_iteratorIPKlEESD_NSA_IPlEElN6hipcub16HIPCUB_304000_NS3MaxENSH_8EqualityElEE10hipError_tPvRmT2_T3_T4_T5_mT6_T7_P12ihipStream_tbENKUlT_T0_E_clISt17integral_constantIbLb1EESZ_IbLb0EEEEDaSV_SW_EUlSV_E_NS1_11comp_targetILNS1_3genE0ELNS1_11target_archE4294967295ELNS1_3gpuE0ELNS1_3repE0EEENS1_30default_config_static_selectorELNS0_4arch9wavefront6targetE1EEEvT1_,comdat
.Lfunc_end157:
	.size	_ZN7rocprim17ROCPRIM_400000_NS6detail17trampoline_kernelINS0_14default_configENS1_27scan_by_key_config_selectorIllEEZZNS1_16scan_by_key_implILNS1_25lookback_scan_determinismE0ELb0ES3_N6thrust23THRUST_200600_302600_NS16reverse_iteratorIPKlEESD_NSA_IPlEElN6hipcub16HIPCUB_304000_NS3MaxENSH_8EqualityElEE10hipError_tPvRmT2_T3_T4_T5_mT6_T7_P12ihipStream_tbENKUlT_T0_E_clISt17integral_constantIbLb1EESZ_IbLb0EEEEDaSV_SW_EUlSV_E_NS1_11comp_targetILNS1_3genE0ELNS1_11target_archE4294967295ELNS1_3gpuE0ELNS1_3repE0EEENS1_30default_config_static_selectorELNS0_4arch9wavefront6targetE1EEEvT1_, .Lfunc_end157-_ZN7rocprim17ROCPRIM_400000_NS6detail17trampoline_kernelINS0_14default_configENS1_27scan_by_key_config_selectorIllEEZZNS1_16scan_by_key_implILNS1_25lookback_scan_determinismE0ELb0ES3_N6thrust23THRUST_200600_302600_NS16reverse_iteratorIPKlEESD_NSA_IPlEElN6hipcub16HIPCUB_304000_NS3MaxENSH_8EqualityElEE10hipError_tPvRmT2_T3_T4_T5_mT6_T7_P12ihipStream_tbENKUlT_T0_E_clISt17integral_constantIbLb1EESZ_IbLb0EEEEDaSV_SW_EUlSV_E_NS1_11comp_targetILNS1_3genE0ELNS1_11target_archE4294967295ELNS1_3gpuE0ELNS1_3repE0EEENS1_30default_config_static_selectorELNS0_4arch9wavefront6targetE1EEEvT1_
                                        ; -- End function
	.section	.AMDGPU.csdata,"",@progbits
; Kernel info:
; codeLenInByte = 0
; NumSgprs: 6
; NumVgprs: 0
; NumAgprs: 0
; TotalNumVgprs: 0
; ScratchSize: 0
; MemoryBound: 0
; FloatMode: 240
; IeeeMode: 1
; LDSByteSize: 0 bytes/workgroup (compile time only)
; SGPRBlocks: 0
; VGPRBlocks: 0
; NumSGPRsForWavesPerEU: 6
; NumVGPRsForWavesPerEU: 1
; AccumOffset: 4
; Occupancy: 8
; WaveLimiterHint : 0
; COMPUTE_PGM_RSRC2:SCRATCH_EN: 0
; COMPUTE_PGM_RSRC2:USER_SGPR: 2
; COMPUTE_PGM_RSRC2:TRAP_HANDLER: 0
; COMPUTE_PGM_RSRC2:TGID_X_EN: 1
; COMPUTE_PGM_RSRC2:TGID_Y_EN: 0
; COMPUTE_PGM_RSRC2:TGID_Z_EN: 0
; COMPUTE_PGM_RSRC2:TIDIG_COMP_CNT: 0
; COMPUTE_PGM_RSRC3_GFX90A:ACCUM_OFFSET: 0
; COMPUTE_PGM_RSRC3_GFX90A:TG_SPLIT: 0
	.section	.text._ZN7rocprim17ROCPRIM_400000_NS6detail17trampoline_kernelINS0_14default_configENS1_27scan_by_key_config_selectorIllEEZZNS1_16scan_by_key_implILNS1_25lookback_scan_determinismE0ELb0ES3_N6thrust23THRUST_200600_302600_NS16reverse_iteratorIPKlEESD_NSA_IPlEElN6hipcub16HIPCUB_304000_NS3MaxENSH_8EqualityElEE10hipError_tPvRmT2_T3_T4_T5_mT6_T7_P12ihipStream_tbENKUlT_T0_E_clISt17integral_constantIbLb1EESZ_IbLb0EEEEDaSV_SW_EUlSV_E_NS1_11comp_targetILNS1_3genE10ELNS1_11target_archE1201ELNS1_3gpuE5ELNS1_3repE0EEENS1_30default_config_static_selectorELNS0_4arch9wavefront6targetE1EEEvT1_,"axG",@progbits,_ZN7rocprim17ROCPRIM_400000_NS6detail17trampoline_kernelINS0_14default_configENS1_27scan_by_key_config_selectorIllEEZZNS1_16scan_by_key_implILNS1_25lookback_scan_determinismE0ELb0ES3_N6thrust23THRUST_200600_302600_NS16reverse_iteratorIPKlEESD_NSA_IPlEElN6hipcub16HIPCUB_304000_NS3MaxENSH_8EqualityElEE10hipError_tPvRmT2_T3_T4_T5_mT6_T7_P12ihipStream_tbENKUlT_T0_E_clISt17integral_constantIbLb1EESZ_IbLb0EEEEDaSV_SW_EUlSV_E_NS1_11comp_targetILNS1_3genE10ELNS1_11target_archE1201ELNS1_3gpuE5ELNS1_3repE0EEENS1_30default_config_static_selectorELNS0_4arch9wavefront6targetE1EEEvT1_,comdat
	.protected	_ZN7rocprim17ROCPRIM_400000_NS6detail17trampoline_kernelINS0_14default_configENS1_27scan_by_key_config_selectorIllEEZZNS1_16scan_by_key_implILNS1_25lookback_scan_determinismE0ELb0ES3_N6thrust23THRUST_200600_302600_NS16reverse_iteratorIPKlEESD_NSA_IPlEElN6hipcub16HIPCUB_304000_NS3MaxENSH_8EqualityElEE10hipError_tPvRmT2_T3_T4_T5_mT6_T7_P12ihipStream_tbENKUlT_T0_E_clISt17integral_constantIbLb1EESZ_IbLb0EEEEDaSV_SW_EUlSV_E_NS1_11comp_targetILNS1_3genE10ELNS1_11target_archE1201ELNS1_3gpuE5ELNS1_3repE0EEENS1_30default_config_static_selectorELNS0_4arch9wavefront6targetE1EEEvT1_ ; -- Begin function _ZN7rocprim17ROCPRIM_400000_NS6detail17trampoline_kernelINS0_14default_configENS1_27scan_by_key_config_selectorIllEEZZNS1_16scan_by_key_implILNS1_25lookback_scan_determinismE0ELb0ES3_N6thrust23THRUST_200600_302600_NS16reverse_iteratorIPKlEESD_NSA_IPlEElN6hipcub16HIPCUB_304000_NS3MaxENSH_8EqualityElEE10hipError_tPvRmT2_T3_T4_T5_mT6_T7_P12ihipStream_tbENKUlT_T0_E_clISt17integral_constantIbLb1EESZ_IbLb0EEEEDaSV_SW_EUlSV_E_NS1_11comp_targetILNS1_3genE10ELNS1_11target_archE1201ELNS1_3gpuE5ELNS1_3repE0EEENS1_30default_config_static_selectorELNS0_4arch9wavefront6targetE1EEEvT1_
	.globl	_ZN7rocprim17ROCPRIM_400000_NS6detail17trampoline_kernelINS0_14default_configENS1_27scan_by_key_config_selectorIllEEZZNS1_16scan_by_key_implILNS1_25lookback_scan_determinismE0ELb0ES3_N6thrust23THRUST_200600_302600_NS16reverse_iteratorIPKlEESD_NSA_IPlEElN6hipcub16HIPCUB_304000_NS3MaxENSH_8EqualityElEE10hipError_tPvRmT2_T3_T4_T5_mT6_T7_P12ihipStream_tbENKUlT_T0_E_clISt17integral_constantIbLb1EESZ_IbLb0EEEEDaSV_SW_EUlSV_E_NS1_11comp_targetILNS1_3genE10ELNS1_11target_archE1201ELNS1_3gpuE5ELNS1_3repE0EEENS1_30default_config_static_selectorELNS0_4arch9wavefront6targetE1EEEvT1_
	.p2align	8
	.type	_ZN7rocprim17ROCPRIM_400000_NS6detail17trampoline_kernelINS0_14default_configENS1_27scan_by_key_config_selectorIllEEZZNS1_16scan_by_key_implILNS1_25lookback_scan_determinismE0ELb0ES3_N6thrust23THRUST_200600_302600_NS16reverse_iteratorIPKlEESD_NSA_IPlEElN6hipcub16HIPCUB_304000_NS3MaxENSH_8EqualityElEE10hipError_tPvRmT2_T3_T4_T5_mT6_T7_P12ihipStream_tbENKUlT_T0_E_clISt17integral_constantIbLb1EESZ_IbLb0EEEEDaSV_SW_EUlSV_E_NS1_11comp_targetILNS1_3genE10ELNS1_11target_archE1201ELNS1_3gpuE5ELNS1_3repE0EEENS1_30default_config_static_selectorELNS0_4arch9wavefront6targetE1EEEvT1_,@function
_ZN7rocprim17ROCPRIM_400000_NS6detail17trampoline_kernelINS0_14default_configENS1_27scan_by_key_config_selectorIllEEZZNS1_16scan_by_key_implILNS1_25lookback_scan_determinismE0ELb0ES3_N6thrust23THRUST_200600_302600_NS16reverse_iteratorIPKlEESD_NSA_IPlEElN6hipcub16HIPCUB_304000_NS3MaxENSH_8EqualityElEE10hipError_tPvRmT2_T3_T4_T5_mT6_T7_P12ihipStream_tbENKUlT_T0_E_clISt17integral_constantIbLb1EESZ_IbLb0EEEEDaSV_SW_EUlSV_E_NS1_11comp_targetILNS1_3genE10ELNS1_11target_archE1201ELNS1_3gpuE5ELNS1_3repE0EEENS1_30default_config_static_selectorELNS0_4arch9wavefront6targetE1EEEvT1_: ; @_ZN7rocprim17ROCPRIM_400000_NS6detail17trampoline_kernelINS0_14default_configENS1_27scan_by_key_config_selectorIllEEZZNS1_16scan_by_key_implILNS1_25lookback_scan_determinismE0ELb0ES3_N6thrust23THRUST_200600_302600_NS16reverse_iteratorIPKlEESD_NSA_IPlEElN6hipcub16HIPCUB_304000_NS3MaxENSH_8EqualityElEE10hipError_tPvRmT2_T3_T4_T5_mT6_T7_P12ihipStream_tbENKUlT_T0_E_clISt17integral_constantIbLb1EESZ_IbLb0EEEEDaSV_SW_EUlSV_E_NS1_11comp_targetILNS1_3genE10ELNS1_11target_archE1201ELNS1_3gpuE5ELNS1_3repE0EEENS1_30default_config_static_selectorELNS0_4arch9wavefront6targetE1EEEvT1_
; %bb.0:
	.section	.rodata,"a",@progbits
	.p2align	6, 0x0
	.amdhsa_kernel _ZN7rocprim17ROCPRIM_400000_NS6detail17trampoline_kernelINS0_14default_configENS1_27scan_by_key_config_selectorIllEEZZNS1_16scan_by_key_implILNS1_25lookback_scan_determinismE0ELb0ES3_N6thrust23THRUST_200600_302600_NS16reverse_iteratorIPKlEESD_NSA_IPlEElN6hipcub16HIPCUB_304000_NS3MaxENSH_8EqualityElEE10hipError_tPvRmT2_T3_T4_T5_mT6_T7_P12ihipStream_tbENKUlT_T0_E_clISt17integral_constantIbLb1EESZ_IbLb0EEEEDaSV_SW_EUlSV_E_NS1_11comp_targetILNS1_3genE10ELNS1_11target_archE1201ELNS1_3gpuE5ELNS1_3repE0EEENS1_30default_config_static_selectorELNS0_4arch9wavefront6targetE1EEEvT1_
		.amdhsa_group_segment_fixed_size 0
		.amdhsa_private_segment_fixed_size 0
		.amdhsa_kernarg_size 136
		.amdhsa_user_sgpr_count 2
		.amdhsa_user_sgpr_dispatch_ptr 0
		.amdhsa_user_sgpr_queue_ptr 0
		.amdhsa_user_sgpr_kernarg_segment_ptr 1
		.amdhsa_user_sgpr_dispatch_id 0
		.amdhsa_user_sgpr_kernarg_preload_length 0
		.amdhsa_user_sgpr_kernarg_preload_offset 0
		.amdhsa_user_sgpr_private_segment_size 0
		.amdhsa_uses_dynamic_stack 0
		.amdhsa_enable_private_segment 0
		.amdhsa_system_sgpr_workgroup_id_x 1
		.amdhsa_system_sgpr_workgroup_id_y 0
		.amdhsa_system_sgpr_workgroup_id_z 0
		.amdhsa_system_sgpr_workgroup_info 0
		.amdhsa_system_vgpr_workitem_id 0
		.amdhsa_next_free_vgpr 1
		.amdhsa_next_free_sgpr 0
		.amdhsa_accum_offset 4
		.amdhsa_reserve_vcc 0
		.amdhsa_float_round_mode_32 0
		.amdhsa_float_round_mode_16_64 0
		.amdhsa_float_denorm_mode_32 3
		.amdhsa_float_denorm_mode_16_64 3
		.amdhsa_dx10_clamp 1
		.amdhsa_ieee_mode 1
		.amdhsa_fp16_overflow 0
		.amdhsa_tg_split 0
		.amdhsa_exception_fp_ieee_invalid_op 0
		.amdhsa_exception_fp_denorm_src 0
		.amdhsa_exception_fp_ieee_div_zero 0
		.amdhsa_exception_fp_ieee_overflow 0
		.amdhsa_exception_fp_ieee_underflow 0
		.amdhsa_exception_fp_ieee_inexact 0
		.amdhsa_exception_int_div_zero 0
	.end_amdhsa_kernel
	.section	.text._ZN7rocprim17ROCPRIM_400000_NS6detail17trampoline_kernelINS0_14default_configENS1_27scan_by_key_config_selectorIllEEZZNS1_16scan_by_key_implILNS1_25lookback_scan_determinismE0ELb0ES3_N6thrust23THRUST_200600_302600_NS16reverse_iteratorIPKlEESD_NSA_IPlEElN6hipcub16HIPCUB_304000_NS3MaxENSH_8EqualityElEE10hipError_tPvRmT2_T3_T4_T5_mT6_T7_P12ihipStream_tbENKUlT_T0_E_clISt17integral_constantIbLb1EESZ_IbLb0EEEEDaSV_SW_EUlSV_E_NS1_11comp_targetILNS1_3genE10ELNS1_11target_archE1201ELNS1_3gpuE5ELNS1_3repE0EEENS1_30default_config_static_selectorELNS0_4arch9wavefront6targetE1EEEvT1_,"axG",@progbits,_ZN7rocprim17ROCPRIM_400000_NS6detail17trampoline_kernelINS0_14default_configENS1_27scan_by_key_config_selectorIllEEZZNS1_16scan_by_key_implILNS1_25lookback_scan_determinismE0ELb0ES3_N6thrust23THRUST_200600_302600_NS16reverse_iteratorIPKlEESD_NSA_IPlEElN6hipcub16HIPCUB_304000_NS3MaxENSH_8EqualityElEE10hipError_tPvRmT2_T3_T4_T5_mT6_T7_P12ihipStream_tbENKUlT_T0_E_clISt17integral_constantIbLb1EESZ_IbLb0EEEEDaSV_SW_EUlSV_E_NS1_11comp_targetILNS1_3genE10ELNS1_11target_archE1201ELNS1_3gpuE5ELNS1_3repE0EEENS1_30default_config_static_selectorELNS0_4arch9wavefront6targetE1EEEvT1_,comdat
.Lfunc_end158:
	.size	_ZN7rocprim17ROCPRIM_400000_NS6detail17trampoline_kernelINS0_14default_configENS1_27scan_by_key_config_selectorIllEEZZNS1_16scan_by_key_implILNS1_25lookback_scan_determinismE0ELb0ES3_N6thrust23THRUST_200600_302600_NS16reverse_iteratorIPKlEESD_NSA_IPlEElN6hipcub16HIPCUB_304000_NS3MaxENSH_8EqualityElEE10hipError_tPvRmT2_T3_T4_T5_mT6_T7_P12ihipStream_tbENKUlT_T0_E_clISt17integral_constantIbLb1EESZ_IbLb0EEEEDaSV_SW_EUlSV_E_NS1_11comp_targetILNS1_3genE10ELNS1_11target_archE1201ELNS1_3gpuE5ELNS1_3repE0EEENS1_30default_config_static_selectorELNS0_4arch9wavefront6targetE1EEEvT1_, .Lfunc_end158-_ZN7rocprim17ROCPRIM_400000_NS6detail17trampoline_kernelINS0_14default_configENS1_27scan_by_key_config_selectorIllEEZZNS1_16scan_by_key_implILNS1_25lookback_scan_determinismE0ELb0ES3_N6thrust23THRUST_200600_302600_NS16reverse_iteratorIPKlEESD_NSA_IPlEElN6hipcub16HIPCUB_304000_NS3MaxENSH_8EqualityElEE10hipError_tPvRmT2_T3_T4_T5_mT6_T7_P12ihipStream_tbENKUlT_T0_E_clISt17integral_constantIbLb1EESZ_IbLb0EEEEDaSV_SW_EUlSV_E_NS1_11comp_targetILNS1_3genE10ELNS1_11target_archE1201ELNS1_3gpuE5ELNS1_3repE0EEENS1_30default_config_static_selectorELNS0_4arch9wavefront6targetE1EEEvT1_
                                        ; -- End function
	.section	.AMDGPU.csdata,"",@progbits
; Kernel info:
; codeLenInByte = 0
; NumSgprs: 6
; NumVgprs: 0
; NumAgprs: 0
; TotalNumVgprs: 0
; ScratchSize: 0
; MemoryBound: 0
; FloatMode: 240
; IeeeMode: 1
; LDSByteSize: 0 bytes/workgroup (compile time only)
; SGPRBlocks: 0
; VGPRBlocks: 0
; NumSGPRsForWavesPerEU: 6
; NumVGPRsForWavesPerEU: 1
; AccumOffset: 4
; Occupancy: 8
; WaveLimiterHint : 0
; COMPUTE_PGM_RSRC2:SCRATCH_EN: 0
; COMPUTE_PGM_RSRC2:USER_SGPR: 2
; COMPUTE_PGM_RSRC2:TRAP_HANDLER: 0
; COMPUTE_PGM_RSRC2:TGID_X_EN: 1
; COMPUTE_PGM_RSRC2:TGID_Y_EN: 0
; COMPUTE_PGM_RSRC2:TGID_Z_EN: 0
; COMPUTE_PGM_RSRC2:TIDIG_COMP_CNT: 0
; COMPUTE_PGM_RSRC3_GFX90A:ACCUM_OFFSET: 0
; COMPUTE_PGM_RSRC3_GFX90A:TG_SPLIT: 0
	.section	.text._ZN7rocprim17ROCPRIM_400000_NS6detail17trampoline_kernelINS0_14default_configENS1_27scan_by_key_config_selectorIllEEZZNS1_16scan_by_key_implILNS1_25lookback_scan_determinismE0ELb0ES3_N6thrust23THRUST_200600_302600_NS16reverse_iteratorIPKlEESD_NSA_IPlEElN6hipcub16HIPCUB_304000_NS3MaxENSH_8EqualityElEE10hipError_tPvRmT2_T3_T4_T5_mT6_T7_P12ihipStream_tbENKUlT_T0_E_clISt17integral_constantIbLb1EESZ_IbLb0EEEEDaSV_SW_EUlSV_E_NS1_11comp_targetILNS1_3genE5ELNS1_11target_archE942ELNS1_3gpuE9ELNS1_3repE0EEENS1_30default_config_static_selectorELNS0_4arch9wavefront6targetE1EEEvT1_,"axG",@progbits,_ZN7rocprim17ROCPRIM_400000_NS6detail17trampoline_kernelINS0_14default_configENS1_27scan_by_key_config_selectorIllEEZZNS1_16scan_by_key_implILNS1_25lookback_scan_determinismE0ELb0ES3_N6thrust23THRUST_200600_302600_NS16reverse_iteratorIPKlEESD_NSA_IPlEElN6hipcub16HIPCUB_304000_NS3MaxENSH_8EqualityElEE10hipError_tPvRmT2_T3_T4_T5_mT6_T7_P12ihipStream_tbENKUlT_T0_E_clISt17integral_constantIbLb1EESZ_IbLb0EEEEDaSV_SW_EUlSV_E_NS1_11comp_targetILNS1_3genE5ELNS1_11target_archE942ELNS1_3gpuE9ELNS1_3repE0EEENS1_30default_config_static_selectorELNS0_4arch9wavefront6targetE1EEEvT1_,comdat
	.protected	_ZN7rocprim17ROCPRIM_400000_NS6detail17trampoline_kernelINS0_14default_configENS1_27scan_by_key_config_selectorIllEEZZNS1_16scan_by_key_implILNS1_25lookback_scan_determinismE0ELb0ES3_N6thrust23THRUST_200600_302600_NS16reverse_iteratorIPKlEESD_NSA_IPlEElN6hipcub16HIPCUB_304000_NS3MaxENSH_8EqualityElEE10hipError_tPvRmT2_T3_T4_T5_mT6_T7_P12ihipStream_tbENKUlT_T0_E_clISt17integral_constantIbLb1EESZ_IbLb0EEEEDaSV_SW_EUlSV_E_NS1_11comp_targetILNS1_3genE5ELNS1_11target_archE942ELNS1_3gpuE9ELNS1_3repE0EEENS1_30default_config_static_selectorELNS0_4arch9wavefront6targetE1EEEvT1_ ; -- Begin function _ZN7rocprim17ROCPRIM_400000_NS6detail17trampoline_kernelINS0_14default_configENS1_27scan_by_key_config_selectorIllEEZZNS1_16scan_by_key_implILNS1_25lookback_scan_determinismE0ELb0ES3_N6thrust23THRUST_200600_302600_NS16reverse_iteratorIPKlEESD_NSA_IPlEElN6hipcub16HIPCUB_304000_NS3MaxENSH_8EqualityElEE10hipError_tPvRmT2_T3_T4_T5_mT6_T7_P12ihipStream_tbENKUlT_T0_E_clISt17integral_constantIbLb1EESZ_IbLb0EEEEDaSV_SW_EUlSV_E_NS1_11comp_targetILNS1_3genE5ELNS1_11target_archE942ELNS1_3gpuE9ELNS1_3repE0EEENS1_30default_config_static_selectorELNS0_4arch9wavefront6targetE1EEEvT1_
	.globl	_ZN7rocprim17ROCPRIM_400000_NS6detail17trampoline_kernelINS0_14default_configENS1_27scan_by_key_config_selectorIllEEZZNS1_16scan_by_key_implILNS1_25lookback_scan_determinismE0ELb0ES3_N6thrust23THRUST_200600_302600_NS16reverse_iteratorIPKlEESD_NSA_IPlEElN6hipcub16HIPCUB_304000_NS3MaxENSH_8EqualityElEE10hipError_tPvRmT2_T3_T4_T5_mT6_T7_P12ihipStream_tbENKUlT_T0_E_clISt17integral_constantIbLb1EESZ_IbLb0EEEEDaSV_SW_EUlSV_E_NS1_11comp_targetILNS1_3genE5ELNS1_11target_archE942ELNS1_3gpuE9ELNS1_3repE0EEENS1_30default_config_static_selectorELNS0_4arch9wavefront6targetE1EEEvT1_
	.p2align	8
	.type	_ZN7rocprim17ROCPRIM_400000_NS6detail17trampoline_kernelINS0_14default_configENS1_27scan_by_key_config_selectorIllEEZZNS1_16scan_by_key_implILNS1_25lookback_scan_determinismE0ELb0ES3_N6thrust23THRUST_200600_302600_NS16reverse_iteratorIPKlEESD_NSA_IPlEElN6hipcub16HIPCUB_304000_NS3MaxENSH_8EqualityElEE10hipError_tPvRmT2_T3_T4_T5_mT6_T7_P12ihipStream_tbENKUlT_T0_E_clISt17integral_constantIbLb1EESZ_IbLb0EEEEDaSV_SW_EUlSV_E_NS1_11comp_targetILNS1_3genE5ELNS1_11target_archE942ELNS1_3gpuE9ELNS1_3repE0EEENS1_30default_config_static_selectorELNS0_4arch9wavefront6targetE1EEEvT1_,@function
_ZN7rocprim17ROCPRIM_400000_NS6detail17trampoline_kernelINS0_14default_configENS1_27scan_by_key_config_selectorIllEEZZNS1_16scan_by_key_implILNS1_25lookback_scan_determinismE0ELb0ES3_N6thrust23THRUST_200600_302600_NS16reverse_iteratorIPKlEESD_NSA_IPlEElN6hipcub16HIPCUB_304000_NS3MaxENSH_8EqualityElEE10hipError_tPvRmT2_T3_T4_T5_mT6_T7_P12ihipStream_tbENKUlT_T0_E_clISt17integral_constantIbLb1EESZ_IbLb0EEEEDaSV_SW_EUlSV_E_NS1_11comp_targetILNS1_3genE5ELNS1_11target_archE942ELNS1_3gpuE9ELNS1_3repE0EEENS1_30default_config_static_selectorELNS0_4arch9wavefront6targetE1EEEvT1_: ; @_ZN7rocprim17ROCPRIM_400000_NS6detail17trampoline_kernelINS0_14default_configENS1_27scan_by_key_config_selectorIllEEZZNS1_16scan_by_key_implILNS1_25lookback_scan_determinismE0ELb0ES3_N6thrust23THRUST_200600_302600_NS16reverse_iteratorIPKlEESD_NSA_IPlEElN6hipcub16HIPCUB_304000_NS3MaxENSH_8EqualityElEE10hipError_tPvRmT2_T3_T4_T5_mT6_T7_P12ihipStream_tbENKUlT_T0_E_clISt17integral_constantIbLb1EESZ_IbLb0EEEEDaSV_SW_EUlSV_E_NS1_11comp_targetILNS1_3genE5ELNS1_11target_archE942ELNS1_3gpuE9ELNS1_3repE0EEENS1_30default_config_static_selectorELNS0_4arch9wavefront6targetE1EEEvT1_
; %bb.0:
	s_load_dwordx8 s[44:51], s[0:1], 0x0
	s_load_dwordx8 s[36:43], s[0:1], 0x30
	s_load_dwordx2 s[62:63], s[0:1], 0x50
	s_load_dword s3, s[0:1], 0x58
	s_load_dwordx8 s[52:59], s[0:1], 0x60
	s_waitcnt lgkmcnt(0)
	s_sub_u32 s60, 0, s46
	s_subb_u32 s61, 0, s47
	s_lshl_b64 s[0:1], s[46:47], 3
	s_sub_u32 s4, s44, s0
	s_subb_u32 s5, s45, s1
	s_sub_u32 s6, s48, s0
	s_subb_u32 s7, s49, s1
	s_mul_i32 s0, s63, s3
	s_mul_hi_u32 s1, s62, s3
	s_add_i32 s8, s1, s0
	s_cmp_eq_u64 s[56:57], 0
	s_mul_i32 s0, s2, 0xe00
	s_cselect_b64 s[46:47], -1, 0
	s_mov_b32 s1, 0
	s_sub_u32 s44, 0, s0
	s_subb_u32 s45, 0, 0
	s_lshl_b64 s[0:1], s[0:1], 3
	s_mul_i32 s9, s62, s3
	s_sub_u32 s3, s4, s0
	s_subb_u32 s43, s5, s1
	s_sub_u32 s34, s6, s0
	s_subb_u32 s35, s7, s1
	s_add_u32 s48, s9, s2
	s_addc_u32 s49, s8, 0
	s_add_u32 s4, s52, -1
	s_addc_u32 s5, s53, -1
	v_mov_b64_e32 v[2:3], s[4:5]
	v_cmp_ge_u64_e64 s[0:1], s[48:49], v[2:3]
	s_mov_b64 s[12:13], 0
	s_mov_b64 s[6:7], -1
	s_and_b64 vcc, exec, s[0:1]
	s_mul_i32 s33, s4, 0xfffff200
	s_barrier
	s_cbranch_vccz .LBB159_74
; %bb.1:
	v_mov_b32_e32 v1, s43
	v_add_co_u32_e64 v2, vcc, -8, s3
	s_add_i32 s65, s33, s42
	s_nop 0
	v_addc_co_u32_e32 v3, vcc, -1, v1, vcc
	flat_load_dwordx2 v[2:3], v[2:3]
	s_add_u32 s56, s3, -8
	s_addc_u32 s57, s43, -1
	v_cmp_gt_u32_e32 vcc, s65, v0
	s_waitcnt vmcnt(0) lgkmcnt(0)
	v_mov_b64_e32 v[4:5], v[2:3]
	s_and_saveexec_b64 s[6:7], vcc
	s_cbranch_execz .LBB159_3
; %bb.2:
	v_lshlrev_b32_e32 v1, 3, v0
	v_mov_b32_e32 v5, s57
	v_sub_co_u32_e64 v4, s[4:5], s56, v1
	s_nop 1
	v_subbrev_co_u32_e64 v5, s[4:5], 0, v5, s[4:5]
	flat_load_dwordx2 v[4:5], v[4:5]
.LBB159_3:
	s_or_b64 exec, exec, s[6:7]
	v_or_b32_e32 v1, 0x100, v0
	v_cmp_gt_u32_e64 s[28:29], s65, v1
	v_mov_b64_e32 v[6:7], v[2:3]
	s_and_saveexec_b64 s[6:7], s[28:29]
	s_cbranch_execz .LBB159_5
; %bb.4:
	v_lshlrev_b32_e32 v6, 3, v1
	v_mov_b32_e32 v7, s57
	v_sub_co_u32_e64 v6, s[4:5], s56, v6
	s_nop 1
	v_subbrev_co_u32_e64 v7, s[4:5], 0, v7, s[4:5]
	flat_load_dwordx2 v[6:7], v[6:7]
.LBB159_5:
	s_or_b64 exec, exec, s[6:7]
	v_or_b32_e32 v30, 0x200, v0
	v_cmp_gt_u32_e64 s[4:5], s65, v30
	v_mov_b64_e32 v[8:9], v[2:3]
	s_and_saveexec_b64 s[8:9], s[4:5]
	s_cbranch_execz .LBB159_7
; %bb.6:
	v_lshlrev_b32_e32 v8, 3, v30
	v_mov_b32_e32 v9, s57
	v_sub_co_u32_e64 v8, s[6:7], s56, v8
	s_nop 1
	v_subbrev_co_u32_e64 v9, s[6:7], 0, v9, s[6:7]
	flat_load_dwordx2 v[8:9], v[8:9]
.LBB159_7:
	s_or_b64 exec, exec, s[8:9]
	v_or_b32_e32 v31, 0x300, v0
	v_cmp_gt_u32_e64 s[6:7], s65, v31
	v_mov_b64_e32 v[10:11], v[2:3]
	s_and_saveexec_b64 s[10:11], s[6:7]
	s_cbranch_execz .LBB159_9
; %bb.8:
	v_lshlrev_b32_e32 v10, 3, v31
	v_mov_b32_e32 v11, s57
	v_sub_co_u32_e64 v10, s[8:9], s56, v10
	s_nop 1
	v_subbrev_co_u32_e64 v11, s[8:9], 0, v11, s[8:9]
	flat_load_dwordx2 v[10:11], v[10:11]
.LBB159_9:
	s_or_b64 exec, exec, s[10:11]
	v_or_b32_e32 v32, 0x400, v0
	v_cmp_gt_u32_e64 s[8:9], s65, v32
	v_mov_b64_e32 v[12:13], v[2:3]
	s_and_saveexec_b64 s[12:13], s[8:9]
	s_cbranch_execz .LBB159_11
; %bb.10:
	v_lshlrev_b32_e32 v12, 3, v32
	v_mov_b32_e32 v13, s57
	v_sub_co_u32_e64 v12, s[10:11], s56, v12
	s_nop 1
	v_subbrev_co_u32_e64 v13, s[10:11], 0, v13, s[10:11]
	flat_load_dwordx2 v[12:13], v[12:13]
.LBB159_11:
	s_or_b64 exec, exec, s[12:13]
	v_or_b32_e32 v33, 0x500, v0
	v_cmp_gt_u32_e64 s[10:11], s65, v33
	v_mov_b64_e32 v[14:15], v[2:3]
	s_and_saveexec_b64 s[14:15], s[10:11]
	s_cbranch_execz .LBB159_13
; %bb.12:
	v_lshlrev_b32_e32 v14, 3, v33
	v_mov_b32_e32 v15, s57
	v_sub_co_u32_e64 v14, s[12:13], s56, v14
	s_nop 1
	v_subbrev_co_u32_e64 v15, s[12:13], 0, v15, s[12:13]
	flat_load_dwordx2 v[14:15], v[14:15]
.LBB159_13:
	s_or_b64 exec, exec, s[14:15]
	v_or_b32_e32 v34, 0x600, v0
	v_cmp_gt_u32_e64 s[12:13], s65, v34
	v_mov_b64_e32 v[16:17], v[2:3]
	s_and_saveexec_b64 s[16:17], s[12:13]
	s_cbranch_execz .LBB159_15
; %bb.14:
	v_lshlrev_b32_e32 v16, 3, v34
	v_mov_b32_e32 v17, s57
	v_sub_co_u32_e64 v16, s[14:15], s56, v16
	s_nop 1
	v_subbrev_co_u32_e64 v17, s[14:15], 0, v17, s[14:15]
	flat_load_dwordx2 v[16:17], v[16:17]
.LBB159_15:
	s_or_b64 exec, exec, s[16:17]
	v_or_b32_e32 v35, 0x700, v0
	v_cmp_gt_u32_e64 s[14:15], s65, v35
	v_mov_b64_e32 v[18:19], v[2:3]
	s_and_saveexec_b64 s[18:19], s[14:15]
	s_cbranch_execz .LBB159_17
; %bb.16:
	v_lshlrev_b32_e32 v18, 3, v35
	v_mov_b32_e32 v19, s57
	v_sub_co_u32_e64 v18, s[16:17], s56, v18
	s_nop 1
	v_subbrev_co_u32_e64 v19, s[16:17], 0, v19, s[16:17]
	flat_load_dwordx2 v[18:19], v[18:19]
.LBB159_17:
	s_or_b64 exec, exec, s[18:19]
	v_or_b32_e32 v37, 0x800, v0
	v_cmp_gt_u32_e64 s[16:17], s65, v37
	v_mov_b64_e32 v[20:21], v[2:3]
	s_and_saveexec_b64 s[20:21], s[16:17]
	s_cbranch_execz .LBB159_19
; %bb.18:
	v_lshlrev_b32_e32 v20, 3, v37
	v_mov_b32_e32 v21, s57
	v_sub_co_u32_e64 v20, s[18:19], s56, v20
	s_nop 1
	v_subbrev_co_u32_e64 v21, s[18:19], 0, v21, s[18:19]
	flat_load_dwordx2 v[20:21], v[20:21]
.LBB159_19:
	s_or_b64 exec, exec, s[20:21]
	v_or_b32_e32 v38, 0x900, v0
	v_cmp_gt_u32_e64 s[18:19], s65, v38
	v_mov_b64_e32 v[22:23], v[2:3]
	s_and_saveexec_b64 s[22:23], s[18:19]
	s_cbranch_execz .LBB159_21
; %bb.20:
	v_lshlrev_b32_e32 v22, 3, v38
	v_mov_b32_e32 v23, s57
	v_sub_co_u32_e64 v22, s[20:21], s56, v22
	s_nop 1
	v_subbrev_co_u32_e64 v23, s[20:21], 0, v23, s[20:21]
	flat_load_dwordx2 v[22:23], v[22:23]
.LBB159_21:
	s_or_b64 exec, exec, s[22:23]
	v_or_b32_e32 v39, 0xa00, v0
	v_cmp_gt_u32_e64 s[20:21], s65, v39
	v_mov_b64_e32 v[24:25], v[2:3]
	s_and_saveexec_b64 s[24:25], s[20:21]
	s_cbranch_execz .LBB159_23
; %bb.22:
	v_lshlrev_b32_e32 v24, 3, v39
	v_mov_b32_e32 v25, s57
	v_sub_co_u32_e64 v24, s[22:23], s56, v24
	s_nop 1
	v_subbrev_co_u32_e64 v25, s[22:23], 0, v25, s[22:23]
	flat_load_dwordx2 v[24:25], v[24:25]
.LBB159_23:
	s_or_b64 exec, exec, s[24:25]
	v_or_b32_e32 v40, 0xb00, v0
	v_cmp_gt_u32_e64 s[22:23], s65, v40
	v_mov_b64_e32 v[26:27], v[2:3]
	s_and_saveexec_b64 s[26:27], s[22:23]
	s_cbranch_execz .LBB159_25
; %bb.24:
	v_lshlrev_b32_e32 v26, 3, v40
	v_mov_b32_e32 v27, s57
	v_sub_co_u32_e64 v26, s[24:25], s56, v26
	s_nop 1
	v_subbrev_co_u32_e64 v27, s[24:25], 0, v27, s[24:25]
	flat_load_dwordx2 v[26:27], v[26:27]
.LBB159_25:
	s_or_b64 exec, exec, s[26:27]
	v_or_b32_e32 v41, 0xc00, v0
	v_cmp_gt_u32_e64 s[24:25], s65, v41
	v_mov_b64_e32 v[28:29], v[2:3]
	s_and_saveexec_b64 s[30:31], s[24:25]
	s_cbranch_execz .LBB159_27
; %bb.26:
	v_lshlrev_b32_e32 v28, 3, v41
	v_mov_b32_e32 v29, s57
	v_sub_co_u32_e64 v28, s[26:27], s56, v28
	s_nop 1
	v_subbrev_co_u32_e64 v29, s[26:27], 0, v29, s[26:27]
	flat_load_dwordx2 v[28:29], v[28:29]
.LBB159_27:
	s_or_b64 exec, exec, s[30:31]
	v_or_b32_e32 v42, 0xd00, v0
	v_cmp_gt_u32_e64 s[26:27], s65, v42
	s_and_saveexec_b64 s[52:53], s[26:27]
	s_cbranch_execz .LBB159_29
; %bb.28:
	v_lshlrev_b32_e32 v2, 3, v42
	v_mov_b32_e32 v3, s57
	v_sub_co_u32_e64 v2, s[30:31], s56, v2
	s_nop 1
	v_subbrev_co_u32_e64 v3, s[30:31], 0, v3, s[30:31]
	flat_load_dwordx2 v[2:3], v[2:3]
.LBB159_29:
	s_or_b64 exec, exec, s[52:53]
	s_lshl_b64 s[30:31], s[48:49], 3
	s_add_u32 s30, s58, s30
	s_addc_u32 s31, s59, s31
	s_add_u32 s52, s30, -8
	s_addc_u32 s53, s31, -1
	s_and_b64 s[30:31], s[46:47], exec
	s_cselect_b32 s30, s3, s52
	s_cselect_b32 s31, s43, s53
	s_cmp_eq_u64 s[48:49], 0
	v_lshlrev_b32_e32 v43, 3, v0
	s_cselect_b32 s31, s57, s31
	s_cselect_b32 s30, s56, s30
	s_waitcnt vmcnt(0) lgkmcnt(0)
	ds_write2st64_b64 v43, v[4:5], v[6:7] offset1:4
	ds_write2st64_b64 v43, v[8:9], v[10:11] offset0:8 offset1:12
	ds_write2st64_b64 v43, v[12:13], v[14:15] offset0:16 offset1:20
	;; [unrolled: 1-line block ×6, first 2 shown]
	v_mov_b32_e32 v2, s30
	v_mov_b32_e32 v3, s31
	s_waitcnt lgkmcnt(0)
	s_barrier
	flat_load_dwordx2 v[4:5], v[2:3]
	s_movk_i32 s30, 0x68
	v_mad_u32_u24 v36, v0, s30, v43
	ds_read_b128 v[74:77], v36
	ds_read_b128 v[70:73], v36 offset:16
	ds_read_b128 v[66:69], v36 offset:32
	;; [unrolled: 1-line block ×6, first 2 shown]
	s_movk_i32 s30, 0xff98
	v_mad_i32_i24 v2, v0, s30, v36
	v_cmp_ne_u32_e64 s[30:31], 0, v0
	s_waitcnt lgkmcnt(0)
	ds_write_b64 v2, v[56:57] offset:28672
	s_waitcnt lgkmcnt(0)
	s_barrier
	s_and_saveexec_b64 s[52:53], s[30:31]
	s_cbranch_execz .LBB159_31
; %bb.30:
	v_mul_i32_i24_e32 v2, 0xffffff98, v0
	v_add_u32_e32 v2, v36, v2
	s_waitcnt vmcnt(0)
	ds_read_b64 v[4:5], v2 offset:28664
.LBB159_31:
	s_or_b64 exec, exec, s[52:53]
	s_add_u32 s52, s34, -8
	s_addc_u32 s53, s35, -1
	s_waitcnt lgkmcnt(0)
	s_barrier
	s_waitcnt lgkmcnt(0)
                                        ; implicit-def: $vgpr2_vgpr3
	s_and_saveexec_b64 s[30:31], vcc
	s_cbranch_execz .LBB159_151
; %bb.32:
	v_mov_b32_e32 v3, s53
	v_sub_co_u32_e32 v2, vcc, s52, v43
	s_nop 1
	v_subbrev_co_u32_e32 v3, vcc, 0, v3, vcc
	flat_load_dwordx2 v[2:3], v[2:3]
	s_or_b64 exec, exec, s[30:31]
                                        ; implicit-def: $vgpr6_vgpr7
	s_and_saveexec_b64 s[30:31], s[28:29]
	s_cbranch_execnz .LBB159_152
.LBB159_33:
	s_or_b64 exec, exec, s[30:31]
                                        ; implicit-def: $vgpr8_vgpr9
	s_and_saveexec_b64 s[28:29], s[4:5]
	s_cbranch_execz .LBB159_153
.LBB159_34:
	v_lshlrev_b32_e32 v1, 3, v30
	v_mov_b32_e32 v9, s53
	v_sub_co_u32_e32 v8, vcc, s52, v1
	s_nop 1
	v_subbrev_co_u32_e32 v9, vcc, 0, v9, vcc
	flat_load_dwordx2 v[8:9], v[8:9]
	s_or_b64 exec, exec, s[28:29]
                                        ; implicit-def: $vgpr10_vgpr11
	s_and_saveexec_b64 s[4:5], s[6:7]
	s_cbranch_execnz .LBB159_154
.LBB159_35:
	s_or_b64 exec, exec, s[4:5]
                                        ; implicit-def: $vgpr12_vgpr13
	s_and_saveexec_b64 s[4:5], s[8:9]
	s_cbranch_execz .LBB159_155
.LBB159_36:
	v_lshlrev_b32_e32 v1, 3, v32
	v_mov_b32_e32 v13, s53
	v_sub_co_u32_e32 v12, vcc, s52, v1
	s_nop 1
	v_subbrev_co_u32_e32 v13, vcc, 0, v13, vcc
	flat_load_dwordx2 v[12:13], v[12:13]
	s_or_b64 exec, exec, s[4:5]
                                        ; implicit-def: $vgpr14_vgpr15
	s_and_saveexec_b64 s[4:5], s[10:11]
	s_cbranch_execnz .LBB159_156
.LBB159_37:
	s_or_b64 exec, exec, s[4:5]
                                        ; implicit-def: $vgpr16_vgpr17
	s_and_saveexec_b64 s[4:5], s[12:13]
	s_cbranch_execz .LBB159_157
.LBB159_38:
	v_lshlrev_b32_e32 v1, 3, v34
	v_mov_b32_e32 v17, s53
	v_sub_co_u32_e32 v16, vcc, s52, v1
	s_nop 1
	v_subbrev_co_u32_e32 v17, vcc, 0, v17, vcc
	flat_load_dwordx2 v[16:17], v[16:17]
	s_or_b64 exec, exec, s[4:5]
                                        ; implicit-def: $vgpr18_vgpr19
	s_and_saveexec_b64 s[4:5], s[14:15]
	s_cbranch_execnz .LBB159_158
.LBB159_39:
	s_or_b64 exec, exec, s[4:5]
                                        ; implicit-def: $vgpr20_vgpr21
	s_and_saveexec_b64 s[4:5], s[16:17]
	s_cbranch_execz .LBB159_159
.LBB159_40:
	v_lshlrev_b32_e32 v1, 3, v37
	v_mov_b32_e32 v21, s53
	v_sub_co_u32_e32 v20, vcc, s52, v1
	s_nop 1
	v_subbrev_co_u32_e32 v21, vcc, 0, v21, vcc
	flat_load_dwordx2 v[20:21], v[20:21]
	s_or_b64 exec, exec, s[4:5]
                                        ; implicit-def: $vgpr22_vgpr23
	s_and_saveexec_b64 s[4:5], s[18:19]
	s_cbranch_execnz .LBB159_160
.LBB159_41:
	s_or_b64 exec, exec, s[4:5]
                                        ; implicit-def: $vgpr24_vgpr25
	s_and_saveexec_b64 s[4:5], s[20:21]
	s_cbranch_execz .LBB159_161
.LBB159_42:
	v_lshlrev_b32_e32 v1, 3, v39
	v_mov_b32_e32 v25, s53
	v_sub_co_u32_e32 v24, vcc, s52, v1
	s_nop 1
	v_subbrev_co_u32_e32 v25, vcc, 0, v25, vcc
	flat_load_dwordx2 v[24:25], v[24:25]
	s_or_b64 exec, exec, s[4:5]
                                        ; implicit-def: $vgpr26_vgpr27
	s_and_saveexec_b64 s[4:5], s[22:23]
	s_cbranch_execnz .LBB159_162
.LBB159_43:
	s_or_b64 exec, exec, s[4:5]
                                        ; implicit-def: $vgpr28_vgpr29
	s_and_saveexec_b64 s[4:5], s[24:25]
	s_cbranch_execz .LBB159_45
.LBB159_44:
	v_lshlrev_b32_e32 v1, 3, v41
	v_mov_b32_e32 v29, s53
	v_sub_co_u32_e32 v28, vcc, s52, v1
	s_nop 1
	v_subbrev_co_u32_e32 v29, vcc, 0, v29, vcc
	flat_load_dwordx2 v[28:29], v[28:29]
.LBB159_45:
	s_or_b64 exec, exec, s[4:5]
	v_mul_u32_u24_e32 v37, 14, v0
                                        ; implicit-def: $vgpr30_vgpr31
	s_and_saveexec_b64 s[4:5], s[26:27]
	s_cbranch_execz .LBB159_47
; %bb.46:
	v_lshlrev_b32_e32 v1, 3, v42
	v_mov_b32_e32 v31, s53
	v_sub_co_u32_e32 v30, vcc, s52, v1
	s_nop 1
	v_subbrev_co_u32_e32 v31, vcc, 0, v31, vcc
	flat_load_dwordx2 v[30:31], v[30:31]
.LBB159_47:
	s_or_b64 exec, exec, s[4:5]
	v_mov_b64_e32 v[78:79], 0
	s_waitcnt vmcnt(0) lgkmcnt(0)
	ds_write2st64_b64 v43, v[2:3], v[6:7] offset1:4
	ds_write2st64_b64 v43, v[8:9], v[10:11] offset0:8 offset1:12
	ds_write2st64_b64 v43, v[12:13], v[14:15] offset0:16 offset1:20
	;; [unrolled: 1-line block ×6, first 2 shown]
	v_cmp_gt_u32_e32 vcc, s65, v37
	s_mov_b64 s[12:13], 0
	s_mov_b64 s[6:7], 0
	s_mov_b32 s64, 0
	v_mov_b32_e32 v80, 0
	v_mov_b32_e32 v91, 0
	v_mov_b64_e32 v[46:47], v[78:79]
	v_mov_b32_e32 v90, 0
	v_mov_b64_e32 v[34:35], v[78:79]
	v_mov_b32_e32 v89, 0
	v_mov_b64_e32 v[42:43], v[78:79]
	v_mov_b32_e32 v88, 0
	v_mov_b64_e32 v[26:27], v[78:79]
	v_mov_b32_e32 v87, 0
	v_mov_b64_e32 v[38:39], v[78:79]
	v_mov_b32_e32 v86, 0
	v_mov_b64_e32 v[18:19], v[78:79]
	v_mov_b32_e32 v85, 0
	v_mov_b64_e32 v[30:31], v[78:79]
	v_mov_b32_e32 v84, 0
	v_mov_b64_e32 v[10:11], v[78:79]
	v_mov_b32_e32 v83, 0
	v_mov_b64_e32 v[22:23], v[78:79]
	v_mov_b32_e32 v81, 0
	v_mov_b64_e32 v[6:7], v[78:79]
	v_mov_b32_e32 v82, 0
	v_mov_b64_e32 v[14:15], v[78:79]
	v_mov_b32_e32 v1, 0
	v_mov_b64_e32 v[2:3], v[78:79]
	s_waitcnt lgkmcnt(0)
	s_barrier
	s_waitcnt lgkmcnt(0)
                                        ; implicit-def: $sgpr10_sgpr11
                                        ; implicit-def: $vgpr52_vgpr53
	s_and_saveexec_b64 s[8:9], vcc
	s_cbranch_execz .LBB159_73
; %bb.48:
	ds_read_b64 v[2:3], v36
	v_cmp_ne_u64_e32 vcc, v[4:5], v[74:75]
	v_or_b32_e32 v4, 1, v37
	v_mov_b64_e32 v[78:79], 0
	v_cndmask_b32_e64 v1, 0, 1, vcc
	v_cmp_gt_u32_e32 vcc, s65, v4
	s_mov_b64 s[4:5], 0
	v_mov_b32_e32 v80, 0
	v_mov_b32_e32 v91, 0
	v_mov_b64_e32 v[46:47], v[78:79]
	v_mov_b32_e32 v90, 0
	v_mov_b64_e32 v[34:35], v[78:79]
	;; [unrolled: 2-line block ×11, first 2 shown]
                                        ; implicit-def: $sgpr14_sgpr15
                                        ; implicit-def: $vgpr52_vgpr53
	s_and_saveexec_b64 s[10:11], vcc
	s_cbranch_execz .LBB159_72
; %bb.49:
	ds_read2_b64 v[14:17], v36 offset0:1 offset1:2
	v_add_u32_e32 v4, 2, v37
	v_cmp_ne_u64_e32 vcc, v[74:75], v[76:77]
	v_mov_b64_e32 v[78:79], 0
	s_mov_b64 s[16:17], 0
	v_cndmask_b32_e64 v82, 0, 1, vcc
	v_cmp_gt_u32_e32 vcc, s65, v4
	v_mov_b32_e32 v80, 0
	v_mov_b32_e32 v91, 0
	v_mov_b64_e32 v[46:47], v[78:79]
	v_mov_b32_e32 v90, 0
	v_mov_b64_e32 v[34:35], v[78:79]
	;; [unrolled: 2-line block ×10, first 2 shown]
                                        ; implicit-def: $sgpr14_sgpr15
                                        ; implicit-def: $vgpr52_vgpr53
	s_and_saveexec_b64 s[12:13], vcc
	s_cbranch_execz .LBB159_71
; %bb.50:
	v_add_u32_e32 v4, 3, v37
	v_cmp_ne_u64_e32 vcc, v[76:77], v[70:71]
	v_mov_b64_e32 v[78:79], 0
	s_waitcnt lgkmcnt(0)
	v_mov_b32_e32 v6, v16
	v_mov_b32_e32 v7, v17
	v_cndmask_b32_e64 v81, 0, 1, vcc
	v_cmp_gt_u32_e32 vcc, s65, v4
	v_mov_b32_e32 v80, 0
	v_mov_b32_e32 v91, 0
	v_mov_b64_e32 v[46:47], v[78:79]
	v_mov_b32_e32 v90, 0
	v_mov_b64_e32 v[34:35], v[78:79]
	;; [unrolled: 2-line block ×9, first 2 shown]
                                        ; implicit-def: $sgpr18_sgpr19
                                        ; implicit-def: $vgpr52_vgpr53
	s_and_saveexec_b64 s[14:15], vcc
	s_cbranch_execz .LBB159_70
; %bb.51:
	ds_read2_b64 v[22:25], v36 offset0:3 offset1:4
	v_add_u32_e32 v4, 4, v37
	v_cmp_ne_u64_e32 vcc, v[70:71], v[72:73]
	v_mov_b64_e32 v[78:79], 0
	s_mov_b64 s[20:21], 0
	v_cndmask_b32_e64 v83, 0, 1, vcc
	v_cmp_gt_u32_e32 vcc, s65, v4
	v_mov_b32_e32 v80, 0
	v_mov_b32_e32 v91, 0
	v_mov_b64_e32 v[46:47], v[78:79]
	v_mov_b32_e32 v90, 0
	v_mov_b64_e32 v[34:35], v[78:79]
	;; [unrolled: 2-line block ×8, first 2 shown]
                                        ; implicit-def: $sgpr18_sgpr19
                                        ; implicit-def: $vgpr52_vgpr53
	s_and_saveexec_b64 s[16:17], vcc
	s_cbranch_execz .LBB159_69
; %bb.52:
	v_add_u32_e32 v4, 5, v37
	v_cmp_ne_u64_e32 vcc, v[72:73], v[66:67]
	v_mov_b64_e32 v[78:79], 0
	s_waitcnt lgkmcnt(0)
	v_mov_b32_e32 v10, v24
	v_mov_b32_e32 v11, v25
	v_cndmask_b32_e64 v84, 0, 1, vcc
	v_cmp_gt_u32_e32 vcc, s65, v4
	v_mov_b32_e32 v80, 0
	v_mov_b32_e32 v91, 0
	v_mov_b64_e32 v[46:47], v[78:79]
	v_mov_b32_e32 v90, 0
	v_mov_b64_e32 v[34:35], v[78:79]
	;; [unrolled: 2-line block ×7, first 2 shown]
                                        ; implicit-def: $sgpr22_sgpr23
                                        ; implicit-def: $vgpr52_vgpr53
	s_and_saveexec_b64 s[18:19], vcc
	s_cbranch_execz .LBB159_68
; %bb.53:
	ds_read2_b64 v[30:33], v36 offset0:5 offset1:6
	v_add_u32_e32 v4, 6, v37
	v_cmp_ne_u64_e32 vcc, v[66:67], v[68:69]
	v_mov_b64_e32 v[78:79], 0
	s_mov_b64 s[24:25], 0
	v_cndmask_b32_e64 v85, 0, 1, vcc
	v_cmp_gt_u32_e32 vcc, s65, v4
	v_mov_b32_e32 v80, 0
	v_mov_b32_e32 v91, 0
	v_mov_b64_e32 v[46:47], v[78:79]
	v_mov_b32_e32 v90, 0
	v_mov_b64_e32 v[34:35], v[78:79]
	;; [unrolled: 2-line block ×6, first 2 shown]
                                        ; implicit-def: $sgpr22_sgpr23
                                        ; implicit-def: $vgpr52_vgpr53
	s_and_saveexec_b64 s[20:21], vcc
	s_cbranch_execz .LBB159_67
; %bb.54:
	v_add_u32_e32 v4, 7, v37
	v_cmp_ne_u64_e32 vcc, v[68:69], v[62:63]
	v_mov_b64_e32 v[78:79], 0
	s_waitcnt lgkmcnt(0)
	v_mov_b32_e32 v18, v32
	v_mov_b32_e32 v19, v33
	v_cndmask_b32_e64 v86, 0, 1, vcc
	v_cmp_gt_u32_e32 vcc, s65, v4
	v_mov_b32_e32 v80, 0
	v_mov_b32_e32 v91, 0
	v_mov_b64_e32 v[46:47], v[78:79]
	v_mov_b32_e32 v90, 0
	v_mov_b64_e32 v[34:35], v[78:79]
	;; [unrolled: 2-line block ×5, first 2 shown]
                                        ; implicit-def: $sgpr26_sgpr27
                                        ; implicit-def: $vgpr52_vgpr53
	s_and_saveexec_b64 s[22:23], vcc
	s_cbranch_execz .LBB159_66
; %bb.55:
	ds_read2_b64 v[38:41], v36 offset0:7 offset1:8
	v_add_u32_e32 v4, 8, v37
	v_cmp_ne_u64_e32 vcc, v[62:63], v[64:65]
	v_mov_b64_e32 v[78:79], 0
	s_mov_b64 s[28:29], 0
	v_cndmask_b32_e64 v87, 0, 1, vcc
	v_cmp_gt_u32_e32 vcc, s65, v4
	v_mov_b32_e32 v80, 0
	v_mov_b32_e32 v91, 0
	v_mov_b64_e32 v[46:47], v[78:79]
	v_mov_b32_e32 v90, 0
	v_mov_b64_e32 v[34:35], v[78:79]
	;; [unrolled: 2-line block ×4, first 2 shown]
                                        ; implicit-def: $sgpr26_sgpr27
                                        ; implicit-def: $vgpr52_vgpr53
	s_and_saveexec_b64 s[24:25], vcc
	s_cbranch_execz .LBB159_65
; %bb.56:
	v_add_u32_e32 v4, 9, v37
	v_cmp_ne_u64_e32 vcc, v[64:65], v[48:49]
	v_mov_b64_e32 v[78:79], 0
	s_waitcnt lgkmcnt(0)
	v_mov_b32_e32 v26, v40
	v_mov_b32_e32 v27, v41
	v_cndmask_b32_e64 v88, 0, 1, vcc
	v_cmp_gt_u32_e32 vcc, s65, v4
	v_mov_b32_e32 v80, 0
	v_mov_b32_e32 v91, 0
	v_mov_b64_e32 v[46:47], v[78:79]
	v_mov_b32_e32 v90, 0
	v_mov_b64_e32 v[34:35], v[78:79]
	;; [unrolled: 2-line block ×3, first 2 shown]
                                        ; implicit-def: $sgpr30_sgpr31
                                        ; implicit-def: $vgpr52_vgpr53
	s_and_saveexec_b64 s[26:27], vcc
	s_cbranch_execz .LBB159_64
; %bb.57:
	ds_read2_b64 v[42:45], v36 offset0:9 offset1:10
	v_add_u32_e32 v4, 10, v37
	v_cmp_ne_u64_e32 vcc, v[48:49], v[50:51]
	v_mov_b64_e32 v[78:79], 0
	s_mov_b64 s[52:53], 0
	v_cndmask_b32_e64 v89, 0, 1, vcc
	v_cmp_gt_u32_e32 vcc, s65, v4
	v_mov_b32_e32 v80, 0
	v_mov_b32_e32 v91, 0
	v_mov_b64_e32 v[46:47], v[78:79]
	v_mov_b32_e32 v90, 0
	v_mov_b64_e32 v[34:35], v[78:79]
                                        ; implicit-def: $sgpr30_sgpr31
                                        ; implicit-def: $vgpr52_vgpr53
	s_and_saveexec_b64 s[28:29], vcc
	s_cbranch_execz .LBB159_63
; %bb.58:
	v_add_u32_e32 v4, 11, v37
	v_cmp_ne_u64_e32 vcc, v[50:51], v[58:59]
	v_mov_b64_e32 v[78:79], 0
	s_waitcnt lgkmcnt(0)
	v_mov_b32_e32 v34, v44
	v_mov_b32_e32 v35, v45
	v_cndmask_b32_e64 v90, 0, 1, vcc
	v_cmp_gt_u32_e32 vcc, s65, v4
	v_mov_b32_e32 v80, 0
	v_mov_b32_e32 v91, 0
	v_mov_b64_e32 v[46:47], v[78:79]
                                        ; implicit-def: $sgpr56_sgpr57
                                        ; implicit-def: $vgpr52_vgpr53
	s_and_saveexec_b64 s[30:31], vcc
	s_cbranch_execz .LBB159_62
; %bb.59:
	ds_read2_b64 v[46:49], v36 offset0:11 offset1:12
	v_add_u32_e32 v4, 12, v37
	v_cmp_ne_u64_e32 vcc, v[58:59], v[60:61]
	v_mov_b32_e32 v80, 0
	v_mov_b64_e32 v[78:79], 0
	v_cndmask_b32_e64 v91, 0, 1, vcc
	v_cmp_gt_u32_e32 vcc, s65, v4
                                        ; implicit-def: $sgpr52_sgpr53
                                        ; implicit-def: $vgpr52_vgpr53
	s_and_saveexec_b64 s[56:57], vcc
	s_xor_b64 s[56:57], exec, s[56:57]
	s_cbranch_execz .LBB159_61
; %bb.60:
	ds_read_b64 v[52:53], v36 offset:104
	v_add_u32_e32 v4, 13, v37
	v_cmp_ne_u64_e64 s[4:5], v[60:61], v[54:55]
	v_cmp_ne_u64_e32 vcc, v[54:55], v[56:57]
	s_and_b64 s[52:53], vcc, exec
	v_cndmask_b32_e64 v80, 0, 1, s[4:5]
	v_cmp_gt_u32_e64 s[4:5], s65, v4
	s_and_b64 s[4:5], s[4:5], exec
	s_waitcnt lgkmcnt(1)
	v_mov_b64_e32 v[50:51], v[48:49]
	v_mov_b64_e32 v[78:79], v[48:49]
.LBB159_61:
	s_or_b64 exec, exec, s[56:57]
	s_and_b64 s[56:57], s[52:53], exec
	s_and_b64 s[52:53], s[4:5], exec
.LBB159_62:
	s_or_b64 exec, exec, s[30:31]
	s_and_b64 s[30:31], s[56:57], exec
	s_and_b64 s[4:5], s[52:53], exec
	s_waitcnt lgkmcnt(0)
	v_mov_b64_e32 v[36:37], v[46:47]
	v_mov_b64_e32 v[28:29], v[42:43]
	;; [unrolled: 1-line block ×6, first 2 shown]
.LBB159_63:
	s_or_b64 exec, exec, s[28:29]
	s_and_b64 s[30:31], s[30:31], exec
	s_and_b64 s[28:29], s[4:5], exec
.LBB159_64:
	s_or_b64 exec, exec, s[26:27]
	s_and_b64 s[26:27], s[30:31], exec
	s_and_b64 s[4:5], s[28:29], exec
.LBB159_65:
	s_or_b64 exec, exec, s[24:25]
	s_and_b64 s[26:27], s[26:27], exec
	s_and_b64 s[24:25], s[4:5], exec
.LBB159_66:
	s_or_b64 exec, exec, s[22:23]
	s_and_b64 s[22:23], s[26:27], exec
	s_and_b64 s[4:5], s[24:25], exec
.LBB159_67:
	s_or_b64 exec, exec, s[20:21]
	s_and_b64 s[22:23], s[22:23], exec
	s_and_b64 s[20:21], s[4:5], exec
.LBB159_68:
	s_or_b64 exec, exec, s[18:19]
	s_and_b64 s[18:19], s[22:23], exec
	s_and_b64 s[4:5], s[20:21], exec
.LBB159_69:
	s_or_b64 exec, exec, s[16:17]
	s_and_b64 s[18:19], s[18:19], exec
	s_and_b64 s[16:17], s[4:5], exec
.LBB159_70:
	s_or_b64 exec, exec, s[14:15]
	s_and_b64 s[14:15], s[18:19], exec
	s_and_b64 s[4:5], s[16:17], exec
.LBB159_71:
	s_or_b64 exec, exec, s[12:13]
	s_and_b64 s[14:15], s[14:15], exec
	s_and_b64 s[12:13], s[4:5], exec
.LBB159_72:
	s_or_b64 exec, exec, s[10:11]
	s_and_b64 s[10:11], s[14:15], exec
	s_and_b64 s[12:13], s[12:13], exec
.LBB159_73:
	s_or_b64 exec, exec, s[8:9]
	s_mov_b64 s[8:9], 0
	s_and_b64 vcc, exec, s[6:7]
	s_waitcnt lgkmcnt(0)
	v_lshlrev_b32_e32 v40, 3, v0
	v_cmp_ne_u32_e64 s[4:5], 0, v0
	s_cbranch_vccnz .LBB159_75
	s_branch .LBB159_78
.LBB159_74:
                                        ; implicit-def: $sgpr10_sgpr11
                                        ; implicit-def: $vgpr52_vgpr53
                                        ; implicit-def: $vgpr80
                                        ; implicit-def: $vgpr91
                                        ; implicit-def: $vgpr36_vgpr37
                                        ; implicit-def: $vgpr90
                                        ; implicit-def: $vgpr89
                                        ; implicit-def: $vgpr28_vgpr29
                                        ; implicit-def: $vgpr88
                                        ; implicit-def: $vgpr87
                                        ; implicit-def: $vgpr20_vgpr21
                                        ; implicit-def: $vgpr86
                                        ; implicit-def: $vgpr85
                                        ; implicit-def: $vgpr12_vgpr13
                                        ; implicit-def: $vgpr84
                                        ; implicit-def: $vgpr83
                                        ; implicit-def: $vgpr8_vgpr9
                                        ; implicit-def: $vgpr81
                                        ; implicit-def: $vgpr82
                                        ; implicit-def: $vgpr4_vgpr5
                                        ; implicit-def: $vgpr1
                                        ; implicit-def: $sgpr64
                                        ; implicit-def: $sgpr8_sgpr9
                                        ; implicit-def: $vgpr78_vgpr79
                                        ; implicit-def: $vgpr46_vgpr47
                                        ; implicit-def: $vgpr42_vgpr43
                                        ; implicit-def: $vgpr38_vgpr39
                                        ; implicit-def: $vgpr30_vgpr31
                                        ; implicit-def: $vgpr22_vgpr23
                                        ; implicit-def: $vgpr14_vgpr15
	s_and_b64 vcc, exec, s[6:7]
	v_lshlrev_b32_e32 v40, 3, v0
	v_cmp_ne_u32_e64 s[4:5], 0, v0
	s_cbranch_vccz .LBB159_78
.LBB159_75:
	v_mov_b32_e32 v1, s43
	v_sub_co_u32_e32 v34, vcc, s3, v40
	s_add_u32 s8, s3, -8
	s_nop 0
	v_subbrev_co_u32_e32 v1, vcc, 0, v1, vcc
	v_add_co_u32_e32 v2, vcc, -8, v34
	s_addc_u32 s9, s43, -1
	s_nop 0
	v_addc_co_u32_e32 v3, vcc, -1, v1, vcc
	v_add_co_u32_e32 v4, vcc, 0xfffff7f8, v34
	s_lshl_b64 s[6:7], s[48:49], 3
	s_nop 0
	v_addc_co_u32_e32 v5, vcc, -1, v1, vcc
	v_add_co_u32_e32 v6, vcc, 0xffffeff8, v34
	s_add_u32 s6, s58, s6
	s_nop 0
	v_addc_co_u32_e32 v7, vcc, -1, v1, vcc
	v_add_co_u32_e32 v8, vcc, 0xffffe7f8, v34
	s_addc_u32 s7, s59, s7
	s_nop 0
	v_addc_co_u32_e32 v9, vcc, -1, v1, vcc
	flat_load_dwordx2 v[10:11], v[2:3]
	flat_load_dwordx2 v[12:13], v[4:5]
	;; [unrolled: 1-line block ×4, first 2 shown]
	v_add_co_u32_e32 v2, vcc, 0xffffdff8, v34
	s_add_u32 s10, s6, -8
	s_nop 0
	v_addc_co_u32_e32 v3, vcc, -1, v1, vcc
	v_add_co_u32_e32 v4, vcc, 0xffffd7f8, v34
	s_addc_u32 s11, s7, -1
	s_nop 0
	v_addc_co_u32_e32 v5, vcc, -1, v1, vcc
	v_add_co_u32_e32 v6, vcc, 0xffffcff8, v34
	s_and_b64 s[6:7], s[46:47], exec
	s_nop 0
	v_addc_co_u32_e32 v7, vcc, -1, v1, vcc
	v_add_co_u32_e32 v8, vcc, 0xffffc7f8, v34
	s_cselect_b32 s3, s3, s10
	s_nop 0
	v_addc_co_u32_e32 v9, vcc, -1, v1, vcc
	flat_load_dwordx2 v[18:19], v[2:3]
	flat_load_dwordx2 v[20:21], v[4:5]
	;; [unrolled: 1-line block ×4, first 2 shown]
	v_add_co_u32_e32 v2, vcc, 0xffffbff8, v34
	s_cselect_b32 s6, s43, s11
	s_nop 0
	v_addc_co_u32_e32 v3, vcc, -1, v1, vcc
	v_add_co_u32_e32 v4, vcc, 0xffffb7f8, v34
	s_cmp_eq_u64 s[48:49], 0
	s_nop 0
	v_addc_co_u32_e32 v5, vcc, -1, v1, vcc
	v_add_co_u32_e32 v6, vcc, 0xffffaff8, v34
	s_cselect_b32 s6, s9, s6
	s_nop 0
	v_addc_co_u32_e32 v7, vcc, -1, v1, vcc
	v_add_co_u32_e32 v8, vcc, 0xffffa7f8, v34
	s_cselect_b32 s3, s8, s3
	s_nop 0
	v_addc_co_u32_e32 v9, vcc, -1, v1, vcc
	flat_load_dwordx2 v[26:27], v[2:3]
	flat_load_dwordx2 v[28:29], v[4:5]
	flat_load_dwordx2 v[30:31], v[6:7]
	flat_load_dwordx2 v[32:33], v[8:9]
	v_add_co_u32_e32 v2, vcc, 0xffff9ff8, v34
	s_movk_i32 s13, 0xf7f8
	s_nop 0
	v_addc_co_u32_e32 v3, vcc, -1, v1, vcc
	v_add_co_u32_e32 v4, vcc, 0xffff97f8, v34
	s_movk_i32 s12, 0xe7f8
	s_nop 0
	v_addc_co_u32_e32 v5, vcc, -1, v1, vcc
	flat_load_dwordx2 v[6:7], v[2:3]
	flat_load_dwordx2 v[8:9], v[4:5]
	v_mov_b32_e32 v2, s3
	v_mov_b32_e32 v3, s6
	s_movk_i32 s11, 0xd7f8
	s_movk_i32 s10, 0xc7f8
	;; [unrolled: 1-line block ×5, first 2 shown]
	s_waitcnt vmcnt(0) lgkmcnt(0)
	ds_write2st64_b64 v40, v[10:11], v[12:13] offset1:4
	ds_write2st64_b64 v40, v[14:15], v[16:17] offset0:8 offset1:12
	ds_write2st64_b64 v40, v[18:19], v[20:21] offset0:16 offset1:20
	;; [unrolled: 1-line block ×6, first 2 shown]
	s_waitcnt lgkmcnt(0)
	s_barrier
	flat_load_dwordx2 v[30:31], v[2:3]
	v_sub_co_u32_e32 v32, vcc, 0, v0
	s_nop 1
	v_subb_co_u32_e64 v33, s[6:7], 0, 0, vcc
	s_movk_i32 s6, 0x68
	s_nop 0
	v_mad_u32_u24 v1, v0, s6, v40
	ds_read_b128 v[14:17], v1
	ds_read_b128 v[2:5], v1 offset:16
	ds_read_b128 v[6:9], v1 offset:32
	;; [unrolled: 1-line block ×6, first 2 shown]
	s_movk_i32 s6, 0xff98
	v_mad_i32_i24 v34, v0, s6, v1
	s_waitcnt lgkmcnt(0)
	ds_write_b64 v34, v[28:29] offset:28672
	s_waitcnt lgkmcnt(0)
	s_barrier
	s_and_saveexec_b64 s[6:7], s[4:5]
	s_cbranch_execz .LBB159_77
; %bb.76:
	s_waitcnt vmcnt(0)
	v_mul_i32_i24_e32 v30, 0xffffff98, v0
	v_add_u32_e32 v30, v1, v30
	ds_read_b64 v[30:31], v30 offset:28664
.LBB159_77:
	s_or_b64 exec, exec, s[6:7]
	v_lshl_add_u64 v[32:33], v[32:33], 3, s[34:35]
	v_add_co_u32_e32 v34, vcc, s13, v32
	s_waitcnt lgkmcnt(0)
	s_nop 0
	v_addc_co_u32_e32 v35, vcc, -1, v33, vcc
	v_add_co_u32_e32 v36, vcc, s12, v32
	s_barrier
	s_nop 0
	v_addc_co_u32_e32 v37, vcc, -1, v33, vcc
	flat_load_dwordx2 v[38:39], v[36:37] offset:2048
	flat_load_dwordx2 v[42:43], v[36:37]
	flat_load_dwordx2 v[44:45], v[34:35] offset:2048
	flat_load_dwordx2 v[46:47], v[34:35]
	v_add_co_u32_e32 v34, vcc, s11, v32
	s_mov_b64 s[12:13], -1
	s_nop 0
	v_addc_co_u32_e32 v35, vcc, -1, v33, vcc
	v_add_co_u32_e32 v36, vcc, s10, v32
	v_cmp_ne_u64_e64 s[10:11], v[26:27], v[28:29]
	s_nop 0
	v_addc_co_u32_e32 v37, vcc, -1, v33, vcc
	flat_load_dwordx2 v[48:49], v[36:37] offset:2048
	flat_load_dwordx2 v[50:51], v[36:37]
	flat_load_dwordx2 v[52:53], v[34:35] offset:2048
	flat_load_dwordx2 v[54:55], v[34:35]
	v_add_co_u32_e32 v34, vcc, s9, v32
                                        ; implicit-def: $sgpr64
                                        ; implicit-def: $vgpr78_vgpr79
	s_nop 1
	v_addc_co_u32_e32 v35, vcc, -1, v33, vcc
	v_add_co_u32_e32 v36, vcc, s8, v32
                                        ; implicit-def: $sgpr8_sgpr9
	s_nop 1
	v_addc_co_u32_e32 v37, vcc, -1, v33, vcc
	v_add_co_u32_e32 v32, vcc, s3, v32
	flat_load_dwordx2 v[56:57], v[36:37] offset:2048
	flat_load_dwordx2 v[58:59], v[36:37]
	flat_load_dwordx2 v[60:61], v[34:35] offset:2048
	flat_load_dwordx2 v[62:63], v[34:35]
	v_addc_co_u32_e32 v33, vcc, -1, v33, vcc
	flat_load_dwordx2 v[34:35], v[32:33] offset:2048
	flat_load_dwordx2 v[36:37], v[32:33]
	v_cmp_ne_u64_e32 vcc, v[24:25], v[26:27]
	s_waitcnt vmcnt(0) lgkmcnt(0)
	ds_write2st64_b64 v40, v[44:45], v[46:47] offset1:4
	ds_write2st64_b64 v40, v[38:39], v[42:43] offset0:8 offset1:12
	ds_write2st64_b64 v40, v[52:53], v[54:55] offset0:16 offset1:20
	;; [unrolled: 1-line block ×6, first 2 shown]
	v_cndmask_b32_e64 v80, 0, 1, vcc
	v_cmp_ne_u64_e32 vcc, v[22:23], v[24:25]
	s_waitcnt lgkmcnt(0)
	s_barrier
	v_cndmask_b32_e64 v91, 0, 1, vcc
	v_cmp_ne_u64_e32 vcc, v[20:21], v[22:23]
	s_waitcnt lgkmcnt(0)
                                        ; implicit-def: $vgpr46_vgpr47
                                        ; implicit-def: $vgpr42_vgpr43
                                        ; implicit-def: $vgpr38_vgpr39
                                        ; implicit-def: $vgpr22_vgpr23
	s_nop 0
	v_cndmask_b32_e64 v90, 0, 1, vcc
	v_cmp_ne_u64_e32 vcc, v[18:19], v[20:21]
	s_nop 1
	v_cndmask_b32_e64 v89, 0, 1, vcc
	v_cmp_ne_u64_e32 vcc, v[12:13], v[18:19]
	;; [unrolled: 3-line block ×8, first 2 shown]
	ds_read_b128 v[2:5], v1
	ds_read_b128 v[6:9], v1 offset:16
	ds_read_b128 v[10:13], v1 offset:32
	;; [unrolled: 1-line block ×6, first 2 shown]
	v_cndmask_b32_e64 v81, 0, 1, vcc
	v_cmp_ne_u64_e32 vcc, v[14:15], v[16:17]
	s_nop 1
	v_cndmask_b32_e64 v82, 0, 1, vcc
	v_cmp_ne_u64_e32 vcc, v[30:31], v[14:15]
                                        ; implicit-def: $vgpr30_vgpr31
                                        ; implicit-def: $vgpr14_vgpr15
	s_nop 1
	v_cndmask_b32_e64 v1, 0, 1, vcc
.LBB159_78:
	v_mov_b64_e32 v[16:17], s[8:9]
	v_mov_b32_e32 v32, s64
	s_and_saveexec_b64 s[4:5], s[12:13]
	s_cbranch_execz .LBB159_80
; %bb.79:
	v_cndmask_b32_e64 v32, 0, 1, s[10:11]
	s_waitcnt lgkmcnt(6)
	v_mov_b64_e32 v[14:15], v[4:5]
	s_waitcnt lgkmcnt(5)
	v_mov_b64_e32 v[22:23], v[8:9]
	;; [unrolled: 2-line block ×7, first 2 shown]
	v_mov_b64_e32 v[16:17], v[52:53]
.LBB159_80:
	s_or_b64 exec, exec, s[4:5]
	s_waitcnt lgkmcnt(6)
	v_or_b32_e32 v4, v32, v80
	s_cmp_lg_u32 s2, 0
	s_waitcnt lgkmcnt(1)
	v_or_b32_e32 v36, v4, v91
	v_mbcnt_lo_u32_b32 v33, -1, 0
	s_waitcnt lgkmcnt(0)
	s_barrier
	s_cbranch_scc0 .LBB159_163
; %bb.81:
	v_mov_b32_e32 v8, 0
	v_cmp_gt_i64_e32 vcc, v[14:15], v[2:3]
	v_cmp_eq_u16_sdwa s[30:31], v82, v8 src0_sel:BYTE_0 src1_sel:DWORD
	v_cmp_eq_u16_sdwa s[4:5], v81, v8 src0_sel:BYTE_0 src1_sel:DWORD
	v_cndmask_b32_e32 v4, v2, v14, vcc
	v_cndmask_b32_e32 v5, v3, v15, vcc
	v_cndmask_b32_e64 v5, v15, v5, s[30:31]
	v_cndmask_b32_e64 v4, v14, v4, s[30:31]
	v_cmp_gt_i64_e32 vcc, v[6:7], v[4:5]
	v_cmp_eq_u16_sdwa s[6:7], v83, v8 src0_sel:BYTE_0 src1_sel:DWORD
	v_cmp_eq_u16_sdwa s[8:9], v84, v8 src0_sel:BYTE_0 src1_sel:DWORD
	v_cndmask_b32_e32 v4, v4, v6, vcc
	v_cndmask_b32_e32 v5, v5, v7, vcc
	v_cndmask_b32_e64 v5, v7, v5, s[4:5]
	v_cndmask_b32_e64 v4, v6, v4, s[4:5]
	;; [unrolled: 7-line block ×6, first 2 shown]
	v_cmp_gt_i64_e32 vcc, v[38:39], v[4:5]
	v_cmp_eq_u16_sdwa s[26:27], v32, v8 src0_sel:BYTE_0 src1_sel:DWORD
	v_and_b32_e32 v12, 0xff, v1
	v_cndmask_b32_e32 v4, v4, v38, vcc
	v_cndmask_b32_e32 v5, v5, v39, vcc
	v_cndmask_b32_e64 v5, v39, v5, s[14:15]
	v_cndmask_b32_e64 v4, v38, v4, s[14:15]
	v_cmp_gt_i64_e32 vcc, v[26:27], v[4:5]
	v_mbcnt_hi_u32_b32 v28, -1, v33
	s_nop 0
	v_cndmask_b32_e32 v4, v4, v26, vcc
	v_cndmask_b32_e32 v5, v5, v27, vcc
	v_cndmask_b32_e64 v5, v27, v5, s[16:17]
	v_cndmask_b32_e64 v4, v26, v4, s[16:17]
	v_cmp_gt_i64_e32 vcc, v[42:43], v[4:5]
	s_nop 1
	v_cndmask_b32_e32 v4, v4, v42, vcc
	v_cndmask_b32_e32 v5, v5, v43, vcc
	v_cndmask_b32_e64 v5, v43, v5, s[18:19]
	v_cndmask_b32_e64 v4, v42, v4, s[18:19]
	v_cmp_gt_i64_e32 vcc, v[34:35], v[4:5]
	;; [unrolled: 6-line block ×5, first 2 shown]
	s_nop 1
	v_cndmask_b32_e32 v4, v4, v16, vcc
	v_cndmask_b32_e64 v8, v16, v4, s[26:27]
	v_or_b32_e32 v4, v36, v90
	v_or_b32_e32 v4, v4, v89
	;; [unrolled: 1-line block ×10, first 2 shown]
	v_and_b32_e32 v4, 1, v4
	v_cndmask_b32_e32 v5, v5, v17, vcc
	v_cmp_eq_u32_e32 vcc, 1, v4
	v_cndmask_b32_e64 v9, v17, v5, s[26:27]
	v_mov_b32_dpp v4, v8 row_shr:1 row_mask:0xf bank_mask:0xf
	v_cndmask_b32_e64 v20, v12, 1, vcc
	v_and_b32_e32 v12, 15, v28
	v_mov_b32_dpp v5, v9 row_shr:1 row_mask:0xf bank_mask:0xf
	v_mov_b32_dpp v13, v20 row_shr:1 row_mask:0xf bank_mask:0xf
	v_cmp_ne_u32_e32 vcc, 0, v12
	s_and_saveexec_b64 s[28:29], vcc
; %bb.82:
	v_cmp_gt_i64_e32 vcc, v[8:9], v[4:5]
	s_nop 1
	v_cndmask_b32_e32 v4, v4, v8, vcc
	v_cndmask_b32_e32 v5, v5, v9, vcc
	v_cmp_eq_u32_e32 vcc, 0, v20
	v_and_or_b32 v20, v13, 1, v20
	s_nop 0
	v_cndmask_b32_e32 v9, v9, v5, vcc
	v_cndmask_b32_e32 v8, v8, v4, vcc
; %bb.83:
	s_or_b64 exec, exec, s[28:29]
	s_nop 0
	v_mov_b32_dpp v4, v8 row_shr:2 row_mask:0xf bank_mask:0xf
	v_mov_b32_dpp v5, v9 row_shr:2 row_mask:0xf bank_mask:0xf
	v_mov_b32_dpp v13, v20 row_shr:2 row_mask:0xf bank_mask:0xf
	v_cmp_lt_u32_e32 vcc, 1, v12
	s_and_saveexec_b64 s[28:29], vcc
; %bb.84:
	v_cmp_gt_i64_e32 vcc, v[8:9], v[4:5]
	s_nop 1
	v_cndmask_b32_e32 v4, v4, v8, vcc
	v_cndmask_b32_e32 v5, v5, v9, vcc
	v_cmp_eq_u32_e32 vcc, 0, v20
	s_nop 1
	v_cndmask_b32_e32 v8, v8, v4, vcc
	v_or_b32_e32 v4, v13, v20
	v_cndmask_b32_e32 v9, v9, v5, vcc
	v_and_b32_e32 v20, 1, v4
; %bb.85:
	s_or_b64 exec, exec, s[28:29]
	v_mov_b32_dpp v4, v8 row_shr:4 row_mask:0xf bank_mask:0xf
	v_mov_b32_dpp v5, v9 row_shr:4 row_mask:0xf bank_mask:0xf
	v_mov_b32_dpp v13, v20 row_shr:4 row_mask:0xf bank_mask:0xf
	v_cmp_lt_u32_e32 vcc, 3, v12
	s_and_saveexec_b64 s[28:29], vcc
; %bb.86:
	v_cmp_gt_i64_e32 vcc, v[8:9], v[4:5]
	s_nop 1
	v_cndmask_b32_e32 v4, v4, v8, vcc
	v_cndmask_b32_e32 v5, v5, v9, vcc
	v_cmp_eq_u32_e32 vcc, 0, v20
	s_nop 1
	v_cndmask_b32_e32 v8, v8, v4, vcc
	v_or_b32_e32 v4, v13, v20
	v_cndmask_b32_e32 v9, v9, v5, vcc
	v_and_b32_e32 v20, 1, v4
; %bb.87:
	s_or_b64 exec, exec, s[28:29]
	;; [unrolled: 18-line block ×3, first 2 shown]
	v_and_b32_e32 v13, 16, v28
	v_mov_b32_dpp v4, v8 row_bcast:15 row_mask:0xf bank_mask:0xf
	v_mov_b32_dpp v5, v9 row_bcast:15 row_mask:0xf bank_mask:0xf
	;; [unrolled: 1-line block ×3, first 2 shown]
	v_cmp_ne_u32_e32 vcc, 0, v13
	s_and_saveexec_b64 s[28:29], vcc
; %bb.90:
	v_cmp_gt_i64_e32 vcc, v[8:9], v[4:5]
	s_nop 1
	v_cndmask_b32_e32 v4, v4, v8, vcc
	v_cndmask_b32_e32 v5, v5, v9, vcc
	v_cmp_eq_u32_e32 vcc, 0, v20
	s_nop 1
	v_cndmask_b32_e32 v8, v8, v4, vcc
	v_or_b32_e32 v4, v12, v20
	v_cndmask_b32_e32 v9, v9, v5, vcc
	v_and_b32_e32 v20, 1, v4
; %bb.91:
	s_or_b64 exec, exec, s[28:29]
	v_mov_b32_dpp v4, v8 row_bcast:31 row_mask:0xf bank_mask:0xf
	v_mov_b32_dpp v5, v9 row_bcast:31 row_mask:0xf bank_mask:0xf
	;; [unrolled: 1-line block ×3, first 2 shown]
	v_cmp_lt_u32_e32 vcc, 31, v28
	v_mov_b32_e32 v12, v20
	s_and_saveexec_b64 s[28:29], vcc
; %bb.92:
	v_cmp_gt_i64_e32 vcc, v[8:9], v[4:5]
	s_nop 1
	v_cndmask_b32_e32 v4, v4, v8, vcc
	v_cndmask_b32_e32 v5, v5, v9, vcc
	v_cmp_eq_u32_e32 vcc, 0, v20
	s_nop 1
	v_cndmask_b32_e32 v8, v8, v4, vcc
	v_or_b32_e32 v4, v13, v20
	v_cndmask_b32_e32 v9, v9, v5, vcc
	v_and_b32_e32 v12, 1, v4
	v_and_b32_e32 v20, 1, v4
; %bb.93:
	s_or_b64 exec, exec, s[28:29]
	v_or_b32_e32 v4, 63, v0
	v_lshrrev_b32_e32 v21, 6, v0
	v_cmp_eq_u32_e32 vcc, v4, v0
	s_and_saveexec_b64 s[28:29], vcc
	s_cbranch_execz .LBB159_95
; %bb.94:
	v_lshlrev_b32_e32 v4, 4, v21
	ds_write_b64 v4, v[8:9]
	ds_write_b8 v4, v12 offset:8
.LBB159_95:
	s_or_b64 exec, exec, s[28:29]
	v_cmp_gt_u32_e32 vcc, 4, v0
	s_waitcnt lgkmcnt(0)
	s_barrier
	s_and_saveexec_b64 s[34:35], vcc
	s_cbranch_execz .LBB159_101
; %bb.96:
	v_lshlrev_b32_e32 v24, 4, v0
	ds_read_b64 v[4:5], v24
	ds_read_b32 v25, v24 offset:8
	v_and_b32_e32 v29, 3, v28
	v_cmp_ne_u32_e32 vcc, 0, v29
	s_waitcnt lgkmcnt(1)
	v_mov_b32_dpp v12, v4 row_shr:1 row_mask:0xf bank_mask:0xf
	v_mov_b32_dpp v13, v5 row_shr:1 row_mask:0xf bank_mask:0xf
	s_waitcnt lgkmcnt(0)
	v_mov_b32_dpp v44, v25 row_shr:1 row_mask:0xf bank_mask:0xf
	v_mov_b32_e32 v41, v25
	v_mov_b32_e32 v37, v25
	s_and_saveexec_b64 s[28:29], vcc
	s_cbranch_execz .LBB159_98
; %bb.97:
	v_mov_b32_e32 v37, 0
	v_cmp_gt_i64_e32 vcc, v[4:5], v[12:13]
	s_movk_i32 s3, 0xff00
	s_nop 0
	v_cndmask_b32_e32 v12, v12, v4, vcc
	v_cndmask_b32_e32 v13, v13, v5, vcc
	v_cmp_eq_u16_sdwa vcc, v25, v37 src0_sel:BYTE_0 src1_sel:DWORD
	s_nop 1
	v_cndmask_b32_e32 v4, v4, v12, vcc
	v_or_b32_e32 v12, v44, v25
	v_and_b32_e32 v37, 1, v12
	v_cndmask_b32_e32 v5, v5, v13, vcc
	v_and_b32_e32 v41, 1, v12
	v_and_or_b32 v25, v25, s3, v37
.LBB159_98:
	s_or_b64 exec, exec, s[28:29]
	v_mov_b32_dpp v12, v4 row_shr:2 row_mask:0xf bank_mask:0xf
	v_mov_b32_dpp v13, v5 row_shr:2 row_mask:0xf bank_mask:0xf
	;; [unrolled: 1-line block ×3, first 2 shown]
	v_cmp_lt_u32_e32 vcc, 1, v29
	s_and_saveexec_b64 s[46:47], vcc
	s_cbranch_execz .LBB159_100
; %bb.99:
	v_mov_b32_e32 v29, 0
	v_cmp_gt_i64_e32 vcc, v[4:5], v[12:13]
	s_nop 1
	v_cndmask_b32_e32 v12, v12, v4, vcc
	v_cndmask_b32_e32 v13, v13, v5, vcc
	v_cmp_eq_u16_sdwa vcc, v37, v29 src0_sel:BYTE_0 src1_sel:DWORD
	s_nop 1
	v_cndmask_b32_e32 v4, v4, v12, vcc
	v_and_b32_e32 v12, 1, v37
	v_cndmask_b32_e32 v5, v5, v13, vcc
	v_cmp_eq_u32_e32 vcc, 1, v12
	v_and_b32_e32 v12, 1, v25
	v_cmp_eq_u32_e64 s[28:29], 1, v12
	s_or_b64 s[28:29], vcc, s[28:29]
	s_nop 0
	v_cndmask_b32_e64 v41, 0, 1, s[28:29]
.LBB159_100:
	s_or_b64 exec, exec, s[46:47]
	ds_write_b64 v24, v[4:5]
	ds_write_b8 v24, v41 offset:8
.LBB159_101:
	s_or_b64 exec, exec, s[34:35]
	v_cmp_gt_u32_e32 vcc, 64, v0
	v_cmp_lt_u32_e64 s[28:29], 63, v0
	v_mov_b32_e32 v37, 0
	v_mov_b64_e32 v[4:5], 0
	s_waitcnt lgkmcnt(0)
	s_barrier
	s_and_saveexec_b64 s[34:35], s[28:29]
	s_cbranch_execz .LBB159_103
; %bb.102:
	v_lshl_add_u32 v12, v21, 4, -16
	ds_read_b64 v[4:5], v12
	ds_read_u8 v37, v12 offset:8
	s_waitcnt lgkmcnt(1)
	v_cmp_gt_i64_e64 s[28:29], v[8:9], v[4:5]
	s_nop 1
	v_cndmask_b32_e64 v12, v4, v8, s[28:29]
	v_cndmask_b32_e64 v13, v5, v9, s[28:29]
	v_cmp_eq_u32_e64 s[28:29], 0, v20
	s_nop 1
	v_cndmask_b32_e64 v8, v8, v12, s[28:29]
	v_and_b32_e32 v12, 1, v20
	v_cndmask_b32_e64 v9, v9, v13, s[28:29]
	v_cmp_eq_u32_e64 s[28:29], 1, v12
	s_waitcnt lgkmcnt(0)
	s_nop 0
	v_cndmask_b32_e64 v20, v37, 1, s[28:29]
.LBB159_103:
	s_or_b64 exec, exec, s[34:35]
	v_add_u32_e32 v12, -1, v28
	v_and_b32_e32 v13, 64, v28
	v_cmp_lt_i32_e64 s[28:29], v12, v13
	s_nop 1
	v_cndmask_b32_e64 v12, v12, v28, s[28:29]
	v_lshlrev_b32_e32 v12, 2, v12
	ds_bpermute_b32 v41, v12, v8
	ds_bpermute_b32 v44, v12, v9
	;; [unrolled: 1-line block ×3, first 2 shown]
	v_cmp_eq_u32_e64 s[28:29], 0, v28
	s_and_saveexec_b64 s[46:47], vcc
	s_cbranch_execz .LBB159_150
; %bb.104:
	v_mov_b32_e32 v13, 0
	ds_read2_b64 v[48:51], v13 offset0:6 offset1:7
	s_and_saveexec_b64 s[34:35], s[28:29]
	s_cbranch_execz .LBB159_106
; %bb.105:
	s_add_i32 s48, s2, 64
	s_mov_b32 s49, 0
	s_lshl_b64 s[52:53], s[48:49], 4
	s_add_u32 s52, s36, s52
	s_addc_u32 s53, s37, s53
	v_mov_b32_e32 v8, s48
	v_mov_b32_e32 v9, 1
	s_waitcnt lgkmcnt(0)
	global_store_dword v13, v48, s[52:53] sc1
	global_store_dword v13, v49, s[52:53] offset:4 sc1
	global_store_dword v13, v50, s[52:53] offset:8 sc1
	;; [unrolled: 1-line block ×3, first 2 shown]
	s_waitcnt vmcnt(0)
	global_store_byte v8, v9, s[40:41] sc1
.LBB159_106:
	s_or_b64 exec, exec, s[34:35]
	v_xad_u32 v8, v28, -1, s2
	v_add_u32_e32 v12, 64, v8
	s_waitcnt lgkmcnt(0)
	global_load_ubyte v51, v12, s[40:41] sc1
	s_waitcnt vmcnt(0)
	v_cmp_eq_u16_e32 vcc, 0, v51
	s_and_saveexec_b64 s[34:35], vcc
	s_cbranch_execz .LBB159_112
; %bb.107:
	v_lshl_add_u64 v[20:21], s[40:41], 0, v[12:13]
	s_mov_b32 s3, 1
	s_mov_b64 s[48:49], 0
.LBB159_108:                            ; =>This Loop Header: Depth=1
                                        ;     Child Loop BB159_109 Depth 2
	s_max_u32 s43, s3, 1
.LBB159_109:                            ;   Parent Loop BB159_108 Depth=1
                                        ; =>  This Inner Loop Header: Depth=2
	s_add_i32 s43, s43, -1
	s_cmp_eq_u32 s43, 0
	s_sleep 1
	s_cbranch_scc0 .LBB159_109
; %bb.110:                              ;   in Loop: Header=BB159_108 Depth=1
	global_load_ubyte v51, v[20:21], off sc1
	s_cmp_lt_u32 s3, 32
	s_cselect_b64 s[52:53], -1, 0
	s_cmp_lg_u64 s[52:53], 0
	s_addc_u32 s3, s3, 0
	s_waitcnt vmcnt(0)
	v_cmp_ne_u16_e32 vcc, 0, v51
	s_or_b64 s[48:49], vcc, s[48:49]
	s_andn2_b64 exec, exec, s[48:49]
	s_cbranch_execnz .LBB159_108
; %bb.111:
	s_or_b64 exec, exec, s[48:49]
.LBB159_112:
	s_or_b64 exec, exec, s[34:35]
	v_mov_b32_e32 v9, s39
	v_mov_b32_e32 v20, s37
	v_cmp_eq_u16_e32 vcc, 1, v51
	s_waitcnt vmcnt(0)
	s_nop 0
	v_cndmask_b32_e32 v21, v9, v20, vcc
	v_mov_b32_e32 v9, s38
	v_mov_b32_e32 v20, s36
	v_cndmask_b32_e32 v20, v9, v20, vcc
	v_lshl_add_u64 v[12:13], v[12:13], 4, v[20:21]
	global_load_dword v24, v[12:13], off sc1
	global_load_dword v25, v[12:13], off offset:4 sc1
	global_load_dword v29, v[12:13], off offset:8 sc1
	global_load_dword v9, v[12:13], off offset:12 sc1
	v_cmp_eq_u16_e32 vcc, 2, v51
	v_lshlrev_b64 v[12:13], v28, -1
	v_and_b32_e32 v52, 63, v28
	s_waitcnt vmcnt(0)
	v_and_b32_e32 v9, vcc_hi, v13
	v_and_b32_e32 v55, vcc_lo, v12
	v_cmp_ne_u32_e32 vcc, 63, v52
	v_or_b32_e32 v9, 0x80000000, v9
	v_ffbl_b32_e32 v9, v9
	v_addc_co_u32_e32 v20, vcc, 0, v28, vcc
	v_lshlrev_b32_e32 v53, 2, v20
	v_add_u32_e32 v9, 32, v9
	v_ffbl_b32_e32 v55, v55
	v_min_u32_e32 v9, v55, v9
	v_cmp_lt_u32_e32 vcc, v52, v9
	ds_bpermute_b32 v20, v53, v24
	ds_bpermute_b32 v21, v53, v25
	v_and_b32_e32 v62, 0xff, v29
	ds_bpermute_b32 v54, v53, v62
	s_and_saveexec_b64 s[34:35], vcc
	s_cbranch_execz .LBB159_114
; %bb.113:
	v_mov_b32_e32 v55, 0
	s_waitcnt lgkmcnt(1)
	v_cmp_gt_i64_e32 vcc, v[24:25], v[20:21]
	s_nop 1
	v_cndmask_b32_e32 v20, v20, v24, vcc
	v_cndmask_b32_e32 v21, v21, v25, vcc
	v_cmp_eq_u16_sdwa vcc, v29, v55 src0_sel:BYTE_0 src1_sel:DWORD
	s_nop 1
	v_cndmask_b32_e32 v24, v24, v20, vcc
	s_waitcnt lgkmcnt(0)
	v_or_b32_e32 v20, v54, v29
	v_cndmask_b32_e32 v25, v25, v21, vcc
	v_and_b32_e32 v29, 1, v20
	v_and_b32_e32 v62, 1, v20
.LBB159_114:
	s_or_b64 exec, exec, s[34:35]
	v_cmp_gt_u32_e32 vcc, 62, v52
	v_add_u32_e32 v55, 2, v52
	s_waitcnt lgkmcnt(2)
	v_cndmask_b32_e64 v20, 0, 1, vcc
	v_lshlrev_b32_e32 v20, 1, v20
	s_waitcnt lgkmcnt(0)
	v_add_lshl_u32 v54, v20, v28, 2
	ds_bpermute_b32 v20, v54, v24
	ds_bpermute_b32 v21, v54, v25
	ds_bpermute_b32 v56, v54, v62
	v_cmp_le_u32_e32 vcc, v55, v9
	s_and_saveexec_b64 s[48:49], vcc
	s_cbranch_execz .LBB159_116
; %bb.115:
	v_mov_b32_e32 v57, 0
	s_waitcnt lgkmcnt(1)
	v_cmp_gt_i64_e32 vcc, v[24:25], v[20:21]
	s_nop 1
	v_cndmask_b32_e32 v20, v20, v24, vcc
	v_cndmask_b32_e32 v21, v21, v25, vcc
	v_cmp_eq_u16_sdwa vcc, v29, v57 src0_sel:BYTE_0 src1_sel:DWORD
	s_nop 1
	v_cndmask_b32_e32 v24, v24, v20, vcc
	v_and_b32_e32 v20, 1, v29
	v_cndmask_b32_e32 v25, v25, v21, vcc
	v_cmp_eq_u32_e32 vcc, 1, v20
	s_waitcnt lgkmcnt(0)
	v_and_b32_e32 v20, 1, v56
	v_cmp_eq_u32_e64 s[34:35], 1, v20
	s_or_b64 s[34:35], vcc, s[34:35]
	s_nop 0
	v_cndmask_b32_e64 v29, 0, 1, s[34:35]
	v_cndmask_b32_e64 v62, 0, 1, s[34:35]
.LBB159_116:
	s_or_b64 exec, exec, s[48:49]
	v_cmp_gt_u32_e32 vcc, 60, v52
	v_add_u32_e32 v57, 4, v52
	s_waitcnt lgkmcnt(2)
	v_cndmask_b32_e64 v20, 0, 1, vcc
	v_lshlrev_b32_e32 v20, 2, v20
	s_waitcnt lgkmcnt(0)
	v_add_lshl_u32 v56, v20, v28, 2
	ds_bpermute_b32 v20, v56, v24
	ds_bpermute_b32 v21, v56, v25
	ds_bpermute_b32 v58, v56, v62
	v_cmp_le_u32_e32 vcc, v57, v9
	s_and_saveexec_b64 s[48:49], vcc
	s_cbranch_execz .LBB159_118
; %bb.117:
	v_mov_b32_e32 v59, 0
	s_waitcnt lgkmcnt(1)
	v_cmp_gt_i64_e32 vcc, v[24:25], v[20:21]
	s_nop 1
	v_cndmask_b32_e32 v20, v20, v24, vcc
	v_cndmask_b32_e32 v21, v21, v25, vcc
	v_cmp_eq_u16_sdwa vcc, v29, v59 src0_sel:BYTE_0 src1_sel:DWORD
	s_nop 1
	v_cndmask_b32_e32 v24, v24, v20, vcc
	v_and_b32_e32 v20, 1, v29
	v_cndmask_b32_e32 v25, v25, v21, vcc
	v_cmp_eq_u32_e32 vcc, 1, v20
	s_waitcnt lgkmcnt(0)
	v_and_b32_e32 v20, 1, v58
	v_cmp_eq_u32_e64 s[34:35], 1, v20
	s_or_b64 s[34:35], vcc, s[34:35]
	s_nop 0
	v_cndmask_b32_e64 v29, 0, 1, s[34:35]
	v_cndmask_b32_e64 v62, 0, 1, s[34:35]
.LBB159_118:
	;; [unrolled: 35-line block ×4, first 2 shown]
	s_or_b64 exec, exec, s[48:49]
	v_cmp_gt_u32_e32 vcc, 32, v52
	v_add_u32_e32 v64, 32, v52
	s_waitcnt lgkmcnt(2)
	v_cndmask_b32_e64 v20, 0, 1, vcc
	v_lshlrev_b32_e32 v20, 5, v20
	s_waitcnt lgkmcnt(0)
	v_add_lshl_u32 v63, v20, v28, 2
	ds_bpermute_b32 v20, v63, v24
	ds_bpermute_b32 v21, v63, v25
	;; [unrolled: 1-line block ×3, first 2 shown]
	v_cmp_le_u32_e32 vcc, v64, v9
	s_and_saveexec_b64 s[48:49], vcc
	s_cbranch_execz .LBB159_124
; %bb.123:
	v_mov_b32_e32 v9, 0
	s_waitcnt lgkmcnt(1)
	v_cmp_gt_i64_e32 vcc, v[24:25], v[20:21]
	s_nop 1
	v_cndmask_b32_e32 v20, v20, v24, vcc
	v_cndmask_b32_e32 v21, v21, v25, vcc
	v_cmp_eq_u16_sdwa vcc, v29, v9 src0_sel:BYTE_0 src1_sel:DWORD
	v_and_b32_e32 v9, 1, v29
	s_nop 0
	v_cndmask_b32_e32 v25, v25, v21, vcc
	v_cndmask_b32_e32 v24, v24, v20, vcc
	v_cmp_eq_u32_e32 vcc, 1, v9
	s_waitcnt lgkmcnt(0)
	v_and_b32_e32 v9, 1, v28
	v_cmp_eq_u32_e64 s[34:35], 1, v9
	s_or_b64 s[34:35], vcc, s[34:35]
	s_nop 0
	v_cndmask_b32_e64 v29, 0, 1, s[34:35]
.LBB159_124:
	s_or_b64 exec, exec, s[48:49]
	v_mov_b32_e32 v9, 0
	v_mov_b32_e32 v65, 2
	s_branch .LBB159_126
.LBB159_125:                            ;   in Loop: Header=BB159_126 Depth=1
	s_or_b64 exec, exec, s[52:53]
	v_cmp_gt_i64_e32 vcc, v[20:21], v[24:25]
	s_waitcnt lgkmcnt(2)
	v_and_b32_e32 v28, 1, v62
	v_subrev_u32_e32 v8, 64, v8
	v_cndmask_b32_e32 v24, v24, v20, vcc
	v_cndmask_b32_e32 v25, v25, v21, vcc
	v_cmp_eq_u16_sdwa vcc, v62, v9 src0_sel:BYTE_0 src1_sel:DWORD
	s_nop 1
	v_cndmask_b32_e32 v25, v21, v25, vcc
	v_cndmask_b32_e32 v24, v20, v24, vcc
	v_cmp_eq_u32_e32 vcc, 1, v28
	s_or_b64 s[34:35], vcc, s[48:49]
	s_waitcnt lgkmcnt(1)
	v_cndmask_b32_e64 v29, 0, 1, s[34:35]
.LBB159_126:                            ; =>This Loop Header: Depth=1
                                        ;     Child Loop BB159_129 Depth 2
                                        ;       Child Loop BB159_130 Depth 3
	v_cmp_ne_u16_sdwa s[34:35], v51, v65 src0_sel:BYTE_0 src1_sel:DWORD
	v_mov_b32_e32 v62, v29
	s_waitcnt lgkmcnt(2)
	v_cndmask_b32_e64 v20, 0, 1, s[34:35]
	;;#ASMSTART
	;;#ASMEND
	s_nop 0
	v_cmp_ne_u32_e32 vcc, 0, v20
	s_cmp_lg_u64 vcc, exec
	s_waitcnt lgkmcnt(1)
	v_mov_b64_e32 v[20:21], v[24:25]
	s_cbranch_scc1 .LBB159_145
; %bb.127:                              ;   in Loop: Header=BB159_126 Depth=1
	global_load_ubyte v51, v8, s[40:41] sc1
	s_waitcnt vmcnt(0)
	v_cmp_eq_u16_e32 vcc, 0, v51
	s_and_saveexec_b64 s[34:35], vcc
	s_cbranch_execz .LBB159_133
; %bb.128:                              ;   in Loop: Header=BB159_126 Depth=1
	v_lshl_add_u64 v[24:25], s[40:41], 0, v[8:9]
	s_mov_b32 s3, 1
	s_mov_b64 s[48:49], 0
.LBB159_129:                            ;   Parent Loop BB159_126 Depth=1
                                        ; =>  This Loop Header: Depth=2
                                        ;       Child Loop BB159_130 Depth 3
	s_max_u32 s43, s3, 1
.LBB159_130:                            ;   Parent Loop BB159_126 Depth=1
                                        ;     Parent Loop BB159_129 Depth=2
                                        ; =>    This Inner Loop Header: Depth=3
	s_add_i32 s43, s43, -1
	s_cmp_eq_u32 s43, 0
	s_sleep 1
	s_cbranch_scc0 .LBB159_130
; %bb.131:                              ;   in Loop: Header=BB159_129 Depth=2
	global_load_ubyte v51, v[24:25], off sc1
	s_cmp_lt_u32 s3, 32
	s_cselect_b64 s[52:53], -1, 0
	s_cmp_lg_u64 s[52:53], 0
	s_addc_u32 s3, s3, 0
	s_waitcnt vmcnt(0)
	v_cmp_ne_u16_e32 vcc, 0, v51
	s_or_b64 s[48:49], vcc, s[48:49]
	s_andn2_b64 exec, exec, s[48:49]
	s_cbranch_execnz .LBB159_129
; %bb.132:                              ;   in Loop: Header=BB159_126 Depth=1
	s_or_b64 exec, exec, s[48:49]
.LBB159_133:                            ;   in Loop: Header=BB159_126 Depth=1
	s_or_b64 exec, exec, s[34:35]
	v_mov_b32_e32 v24, s39
	v_mov_b32_e32 v25, s37
	v_cmp_eq_u16_e32 vcc, 1, v51
	s_waitcnt lgkmcnt(0)
	v_mov_b32_e32 v28, s36
	s_waitcnt vmcnt(0)
	v_cndmask_b32_e32 v25, v24, v25, vcc
	v_mov_b32_e32 v24, s38
	v_cndmask_b32_e32 v24, v24, v28, vcc
	v_lshl_add_u64 v[28:29], v[8:9], 4, v[24:25]
	global_load_dword v24, v[28:29], off sc1
	global_load_dword v25, v[28:29], off offset:4 sc1
	global_load_dword v66, v[28:29], off offset:8 sc1
	s_nop 0
	global_load_dword v28, v[28:29], off offset:12 sc1
	v_cmp_eq_u16_e32 vcc, 2, v51
	s_waitcnt vmcnt(2)
	ds_bpermute_b32 v29, v53, v25
	s_waitcnt vmcnt(0)
	v_and_b32_e32 v28, vcc_hi, v13
	v_or_b32_e32 v28, 0x80000000, v28
	v_and_b32_e32 v68, 0xff, v66
	v_ffbl_b32_e32 v70, v28
	ds_bpermute_b32 v28, v53, v24
	ds_bpermute_b32 v69, v53, v68
	v_and_b32_e32 v67, vcc_lo, v12
	v_add_u32_e32 v70, 32, v70
	v_ffbl_b32_e32 v67, v67
	v_min_u32_e32 v67, v67, v70
	v_cmp_lt_u32_e32 vcc, v52, v67
	s_and_saveexec_b64 s[34:35], vcc
	s_cbranch_execz .LBB159_135
; %bb.134:                              ;   in Loop: Header=BB159_126 Depth=1
	s_waitcnt lgkmcnt(1)
	v_cmp_gt_i64_e32 vcc, v[24:25], v[28:29]
	s_nop 1
	v_cndmask_b32_e32 v28, v28, v24, vcc
	v_cndmask_b32_e32 v29, v29, v25, vcc
	v_cmp_eq_u16_sdwa vcc, v66, v9 src0_sel:BYTE_0 src1_sel:DWORD
	s_nop 1
	v_cndmask_b32_e32 v24, v24, v28, vcc
	s_waitcnt lgkmcnt(0)
	v_or_b32_e32 v28, v69, v66
	v_cndmask_b32_e32 v25, v25, v29, vcc
	v_and_b32_e32 v66, 1, v28
	v_and_b32_e32 v68, 1, v28
.LBB159_135:                            ;   in Loop: Header=BB159_126 Depth=1
	s_or_b64 exec, exec, s[34:35]
	s_waitcnt lgkmcnt(1)
	ds_bpermute_b32 v28, v54, v24
	ds_bpermute_b32 v29, v54, v25
	s_waitcnt lgkmcnt(2)
	ds_bpermute_b32 v69, v54, v68
	v_and_b32_e32 v70, 1, v66
	v_cmp_le_u32_e32 vcc, v55, v67
	v_cmp_eq_u32_e64 s[48:49], 1, v70
	s_and_saveexec_b64 s[34:35], vcc
	s_cbranch_execz .LBB159_137
; %bb.136:                              ;   in Loop: Header=BB159_126 Depth=1
	s_waitcnt lgkmcnt(1)
	v_cmp_gt_i64_e32 vcc, v[24:25], v[28:29]
	s_nop 1
	v_cndmask_b32_e32 v28, v28, v24, vcc
	v_cndmask_b32_e32 v29, v29, v25, vcc
	v_cmp_eq_u16_sdwa vcc, v66, v9 src0_sel:BYTE_0 src1_sel:DWORD
	s_nop 1
	v_cndmask_b32_e32 v24, v24, v28, vcc
	s_waitcnt lgkmcnt(0)
	v_and_b32_e32 v28, 1, v69
	v_cndmask_b32_e32 v25, v25, v29, vcc
	v_cmp_eq_u32_e32 vcc, 1, v28
	s_or_b64 s[52:53], s[48:49], vcc
	v_cndmask_b32_e64 v66, 0, 1, s[52:53]
	v_cndmask_b32_e64 v68, 0, 1, s[52:53]
	s_andn2_b64 s[48:49], s[48:49], exec
	s_and_b64 s[52:53], s[52:53], exec
	s_or_b64 s[48:49], s[48:49], s[52:53]
.LBB159_137:                            ;   in Loop: Header=BB159_126 Depth=1
	s_or_b64 exec, exec, s[34:35]
	s_waitcnt lgkmcnt(2)
	ds_bpermute_b32 v28, v56, v24
	s_waitcnt lgkmcnt(2)
	ds_bpermute_b32 v29, v56, v25
	s_waitcnt lgkmcnt(2)
	ds_bpermute_b32 v69, v56, v68
	v_cmp_le_u32_e32 vcc, v57, v67
	s_and_saveexec_b64 s[52:53], vcc
	s_cbranch_execz .LBB159_139
; %bb.138:                              ;   in Loop: Header=BB159_126 Depth=1
	s_waitcnt lgkmcnt(1)
	v_cmp_gt_i64_e32 vcc, v[24:25], v[28:29]
	s_andn2_b64 s[48:49], s[48:49], exec
	s_nop 0
	v_cndmask_b32_e32 v28, v28, v24, vcc
	v_cndmask_b32_e32 v29, v29, v25, vcc
	v_cmp_eq_u16_sdwa vcc, v66, v9 src0_sel:BYTE_0 src1_sel:DWORD
	s_nop 1
	v_cndmask_b32_e32 v24, v24, v28, vcc
	v_and_b32_e32 v28, 1, v66
	v_cndmask_b32_e32 v25, v25, v29, vcc
	v_cmp_eq_u32_e32 vcc, 1, v28
	s_waitcnt lgkmcnt(0)
	v_and_b32_e32 v28, 1, v69
	v_cmp_eq_u32_e64 s[34:35], 1, v28
	s_or_b64 s[34:35], vcc, s[34:35]
	s_nop 0
	v_cndmask_b32_e64 v66, 0, 1, s[34:35]
	v_cndmask_b32_e64 v68, 0, 1, s[34:35]
	s_and_b64 s[34:35], s[34:35], exec
	s_or_b64 s[48:49], s[48:49], s[34:35]
.LBB159_139:                            ;   in Loop: Header=BB159_126 Depth=1
	s_or_b64 exec, exec, s[52:53]
	s_waitcnt lgkmcnt(2)
	ds_bpermute_b32 v28, v58, v24
	s_waitcnt lgkmcnt(2)
	ds_bpermute_b32 v29, v58, v25
	s_waitcnt lgkmcnt(2)
	ds_bpermute_b32 v69, v58, v68
	v_cmp_le_u32_e32 vcc, v59, v67
	s_and_saveexec_b64 s[52:53], vcc
	s_cbranch_execz .LBB159_141
; %bb.140:                              ;   in Loop: Header=BB159_126 Depth=1
	s_waitcnt lgkmcnt(1)
	v_cmp_gt_i64_e32 vcc, v[24:25], v[28:29]
	s_andn2_b64 s[48:49], s[48:49], exec
	s_nop 0
	v_cndmask_b32_e32 v28, v28, v24, vcc
	v_cndmask_b32_e32 v29, v29, v25, vcc
	v_cmp_eq_u16_sdwa vcc, v66, v9 src0_sel:BYTE_0 src1_sel:DWORD
	s_nop 1
	v_cndmask_b32_e32 v24, v24, v28, vcc
	v_and_b32_e32 v28, 1, v66
	v_cndmask_b32_e32 v25, v25, v29, vcc
	v_cmp_eq_u32_e32 vcc, 1, v28
	s_waitcnt lgkmcnt(0)
	v_and_b32_e32 v28, 1, v69
	v_cmp_eq_u32_e64 s[34:35], 1, v28
	s_or_b64 s[34:35], vcc, s[34:35]
	s_nop 0
	v_cndmask_b32_e64 v66, 0, 1, s[34:35]
	v_cndmask_b32_e64 v68, 0, 1, s[34:35]
	s_and_b64 s[34:35], s[34:35], exec
	s_or_b64 s[48:49], s[48:49], s[34:35]
.LBB159_141:                            ;   in Loop: Header=BB159_126 Depth=1
	;; [unrolled: 33-line block ×3, first 2 shown]
	s_or_b64 exec, exec, s[52:53]
	s_waitcnt lgkmcnt(2)
	ds_bpermute_b32 v28, v63, v24
	s_waitcnt lgkmcnt(2)
	ds_bpermute_b32 v29, v63, v25
	ds_bpermute_b32 v68, v63, v68
	v_cmp_le_u32_e32 vcc, v64, v67
	s_and_saveexec_b64 s[52:53], vcc
	s_cbranch_execz .LBB159_125
; %bb.144:                              ;   in Loop: Header=BB159_126 Depth=1
	s_waitcnt lgkmcnt(1)
	v_cmp_gt_i64_e32 vcc, v[24:25], v[28:29]
	s_andn2_b64 s[48:49], s[48:49], exec
	s_nop 0
	v_cndmask_b32_e32 v28, v28, v24, vcc
	v_cndmask_b32_e32 v29, v29, v25, vcc
	v_cmp_eq_u16_sdwa vcc, v66, v9 src0_sel:BYTE_0 src1_sel:DWORD
	s_nop 1
	v_cndmask_b32_e32 v24, v24, v28, vcc
	v_and_b32_e32 v28, 1, v66
	v_cndmask_b32_e32 v25, v25, v29, vcc
	v_cmp_eq_u32_e32 vcc, 1, v28
	s_waitcnt lgkmcnt(0)
	v_and_b32_e32 v28, 1, v68
	v_cmp_eq_u32_e64 s[34:35], 1, v28
	s_or_b64 s[34:35], vcc, s[34:35]
	s_and_b64 s[34:35], s[34:35], exec
	s_or_b64 s[48:49], s[48:49], s[34:35]
	s_branch .LBB159_125
.LBB159_145:                            ;   in Loop: Header=BB159_126 Depth=1
                                        ; implicit-def: $vgpr29
                                        ; implicit-def: $vgpr24_vgpr25
                                        ; implicit-def: $vgpr51
	s_cbranch_execz .LBB159_126
; %bb.146:
	s_and_saveexec_b64 s[34:35], s[28:29]
	s_cbranch_execz .LBB159_148
; %bb.147:
	s_mov_b32 s3, 0
	s_add_i32 s2, s2, 64
	v_mov_b32_e32 v8, 0
	v_cmp_gt_i64_e32 vcc, v[48:49], v[20:21]
	s_lshl_b64 s[36:37], s[2:3], 4
	v_and_b32_e32 v13, 1, v50
	v_cndmask_b32_e32 v9, v20, v48, vcc
	v_cndmask_b32_e32 v12, v21, v49, vcc
	v_cmp_eq_u32_sdwa vcc, v50, v8 src0_sel:BYTE_0 src1_sel:DWORD
	s_add_u32 s36, s38, s36
	v_and_b32_e32 v24, 1, v62
	v_cndmask_b32_e32 v12, v49, v12, vcc
	v_cndmask_b32_e32 v9, v48, v9, vcc
	v_cmp_eq_u32_e32 vcc, 1, v13
	s_addc_u32 s37, s39, s37
	s_nop 0
	v_cndmask_b32_e64 v13, v24, 1, vcc
	global_store_dword v8, v9, s[36:37] sc1
	global_store_dword v8, v12, s[36:37] offset:4 sc1
	global_store_dword v8, v13, s[36:37] offset:8 sc1
	global_store_dword v8, v8, s[36:37] offset:12 sc1
	v_mov_b32_e32 v8, s2
	v_mov_b32_e32 v9, 2
	s_waitcnt vmcnt(0) lgkmcnt(0)
	global_store_byte v8, v9, s[40:41] sc1
.LBB159_148:
	s_or_b64 exec, exec, s[34:35]
	v_cmp_eq_u32_e32 vcc, 0, v0
	s_and_b64 exec, exec, vcc
	s_cbranch_execz .LBB159_150
; %bb.149:
	v_mov_b32_e32 v8, 0
	ds_write_b64 v8, v[20:21] offset:48
	ds_write_b8 v8, v62 offset:56
.LBB159_150:
	s_or_b64 exec, exec, s[46:47]
	s_waitcnt lgkmcnt(0)
	v_cndmask_b32_e64 v12, v45, v37, s[28:29]
	v_mov_b32_e32 v13, 0
	v_and_b32_e32 v20, 1, v1
	v_and_b32_e32 v12, 1, v12
	v_cndmask_b32_e64 v5, v44, v5, s[28:29]
	v_cndmask_b32_e64 v4, v41, v4, s[28:29]
	s_barrier
	ds_read_b64 v[8:9], v13 offset:48
	v_cmp_eq_u32_e32 vcc, 1, v20
	v_cmp_eq_u32_e64 s[2:3], 1, v12
	s_or_b64 s[2:3], vcc, s[2:3]
	v_cmp_gt_i64_e32 vcc, v[2:3], v[4:5]
	v_cndmask_b32_e64 v12, 0, 1, s[2:3]
	s_nop 0
	v_cndmask_b32_e32 v5, v5, v3, vcc
	v_cndmask_b32_e32 v4, v4, v2, vcc
	v_cmp_eq_u16_sdwa vcc, v1, v13 src0_sel:BYTE_0 src1_sel:DWORD
	s_nop 1
	v_cndmask_b32_e32 v4, v2, v4, vcc
	v_cndmask_b32_e32 v5, v3, v5, vcc
	v_cmp_eq_u32_e32 vcc, 0, v0
	s_nop 1
	v_cndmask_b32_e32 v5, v5, v3, vcc
	v_cndmask_b32_e32 v4, v4, v2, vcc
	;; [unrolled: 1-line block ×3, first 2 shown]
	s_waitcnt lgkmcnt(0)
	v_cmp_gt_i64_e32 vcc, v[4:5], v[8:9]
	s_nop 1
	v_cndmask_b32_e32 v8, v8, v4, vcc
	v_cndmask_b32_e32 v9, v9, v5, vcc
	v_cmp_eq_u16_sdwa vcc, v12, v13 src0_sel:BYTE_0 src1_sel:DWORD
	s_nop 1
	v_cndmask_b32_e32 v49, v5, v9, vcc
	v_cndmask_b32_e32 v48, v4, v8, vcc
	v_cmp_gt_i64_e32 vcc, v[14:15], v[48:49]
	s_nop 1
	v_cndmask_b32_e32 v4, v48, v14, vcc
	v_cndmask_b32_e32 v5, v49, v15, vcc
	v_cndmask_b32_e64 v51, v15, v5, s[30:31]
	v_cndmask_b32_e64 v50, v14, v4, s[30:31]
	v_cmp_gt_i64_e32 vcc, v[6:7], v[50:51]
	s_nop 1
	v_cndmask_b32_e32 v4, v50, v6, vcc
	v_cndmask_b32_e32 v5, v51, v7, vcc
	v_cndmask_b32_e64 v53, v7, v5, s[4:5]
	v_cndmask_b32_e64 v52, v6, v4, s[4:5]
	;; [unrolled: 6-line block ×13, first 2 shown]
	s_branch .LBB159_193
.LBB159_151:
	s_or_b64 exec, exec, s[30:31]
                                        ; implicit-def: $vgpr6_vgpr7
	s_and_saveexec_b64 s[30:31], s[28:29]
	s_cbranch_execz .LBB159_33
.LBB159_152:
	v_lshlrev_b32_e32 v1, 3, v1
	v_mov_b32_e32 v7, s53
	v_sub_co_u32_e32 v6, vcc, s52, v1
	s_nop 1
	v_subbrev_co_u32_e32 v7, vcc, 0, v7, vcc
	flat_load_dwordx2 v[6:7], v[6:7]
	s_or_b64 exec, exec, s[30:31]
                                        ; implicit-def: $vgpr8_vgpr9
	s_and_saveexec_b64 s[28:29], s[4:5]
	s_cbranch_execnz .LBB159_34
.LBB159_153:
	s_or_b64 exec, exec, s[28:29]
                                        ; implicit-def: $vgpr10_vgpr11
	s_and_saveexec_b64 s[4:5], s[6:7]
	s_cbranch_execz .LBB159_35
.LBB159_154:
	v_lshlrev_b32_e32 v1, 3, v31
	v_mov_b32_e32 v11, s53
	v_sub_co_u32_e32 v10, vcc, s52, v1
	s_nop 1
	v_subbrev_co_u32_e32 v11, vcc, 0, v11, vcc
	flat_load_dwordx2 v[10:11], v[10:11]
	s_or_b64 exec, exec, s[4:5]
                                        ; implicit-def: $vgpr12_vgpr13
	s_and_saveexec_b64 s[4:5], s[8:9]
	s_cbranch_execnz .LBB159_36
.LBB159_155:
	s_or_b64 exec, exec, s[4:5]
                                        ; implicit-def: $vgpr14_vgpr15
	s_and_saveexec_b64 s[4:5], s[10:11]
	s_cbranch_execz .LBB159_37
.LBB159_156:
	v_lshlrev_b32_e32 v1, 3, v33
	v_mov_b32_e32 v15, s53
	v_sub_co_u32_e32 v14, vcc, s52, v1
	s_nop 1
	v_subbrev_co_u32_e32 v15, vcc, 0, v15, vcc
	flat_load_dwordx2 v[14:15], v[14:15]
	s_or_b64 exec, exec, s[4:5]
                                        ; implicit-def: $vgpr16_vgpr17
	s_and_saveexec_b64 s[4:5], s[12:13]
	s_cbranch_execnz .LBB159_38
.LBB159_157:
	s_or_b64 exec, exec, s[4:5]
                                        ; implicit-def: $vgpr18_vgpr19
	s_and_saveexec_b64 s[4:5], s[14:15]
	s_cbranch_execz .LBB159_39
.LBB159_158:
	v_lshlrev_b32_e32 v1, 3, v35
	v_mov_b32_e32 v19, s53
	v_sub_co_u32_e32 v18, vcc, s52, v1
	s_nop 1
	v_subbrev_co_u32_e32 v19, vcc, 0, v19, vcc
	flat_load_dwordx2 v[18:19], v[18:19]
	s_or_b64 exec, exec, s[4:5]
                                        ; implicit-def: $vgpr20_vgpr21
	s_and_saveexec_b64 s[4:5], s[16:17]
	s_cbranch_execnz .LBB159_40
.LBB159_159:
	s_or_b64 exec, exec, s[4:5]
                                        ; implicit-def: $vgpr22_vgpr23
	s_and_saveexec_b64 s[4:5], s[18:19]
	s_cbranch_execz .LBB159_41
.LBB159_160:
	v_lshlrev_b32_e32 v1, 3, v38
	v_mov_b32_e32 v23, s53
	v_sub_co_u32_e32 v22, vcc, s52, v1
	s_nop 1
	v_subbrev_co_u32_e32 v23, vcc, 0, v23, vcc
	flat_load_dwordx2 v[22:23], v[22:23]
	s_or_b64 exec, exec, s[4:5]
                                        ; implicit-def: $vgpr24_vgpr25
	s_and_saveexec_b64 s[4:5], s[20:21]
	s_cbranch_execnz .LBB159_42
.LBB159_161:
	s_or_b64 exec, exec, s[4:5]
                                        ; implicit-def: $vgpr26_vgpr27
	s_and_saveexec_b64 s[4:5], s[22:23]
	s_cbranch_execz .LBB159_43
.LBB159_162:
	v_lshlrev_b32_e32 v1, 3, v40
	v_mov_b32_e32 v27, s53
	v_sub_co_u32_e32 v26, vcc, s52, v1
	s_nop 1
	v_subbrev_co_u32_e32 v27, vcc, 0, v27, vcc
	flat_load_dwordx2 v[26:27], v[26:27]
	s_or_b64 exec, exec, s[4:5]
                                        ; implicit-def: $vgpr28_vgpr29
	s_and_saveexec_b64 s[4:5], s[24:25]
	s_cbranch_execz .LBB159_45
	s_branch .LBB159_44
.LBB159_163:
                                        ; implicit-def: $vgpr74_vgpr75
                                        ; implicit-def: $vgpr70_vgpr71
                                        ; implicit-def: $vgpr66_vgpr67
                                        ; implicit-def: $vgpr62_vgpr63
                                        ; implicit-def: $vgpr58_vgpr59
                                        ; implicit-def: $vgpr54_vgpr55
                                        ; implicit-def: $vgpr50_vgpr51
	s_cbranch_execz .LBB159_193
; %bb.164:
	s_cmp_lg_u64 s[62:63], 0
	s_cselect_b32 s5, s55, 0
	s_cselect_b32 s4, s54, 0
	s_cmp_lg_u64 s[4:5], 0
	s_cselect_b64 s[6:7], -1, 0
	v_cmp_eq_u32_e32 vcc, 0, v0
	v_cmp_ne_u32_e64 s[2:3], 0, v0
	s_and_b64 s[8:9], vcc, s[6:7]
	s_and_saveexec_b64 s[6:7], s[8:9]
	s_cbranch_execz .LBB159_166
; %bb.165:
	v_mov_b32_e32 v8, 0
	global_load_dwordx2 v[4:5], v8, s[4:5]
	global_load_ubyte v9, v8, s[4:5] offset:8
	s_waitcnt vmcnt(1)
	v_cmp_gt_i64_e64 s[4:5], v[2:3], v[4:5]
	s_nop 1
	v_cndmask_b32_e64 v4, v4, v2, s[4:5]
	s_waitcnt vmcnt(0)
	v_or_b32_e32 v9, v1, v9
	v_cndmask_b32_e64 v5, v5, v3, s[4:5]
	v_cmp_eq_u16_sdwa s[4:5], v1, v8 src0_sel:BYTE_0 src1_sel:DWORD
	v_and_b32_e32 v1, 1, v9
	s_nop 0
	v_cndmask_b32_e64 v3, v3, v5, s[4:5]
	v_cndmask_b32_e64 v2, v2, v4, s[4:5]
.LBB159_166:
	s_or_b64 exec, exec, s[6:7]
	v_mov_b32_e32 v5, 0
	v_cmp_gt_i64_e64 s[4:5], v[14:15], v[2:3]
	v_and_b32_e32 v4, 0xff, v1
	v_mbcnt_hi_u32_b32 v20, -1, v33
	v_cndmask_b32_e64 v8, v2, v14, s[4:5]
	v_cndmask_b32_e64 v9, v3, v15, s[4:5]
	v_cmp_eq_u16_sdwa s[4:5], v82, v5 src0_sel:BYTE_0 src1_sel:DWORD
	v_and_b32_e32 v24, 15, v20
	s_nop 0
	v_cndmask_b32_e64 v51, v15, v9, s[4:5]
	v_cndmask_b32_e64 v50, v14, v8, s[4:5]
	v_cmp_gt_i64_e64 s[6:7], v[6:7], v[50:51]
	s_nop 1
	v_cndmask_b32_e64 v8, v50, v6, s[6:7]
	v_cndmask_b32_e64 v9, v51, v7, s[6:7]
	v_cmp_eq_u16_sdwa s[6:7], v81, v5 src0_sel:BYTE_0 src1_sel:DWORD
	s_nop 1
	v_cndmask_b32_e64 v53, v7, v9, s[6:7]
	v_cndmask_b32_e64 v52, v6, v8, s[6:7]
	v_cmp_gt_i64_e64 s[8:9], v[22:23], v[52:53]
	s_nop 1
	v_cndmask_b32_e64 v8, v52, v22, s[8:9]
	v_cndmask_b32_e64 v9, v53, v23, s[8:9]
	v_cmp_eq_u16_sdwa s[8:9], v83, v5 src0_sel:BYTE_0 src1_sel:DWORD
	;; [unrolled: 8-line block ×12, first 2 shown]
	v_or_b32_e32 v5, v36, v90
	v_or_b32_e32 v5, v5, v89
	;; [unrolled: 1-line block ×10, first 2 shown]
	v_and_b32_e32 v5, 1, v5
	v_cmp_eq_u32_e64 s[30:31], 1, v5
	v_cndmask_b32_e64 v75, v17, v9, s[28:29]
	v_cndmask_b32_e64 v74, v16, v8, s[28:29]
	;; [unrolled: 1-line block ×3, first 2 shown]
	v_mov_b32_dpp v13, v75 row_shr:1 row_mask:0xf bank_mask:0xf
	v_mov_b32_dpp v12, v74 row_shr:1 row_mask:0xf bank_mask:0xf
	;; [unrolled: 1-line block ×3, first 2 shown]
	v_cmp_ne_u32_e64 s[30:31], 0, v24
	v_mov_b64_e32 v[4:5], v[74:75]
	v_mov_b32_e32 v9, v75
	v_mov_b32_e32 v8, v74
	s_and_saveexec_b64 s[34:35], s[30:31]
; %bb.167:
	v_cmp_gt_i64_e64 s[30:31], v[74:75], v[12:13]
	s_nop 1
	v_cndmask_b32_e64 v4, v12, v74, s[30:31]
	v_cndmask_b32_e64 v5, v13, v75, s[30:31]
	v_cmp_eq_u32_e64 s[30:31], 0, v21
	v_and_or_b32 v21, v25, 1, v21
	s_nop 0
	v_cndmask_b32_e64 v5, v75, v5, s[30:31]
	v_cndmask_b32_e64 v4, v74, v4, s[30:31]
	v_mov_b32_e32 v9, v5
	v_mov_b32_e32 v8, v4
; %bb.168:
	s_or_b64 exec, exec, s[34:35]
	s_nop 0
	v_mov_b32_dpp v12, v8 row_shr:2 row_mask:0xf bank_mask:0xf
	v_mov_b32_dpp v13, v9 row_shr:2 row_mask:0xf bank_mask:0xf
	v_mov_b32_dpp v25, v21 row_shr:2 row_mask:0xf bank_mask:0xf
	v_cmp_lt_u32_e64 s[30:31], 1, v24
	s_and_saveexec_b64 s[34:35], s[30:31]
; %bb.169:
	v_cmp_gt_i64_e64 s[30:31], v[4:5], v[12:13]
	s_nop 1
	v_cndmask_b32_e64 v8, v12, v4, s[30:31]
	v_cndmask_b32_e64 v9, v13, v5, s[30:31]
	v_cmp_eq_u32_e64 s[30:31], 0, v21
	s_nop 1
	v_cndmask_b32_e64 v9, v5, v9, s[30:31]
	v_cndmask_b32_e64 v8, v4, v8, s[30:31]
	v_or_b32_e32 v4, v25, v21
	v_and_b32_e32 v21, 1, v4
	v_mov_b64_e32 v[4:5], v[8:9]
; %bb.170:
	s_or_b64 exec, exec, s[34:35]
	v_mov_b32_dpp v12, v8 row_shr:4 row_mask:0xf bank_mask:0xf
	v_mov_b32_dpp v13, v9 row_shr:4 row_mask:0xf bank_mask:0xf
	v_mov_b32_dpp v25, v21 row_shr:4 row_mask:0xf bank_mask:0xf
	v_cmp_lt_u32_e64 s[30:31], 3, v24
	s_and_saveexec_b64 s[34:35], s[30:31]
; %bb.171:
	v_cmp_gt_i64_e64 s[30:31], v[4:5], v[12:13]
	s_nop 1
	v_cndmask_b32_e64 v8, v12, v4, s[30:31]
	v_cndmask_b32_e64 v9, v13, v5, s[30:31]
	v_cmp_eq_u32_e64 s[30:31], 0, v21
	s_nop 1
	v_cndmask_b32_e64 v9, v5, v9, s[30:31]
	v_cndmask_b32_e64 v8, v4, v8, s[30:31]
	v_or_b32_e32 v4, v25, v21
	v_and_b32_e32 v21, 1, v4
	v_mov_b64_e32 v[4:5], v[8:9]
; %bb.172:
	s_or_b64 exec, exec, s[34:35]
	v_mov_b32_dpp v12, v8 row_shr:8 row_mask:0xf bank_mask:0xf
	v_mov_b32_dpp v13, v9 row_shr:8 row_mask:0xf bank_mask:0xf
	v_mov_b32_dpp v25, v21 row_shr:8 row_mask:0xf bank_mask:0xf
	v_cmp_lt_u32_e64 s[30:31], 7, v24
	s_and_saveexec_b64 s[34:35], s[30:31]
; %bb.173:
	v_cmp_gt_i64_e64 s[30:31], v[4:5], v[12:13]
	s_nop 1
	v_cndmask_b32_e64 v8, v12, v4, s[30:31]
	v_cndmask_b32_e64 v9, v13, v5, s[30:31]
	v_cmp_eq_u32_e64 s[30:31], 0, v21
	s_nop 1
	v_cndmask_b32_e64 v9, v5, v9, s[30:31]
	v_cndmask_b32_e64 v8, v4, v8, s[30:31]
	v_or_b32_e32 v4, v25, v21
	v_and_b32_e32 v21, 1, v4
	v_mov_b64_e32 v[4:5], v[8:9]
; %bb.174:
	s_or_b64 exec, exec, s[34:35]
	v_and_b32_e32 v25, 16, v20
	v_mov_b32_dpp v12, v8 row_bcast:15 row_mask:0xf bank_mask:0xf
	v_mov_b32_dpp v13, v9 row_bcast:15 row_mask:0xf bank_mask:0xf
	;; [unrolled: 1-line block ×3, first 2 shown]
	v_cmp_ne_u32_e64 s[30:31], 0, v25
	s_and_saveexec_b64 s[34:35], s[30:31]
; %bb.175:
	v_cmp_gt_i64_e64 s[30:31], v[4:5], v[12:13]
	s_nop 1
	v_cndmask_b32_e64 v8, v12, v4, s[30:31]
	v_cndmask_b32_e64 v9, v13, v5, s[30:31]
	v_cmp_eq_u32_e64 s[30:31], 0, v21
	s_nop 1
	v_cndmask_b32_e64 v5, v5, v9, s[30:31]
	v_cndmask_b32_e64 v4, v4, v8, s[30:31]
	v_or_b32_e32 v8, v24, v21
	v_and_b32_e32 v21, 1, v8
	v_mov_b32_e32 v9, v5
	v_mov_b32_e32 v8, v4
; %bb.176:
	s_or_b64 exec, exec, s[34:35]
	s_nop 0
	v_mov_b32_dpp v8, v8 row_bcast:31 row_mask:0xf bank_mask:0xf
	v_mov_b32_dpp v9, v9 row_bcast:31 row_mask:0xf bank_mask:0xf
	;; [unrolled: 1-line block ×3, first 2 shown]
	v_cmp_lt_u32_e64 s[30:31], 31, v20
	v_mov_b32_e32 v12, v21
	s_and_saveexec_b64 s[34:35], s[30:31]
; %bb.177:
	v_cmp_gt_i64_e64 s[30:31], v[4:5], v[8:9]
	s_nop 1
	v_cndmask_b32_e64 v8, v8, v4, s[30:31]
	v_cndmask_b32_e64 v9, v9, v5, s[30:31]
	v_cmp_eq_u32_e64 s[30:31], 0, v21
	s_nop 1
	v_cndmask_b32_e64 v4, v4, v8, s[30:31]
	v_or_b32_e32 v8, v13, v21
	v_cndmask_b32_e64 v5, v5, v9, s[30:31]
	v_and_b32_e32 v12, 1, v8
	v_and_b32_e32 v21, 1, v8
; %bb.178:
	s_or_b64 exec, exec, s[34:35]
	v_or_b32_e32 v8, 63, v0
	v_lshrrev_b32_e32 v24, 6, v0
	v_cmp_eq_u32_e64 s[30:31], v8, v0
	s_and_saveexec_b64 s[34:35], s[30:31]
	s_cbranch_execz .LBB159_180
; %bb.179:
	v_lshlrev_b32_e32 v8, 4, v24
	ds_write_b64 v8, v[4:5]
	ds_write_b8 v8, v12 offset:8
.LBB159_180:
	s_or_b64 exec, exec, s[34:35]
	v_cmp_gt_u32_e64 s[30:31], 4, v0
	s_waitcnt lgkmcnt(0)
	s_barrier
	s_and_saveexec_b64 s[36:37], s[30:31]
	s_cbranch_execz .LBB159_186
; %bb.181:
	v_lshlrev_b32_e32 v25, 4, v0
	ds_read_b64 v[8:9], v25
	ds_read_b32 v28, v25 offset:8
	v_and_b32_e32 v29, 3, v20
	v_cmp_ne_u32_e64 s[30:31], 0, v29
	s_waitcnt lgkmcnt(1)
	v_mov_b32_dpp v12, v8 row_shr:1 row_mask:0xf bank_mask:0xf
	v_mov_b32_dpp v13, v9 row_shr:1 row_mask:0xf bank_mask:0xf
	s_waitcnt lgkmcnt(0)
	v_mov_b32_dpp v36, v28 row_shr:1 row_mask:0xf bank_mask:0xf
	v_mov_b32_e32 v33, v28
	v_mov_b32_e32 v32, v28
	s_and_saveexec_b64 s[34:35], s[30:31]
	s_cbranch_execz .LBB159_183
; %bb.182:
	v_mov_b32_e32 v32, 0
	v_cmp_gt_i64_e64 s[30:31], v[8:9], v[12:13]
	s_nop 1
	v_cndmask_b32_e64 v12, v12, v8, s[30:31]
	v_cndmask_b32_e64 v13, v13, v9, s[30:31]
	v_cmp_eq_u16_sdwa s[30:31], v28, v32 src0_sel:BYTE_0 src1_sel:DWORD
	s_nop 1
	v_cndmask_b32_e64 v8, v8, v12, s[30:31]
	v_or_b32_e32 v12, v36, v28
	v_cndmask_b32_e64 v9, v9, v13, s[30:31]
	v_and_b32_e32 v32, 1, v12
	s_movk_i32 s30, 0xff00
	v_and_b32_e32 v33, 1, v12
	v_and_or_b32 v28, v28, s30, v32
.LBB159_183:
	s_or_b64 exec, exec, s[34:35]
	v_mov_b32_dpp v12, v8 row_shr:2 row_mask:0xf bank_mask:0xf
	v_mov_b32_dpp v13, v9 row_shr:2 row_mask:0xf bank_mask:0xf
	;; [unrolled: 1-line block ×3, first 2 shown]
	v_cmp_lt_u32_e64 s[30:31], 1, v29
	s_and_saveexec_b64 s[46:47], s[30:31]
	s_cbranch_execz .LBB159_185
; %bb.184:
	v_mov_b32_e32 v29, 0
	v_cmp_gt_i64_e64 s[30:31], v[8:9], v[12:13]
	s_nop 1
	v_cndmask_b32_e64 v12, v12, v8, s[30:31]
	v_cndmask_b32_e64 v13, v13, v9, s[30:31]
	v_cmp_eq_u16_sdwa s[30:31], v32, v29 src0_sel:BYTE_0 src1_sel:DWORD
	s_nop 1
	v_cndmask_b32_e64 v8, v8, v12, s[30:31]
	v_and_b32_e32 v12, 1, v32
	v_cndmask_b32_e64 v9, v9, v13, s[30:31]
	v_cmp_eq_u32_e64 s[30:31], 1, v12
	v_and_b32_e32 v12, 1, v28
	v_cmp_eq_u32_e64 s[34:35], 1, v12
	s_or_b64 s[30:31], s[30:31], s[34:35]
	v_cndmask_b32_e64 v33, 0, 1, s[30:31]
.LBB159_185:
	s_or_b64 exec, exec, s[46:47]
	ds_write_b64 v25, v[8:9]
	ds_write_b8 v25, v33 offset:8
.LBB159_186:
	s_or_b64 exec, exec, s[36:37]
	v_cmp_lt_u32_e64 s[30:31], 63, v0
	v_mov_b64_e32 v[8:9], 0
	s_waitcnt lgkmcnt(0)
	s_barrier
	s_and_saveexec_b64 s[34:35], s[30:31]
	s_cbranch_execz .LBB159_188
; %bb.187:
	v_lshl_add_u32 v8, v24, 4, -16
	ds_read_b64 v[8:9], v8
	s_waitcnt lgkmcnt(0)
	v_cmp_gt_i64_e64 s[30:31], v[4:5], v[8:9]
	s_nop 1
	v_cndmask_b32_e64 v12, v8, v4, s[30:31]
	v_cndmask_b32_e64 v13, v9, v5, s[30:31]
	v_cmp_eq_u32_e64 s[30:31], 0, v21
	s_nop 1
	v_cndmask_b32_e64 v5, v5, v13, s[30:31]
	v_cndmask_b32_e64 v4, v4, v12, s[30:31]
.LBB159_188:
	s_or_b64 exec, exec, s[34:35]
	v_add_u32_e32 v12, -1, v20
	v_and_b32_e32 v13, 64, v20
	v_cmp_lt_i32_e64 s[30:31], v12, v13
	s_nop 1
	v_cndmask_b32_e64 v12, v12, v20, s[30:31]
	v_lshlrev_b32_e32 v12, 2, v12
	ds_bpermute_b32 v4, v12, v4
	ds_bpermute_b32 v5, v12, v5
	s_and_saveexec_b64 s[30:31], s[2:3]
	s_cbranch_execz .LBB159_190
; %bb.189:
	v_cmp_eq_u32_e64 s[2:3], 0, v20
	;;#ASMSTART
	;;#ASMEND
	s_waitcnt lgkmcnt(0)
	s_nop 0
	v_cndmask_b32_e64 v5, v5, v9, s[2:3]
	v_cndmask_b32_e64 v4, v4, v8, s[2:3]
	v_mov_b32_e32 v8, 0
	v_cmp_gt_i64_e64 s[2:3], v[2:3], v[4:5]
	s_nop 1
	v_cndmask_b32_e64 v4, v4, v2, s[2:3]
	v_cndmask_b32_e64 v5, v5, v3, s[2:3]
	v_cmp_eq_u16_sdwa s[2:3], v1, v8 src0_sel:BYTE_0 src1_sel:DWORD
	s_nop 1
	v_cndmask_b32_e64 v3, v3, v5, s[2:3]
	v_cndmask_b32_e64 v2, v2, v4, s[2:3]
	v_cmp_gt_i64_e64 s[2:3], v[14:15], v[2:3]
	s_nop 1
	v_cndmask_b32_e64 v1, v2, v14, s[2:3]
	v_cndmask_b32_e64 v4, v3, v15, s[2:3]
	v_cndmask_b32_e64 v51, v15, v4, s[4:5]
	v_cndmask_b32_e64 v50, v14, v1, s[4:5]
	v_cmp_gt_i64_e64 s[2:3], v[6:7], v[50:51]
	s_nop 1
	v_cndmask_b32_e64 v1, v50, v6, s[2:3]
	v_cndmask_b32_e64 v4, v51, v7, s[2:3]
	;; [unrolled: 6-line block ×13, first 2 shown]
	v_cndmask_b32_e64 v75, v17, v4, s[28:29]
	v_cndmask_b32_e64 v74, v16, v1, s[28:29]
.LBB159_190:
	s_or_b64 exec, exec, s[30:31]
	s_and_saveexec_b64 s[2:3], vcc
	s_cbranch_execz .LBB159_192
; %bb.191:
	v_mov_b32_e32 v1, 0
	s_waitcnt lgkmcnt(0)
	ds_read_b64 v[4:5], v1 offset:48
	ds_read_u8 v6, v1 offset:56
	s_waitcnt lgkmcnt(1)
	global_store_dword v1, v4, s[38:39] offset:1024 sc1
	global_store_dword v1, v5, s[38:39] offset:1028 sc1
	s_waitcnt lgkmcnt(0)
	global_store_dword v1, v6, s[38:39] offset:1032 sc1
	global_store_dword v1, v1, s[38:39] offset:1036 sc1
	v_mov_b32_e32 v4, 2
	s_waitcnt vmcnt(0)
	global_store_byte v1, v4, s[40:41] offset:64 sc1
.LBB159_192:
	s_or_b64 exec, exec, s[2:3]
	v_mov_b64_e32 v[48:49], v[2:3]
.LBB159_193:
	s_lshl_b64 s[2:3], s[60:61], 3
	s_add_u32 s4, s50, s2
	s_addc_u32 s5, s51, s3
	s_lshl_b64 s[2:3], s[44:45], 3
	s_add_u32 s2, s4, s2
	v_mul_u32_u24_e32 v1, 14, v0
	s_addc_u32 s3, s5, s3
	s_and_b64 vcc, exec, s[0:1]
	v_lshlrev_b32_e32 v1, 3, v1
	s_cbranch_vccz .LBB159_221
; %bb.194:
	s_movk_i32 s0, 0xff98
	v_mad_i32_i24 v2, v0, s0, v1
	s_waitcnt lgkmcnt(0)
	s_barrier
	ds_write_b128 v1, v[48:51]
	ds_write_b128 v1, v[52:55] offset:16
	ds_write_b128 v1, v[56:59] offset:32
	;; [unrolled: 1-line block ×6, first 2 shown]
	s_waitcnt lgkmcnt(0)
	s_barrier
	ds_read2st64_b64 v[26:29], v2 offset0:4 offset1:8
	ds_read2st64_b64 v[22:25], v2 offset0:12 offset1:16
	;; [unrolled: 1-line block ×6, first 2 shown]
	ds_read_b64 v[4:5], v2 offset:26624
	v_mov_b32_e32 v2, s3
	v_sub_co_u32_e32 v3, vcc, s2, v40
	s_add_i32 s33, s33, s42
	s_nop 0
	v_subbrev_co_u32_e32 v2, vcc, 0, v2, vcc
	v_cmp_gt_u32_e32 vcc, s33, v0
	s_and_saveexec_b64 s[0:1], vcc
	s_cbranch_execz .LBB159_196
; %bb.195:
	v_mul_i32_i24_e32 v30, 0xffffff98, v0
	v_add_u32_e32 v30, v1, v30
	ds_read_b64 v[30:31], v30
	v_add_co_u32_e32 v32, vcc, -8, v3
	s_nop 1
	v_addc_co_u32_e32 v33, vcc, -1, v2, vcc
	s_waitcnt lgkmcnt(0)
	flat_store_dwordx2 v[32:33], v[30:31]
.LBB159_196:
	s_or_b64 exec, exec, s[0:1]
	v_or_b32_e32 v30, 0x100, v0
	v_cmp_gt_u32_e32 vcc, s33, v30
	s_and_saveexec_b64 s[0:1], vcc
	s_cbranch_execz .LBB159_198
; %bb.197:
	v_add_co_u32_e32 v30, vcc, 0xfffff7f8, v3
	s_nop 1
	v_addc_co_u32_e32 v31, vcc, -1, v2, vcc
	s_waitcnt lgkmcnt(0)
	flat_store_dwordx2 v[30:31], v[26:27]
.LBB159_198:
	s_or_b64 exec, exec, s[0:1]
	s_waitcnt lgkmcnt(0)
	v_or_b32_e32 v26, 0x200, v0
	v_cmp_gt_u32_e32 vcc, s33, v26
	s_and_saveexec_b64 s[0:1], vcc
	s_cbranch_execz .LBB159_200
; %bb.199:
	v_add_co_u32_e32 v26, vcc, 0xffffeff8, v3
	s_nop 1
	v_addc_co_u32_e32 v27, vcc, -1, v2, vcc
	flat_store_dwordx2 v[26:27], v[28:29]
.LBB159_200:
	s_or_b64 exec, exec, s[0:1]
	v_or_b32_e32 v26, 0x300, v0
	v_cmp_gt_u32_e32 vcc, s33, v26
	s_and_saveexec_b64 s[0:1], vcc
	s_cbranch_execz .LBB159_202
; %bb.201:
	v_add_co_u32_e32 v26, vcc, 0xffffe7f8, v3
	s_nop 1
	v_addc_co_u32_e32 v27, vcc, -1, v2, vcc
	flat_store_dwordx2 v[26:27], v[22:23]
.LBB159_202:
	s_or_b64 exec, exec, s[0:1]
	;; [unrolled: 11-line block ×10, first 2 shown]
	v_sub_co_u32_e32 v6, vcc, 0, v0
	v_or_b32_e32 v10, 0xc00, v0
	s_nop 0
	v_subb_co_u32_e64 v7, s[0:1], 0, 0, vcc
	v_cmp_gt_u32_e32 vcc, s33, v10
	s_and_saveexec_b64 s[0:1], vcc
	s_cbranch_execz .LBB159_220
; %bb.219:
	v_add_co_u32_e32 v10, vcc, 0xffff9ff8, v3
	s_nop 1
	v_addc_co_u32_e32 v11, vcc, -1, v2, vcc
	flat_store_dwordx2 v[10:11], v[8:9]
.LBB159_220:
	s_or_b64 exec, exec, s[0:1]
	v_or_b32_e32 v2, 0xd00, v0
	v_cmp_gt_u32_e64 s[0:1], s33, v2
	s_branch .LBB159_223
.LBB159_221:
	s_mov_b64 s[0:1], 0
                                        ; implicit-def: $vgpr4_vgpr5
                                        ; implicit-def: $vgpr6_vgpr7
	s_cbranch_execz .LBB159_223
; %bb.222:
	s_movk_i32 s4, 0xff98
	v_sub_co_u32_e32 v6, vcc, 0, v0
	s_waitcnt lgkmcnt(0)
	s_barrier
	ds_write_b128 v1, v[48:51]
	ds_write_b128 v1, v[52:55] offset:16
	ds_write_b128 v1, v[56:59] offset:32
	ds_write_b128 v1, v[60:63] offset:48
	ds_write_b128 v1, v[64:67] offset:64
	ds_write_b128 v1, v[68:71] offset:80
	ds_write_b128 v1, v[72:75] offset:96
	v_mad_i32_i24 v1, v0, s4, v1
	v_subb_co_u32_e64 v7, s[4:5], 0, 0, vcc
	v_mov_b32_e32 v0, s3
	v_sub_co_u32_e32 v32, vcc, s2, v40
	s_movk_i32 s4, 0xf7f8
	s_nop 0
	v_subbrev_co_u32_e32 v33, vcc, 0, v0, vcc
	v_add_co_u32_e32 v0, vcc, s4, v32
	s_waitcnt lgkmcnt(0)
	s_barrier
	ds_read2st64_b64 v[8:11], v1 offset1:4
	ds_read2st64_b64 v[12:15], v1 offset0:8 offset1:12
	ds_read2st64_b64 v[16:19], v1 offset0:16 offset1:20
	;; [unrolled: 1-line block ×6, first 2 shown]
	v_addc_co_u32_e32 v1, vcc, -1, v33, vcc
	s_movk_i32 s4, 0xe7f8
	s_waitcnt lgkmcnt(0)
	flat_store_dwordx2 v[0:1], v[8:9] offset:2048
	flat_store_dwordx2 v[0:1], v[10:11]
	v_add_co_u32_e32 v0, vcc, s4, v32
	s_movk_i32 s4, 0xd7f8
	s_nop 0
	v_addc_co_u32_e32 v1, vcc, -1, v33, vcc
	flat_store_dwordx2 v[0:1], v[12:13] offset:2048
	flat_store_dwordx2 v[0:1], v[14:15]
	v_add_co_u32_e32 v0, vcc, s4, v32
	s_movk_i32 s4, 0xc7f8
	s_nop 0
	v_addc_co_u32_e32 v1, vcc, -1, v33, vcc
	;; [unrolled: 6-line block ×3, first 2 shown]
	flat_store_dwordx2 v[0:1], v[20:21] offset:2048
	flat_store_dwordx2 v[0:1], v[22:23]
	v_add_co_u32_e32 v0, vcc, s4, v32
	s_or_b64 s[0:1], s[0:1], exec
	s_nop 0
	v_addc_co_u32_e32 v1, vcc, -1, v33, vcc
	flat_store_dwordx2 v[0:1], v[24:25] offset:2048
	flat_store_dwordx2 v[0:1], v[26:27]
	v_add_co_u32_e32 v0, vcc, 0xffffaff8, v32
	s_nop 1
	v_addc_co_u32_e32 v1, vcc, -1, v33, vcc
	flat_store_dwordx2 v[0:1], v[28:29]
	v_add_co_u32_e32 v0, vcc, 0xffffa7f8, v32
	s_nop 1
	v_addc_co_u32_e32 v1, vcc, -1, v33, vcc
	;; [unrolled: 4-line block ×3, first 2 shown]
	flat_store_dwordx2 v[0:1], v[2:3]
.LBB159_223:
	s_and_saveexec_b64 s[4:5], s[0:1]
	s_cbranch_execz .LBB159_225
; %bb.224:
	v_lshl_add_u64 v[0:1], v[6:7], 3, s[2:3]
	v_add_co_u32_e32 v0, vcc, 0xffff97f8, v0
	s_nop 1
	v_addc_co_u32_e32 v1, vcc, -1, v1, vcc
	s_waitcnt lgkmcnt(0)
	flat_store_dwordx2 v[0:1], v[4:5]
	s_endpgm
.LBB159_225:
	s_endpgm
	.section	.rodata,"a",@progbits
	.p2align	6, 0x0
	.amdhsa_kernel _ZN7rocprim17ROCPRIM_400000_NS6detail17trampoline_kernelINS0_14default_configENS1_27scan_by_key_config_selectorIllEEZZNS1_16scan_by_key_implILNS1_25lookback_scan_determinismE0ELb0ES3_N6thrust23THRUST_200600_302600_NS16reverse_iteratorIPKlEESD_NSA_IPlEElN6hipcub16HIPCUB_304000_NS3MaxENSH_8EqualityElEE10hipError_tPvRmT2_T3_T4_T5_mT6_T7_P12ihipStream_tbENKUlT_T0_E_clISt17integral_constantIbLb1EESZ_IbLb0EEEEDaSV_SW_EUlSV_E_NS1_11comp_targetILNS1_3genE5ELNS1_11target_archE942ELNS1_3gpuE9ELNS1_3repE0EEENS1_30default_config_static_selectorELNS0_4arch9wavefront6targetE1EEEvT1_
		.amdhsa_group_segment_fixed_size 32768
		.amdhsa_private_segment_fixed_size 0
		.amdhsa_kernarg_size 136
		.amdhsa_user_sgpr_count 2
		.amdhsa_user_sgpr_dispatch_ptr 0
		.amdhsa_user_sgpr_queue_ptr 0
		.amdhsa_user_sgpr_kernarg_segment_ptr 1
		.amdhsa_user_sgpr_dispatch_id 0
		.amdhsa_user_sgpr_kernarg_preload_length 0
		.amdhsa_user_sgpr_kernarg_preload_offset 0
		.amdhsa_user_sgpr_private_segment_size 0
		.amdhsa_uses_dynamic_stack 0
		.amdhsa_enable_private_segment 0
		.amdhsa_system_sgpr_workgroup_id_x 1
		.amdhsa_system_sgpr_workgroup_id_y 0
		.amdhsa_system_sgpr_workgroup_id_z 0
		.amdhsa_system_sgpr_workgroup_info 0
		.amdhsa_system_vgpr_workitem_id 0
		.amdhsa_next_free_vgpr 92
		.amdhsa_next_free_sgpr 66
		.amdhsa_accum_offset 92
		.amdhsa_reserve_vcc 1
		.amdhsa_float_round_mode_32 0
		.amdhsa_float_round_mode_16_64 0
		.amdhsa_float_denorm_mode_32 3
		.amdhsa_float_denorm_mode_16_64 3
		.amdhsa_dx10_clamp 1
		.amdhsa_ieee_mode 1
		.amdhsa_fp16_overflow 0
		.amdhsa_tg_split 0
		.amdhsa_exception_fp_ieee_invalid_op 0
		.amdhsa_exception_fp_denorm_src 0
		.amdhsa_exception_fp_ieee_div_zero 0
		.amdhsa_exception_fp_ieee_overflow 0
		.amdhsa_exception_fp_ieee_underflow 0
		.amdhsa_exception_fp_ieee_inexact 0
		.amdhsa_exception_int_div_zero 0
	.end_amdhsa_kernel
	.section	.text._ZN7rocprim17ROCPRIM_400000_NS6detail17trampoline_kernelINS0_14default_configENS1_27scan_by_key_config_selectorIllEEZZNS1_16scan_by_key_implILNS1_25lookback_scan_determinismE0ELb0ES3_N6thrust23THRUST_200600_302600_NS16reverse_iteratorIPKlEESD_NSA_IPlEElN6hipcub16HIPCUB_304000_NS3MaxENSH_8EqualityElEE10hipError_tPvRmT2_T3_T4_T5_mT6_T7_P12ihipStream_tbENKUlT_T0_E_clISt17integral_constantIbLb1EESZ_IbLb0EEEEDaSV_SW_EUlSV_E_NS1_11comp_targetILNS1_3genE5ELNS1_11target_archE942ELNS1_3gpuE9ELNS1_3repE0EEENS1_30default_config_static_selectorELNS0_4arch9wavefront6targetE1EEEvT1_,"axG",@progbits,_ZN7rocprim17ROCPRIM_400000_NS6detail17trampoline_kernelINS0_14default_configENS1_27scan_by_key_config_selectorIllEEZZNS1_16scan_by_key_implILNS1_25lookback_scan_determinismE0ELb0ES3_N6thrust23THRUST_200600_302600_NS16reverse_iteratorIPKlEESD_NSA_IPlEElN6hipcub16HIPCUB_304000_NS3MaxENSH_8EqualityElEE10hipError_tPvRmT2_T3_T4_T5_mT6_T7_P12ihipStream_tbENKUlT_T0_E_clISt17integral_constantIbLb1EESZ_IbLb0EEEEDaSV_SW_EUlSV_E_NS1_11comp_targetILNS1_3genE5ELNS1_11target_archE942ELNS1_3gpuE9ELNS1_3repE0EEENS1_30default_config_static_selectorELNS0_4arch9wavefront6targetE1EEEvT1_,comdat
.Lfunc_end159:
	.size	_ZN7rocprim17ROCPRIM_400000_NS6detail17trampoline_kernelINS0_14default_configENS1_27scan_by_key_config_selectorIllEEZZNS1_16scan_by_key_implILNS1_25lookback_scan_determinismE0ELb0ES3_N6thrust23THRUST_200600_302600_NS16reverse_iteratorIPKlEESD_NSA_IPlEElN6hipcub16HIPCUB_304000_NS3MaxENSH_8EqualityElEE10hipError_tPvRmT2_T3_T4_T5_mT6_T7_P12ihipStream_tbENKUlT_T0_E_clISt17integral_constantIbLb1EESZ_IbLb0EEEEDaSV_SW_EUlSV_E_NS1_11comp_targetILNS1_3genE5ELNS1_11target_archE942ELNS1_3gpuE9ELNS1_3repE0EEENS1_30default_config_static_selectorELNS0_4arch9wavefront6targetE1EEEvT1_, .Lfunc_end159-_ZN7rocprim17ROCPRIM_400000_NS6detail17trampoline_kernelINS0_14default_configENS1_27scan_by_key_config_selectorIllEEZZNS1_16scan_by_key_implILNS1_25lookback_scan_determinismE0ELb0ES3_N6thrust23THRUST_200600_302600_NS16reverse_iteratorIPKlEESD_NSA_IPlEElN6hipcub16HIPCUB_304000_NS3MaxENSH_8EqualityElEE10hipError_tPvRmT2_T3_T4_T5_mT6_T7_P12ihipStream_tbENKUlT_T0_E_clISt17integral_constantIbLb1EESZ_IbLb0EEEEDaSV_SW_EUlSV_E_NS1_11comp_targetILNS1_3genE5ELNS1_11target_archE942ELNS1_3gpuE9ELNS1_3repE0EEENS1_30default_config_static_selectorELNS0_4arch9wavefront6targetE1EEEvT1_
                                        ; -- End function
	.section	.AMDGPU.csdata,"",@progbits
; Kernel info:
; codeLenInByte = 14300
; NumSgprs: 72
; NumVgprs: 92
; NumAgprs: 0
; TotalNumVgprs: 92
; ScratchSize: 0
; MemoryBound: 0
; FloatMode: 240
; IeeeMode: 1
; LDSByteSize: 32768 bytes/workgroup (compile time only)
; SGPRBlocks: 8
; VGPRBlocks: 11
; NumSGPRsForWavesPerEU: 72
; NumVGPRsForWavesPerEU: 92
; AccumOffset: 92
; Occupancy: 2
; WaveLimiterHint : 1
; COMPUTE_PGM_RSRC2:SCRATCH_EN: 0
; COMPUTE_PGM_RSRC2:USER_SGPR: 2
; COMPUTE_PGM_RSRC2:TRAP_HANDLER: 0
; COMPUTE_PGM_RSRC2:TGID_X_EN: 1
; COMPUTE_PGM_RSRC2:TGID_Y_EN: 0
; COMPUTE_PGM_RSRC2:TGID_Z_EN: 0
; COMPUTE_PGM_RSRC2:TIDIG_COMP_CNT: 0
; COMPUTE_PGM_RSRC3_GFX90A:ACCUM_OFFSET: 22
; COMPUTE_PGM_RSRC3_GFX90A:TG_SPLIT: 0
	.section	.text._ZN7rocprim17ROCPRIM_400000_NS6detail17trampoline_kernelINS0_14default_configENS1_27scan_by_key_config_selectorIllEEZZNS1_16scan_by_key_implILNS1_25lookback_scan_determinismE0ELb0ES3_N6thrust23THRUST_200600_302600_NS16reverse_iteratorIPKlEESD_NSA_IPlEElN6hipcub16HIPCUB_304000_NS3MaxENSH_8EqualityElEE10hipError_tPvRmT2_T3_T4_T5_mT6_T7_P12ihipStream_tbENKUlT_T0_E_clISt17integral_constantIbLb1EESZ_IbLb0EEEEDaSV_SW_EUlSV_E_NS1_11comp_targetILNS1_3genE4ELNS1_11target_archE910ELNS1_3gpuE8ELNS1_3repE0EEENS1_30default_config_static_selectorELNS0_4arch9wavefront6targetE1EEEvT1_,"axG",@progbits,_ZN7rocprim17ROCPRIM_400000_NS6detail17trampoline_kernelINS0_14default_configENS1_27scan_by_key_config_selectorIllEEZZNS1_16scan_by_key_implILNS1_25lookback_scan_determinismE0ELb0ES3_N6thrust23THRUST_200600_302600_NS16reverse_iteratorIPKlEESD_NSA_IPlEElN6hipcub16HIPCUB_304000_NS3MaxENSH_8EqualityElEE10hipError_tPvRmT2_T3_T4_T5_mT6_T7_P12ihipStream_tbENKUlT_T0_E_clISt17integral_constantIbLb1EESZ_IbLb0EEEEDaSV_SW_EUlSV_E_NS1_11comp_targetILNS1_3genE4ELNS1_11target_archE910ELNS1_3gpuE8ELNS1_3repE0EEENS1_30default_config_static_selectorELNS0_4arch9wavefront6targetE1EEEvT1_,comdat
	.protected	_ZN7rocprim17ROCPRIM_400000_NS6detail17trampoline_kernelINS0_14default_configENS1_27scan_by_key_config_selectorIllEEZZNS1_16scan_by_key_implILNS1_25lookback_scan_determinismE0ELb0ES3_N6thrust23THRUST_200600_302600_NS16reverse_iteratorIPKlEESD_NSA_IPlEElN6hipcub16HIPCUB_304000_NS3MaxENSH_8EqualityElEE10hipError_tPvRmT2_T3_T4_T5_mT6_T7_P12ihipStream_tbENKUlT_T0_E_clISt17integral_constantIbLb1EESZ_IbLb0EEEEDaSV_SW_EUlSV_E_NS1_11comp_targetILNS1_3genE4ELNS1_11target_archE910ELNS1_3gpuE8ELNS1_3repE0EEENS1_30default_config_static_selectorELNS0_4arch9wavefront6targetE1EEEvT1_ ; -- Begin function _ZN7rocprim17ROCPRIM_400000_NS6detail17trampoline_kernelINS0_14default_configENS1_27scan_by_key_config_selectorIllEEZZNS1_16scan_by_key_implILNS1_25lookback_scan_determinismE0ELb0ES3_N6thrust23THRUST_200600_302600_NS16reverse_iteratorIPKlEESD_NSA_IPlEElN6hipcub16HIPCUB_304000_NS3MaxENSH_8EqualityElEE10hipError_tPvRmT2_T3_T4_T5_mT6_T7_P12ihipStream_tbENKUlT_T0_E_clISt17integral_constantIbLb1EESZ_IbLb0EEEEDaSV_SW_EUlSV_E_NS1_11comp_targetILNS1_3genE4ELNS1_11target_archE910ELNS1_3gpuE8ELNS1_3repE0EEENS1_30default_config_static_selectorELNS0_4arch9wavefront6targetE1EEEvT1_
	.globl	_ZN7rocprim17ROCPRIM_400000_NS6detail17trampoline_kernelINS0_14default_configENS1_27scan_by_key_config_selectorIllEEZZNS1_16scan_by_key_implILNS1_25lookback_scan_determinismE0ELb0ES3_N6thrust23THRUST_200600_302600_NS16reverse_iteratorIPKlEESD_NSA_IPlEElN6hipcub16HIPCUB_304000_NS3MaxENSH_8EqualityElEE10hipError_tPvRmT2_T3_T4_T5_mT6_T7_P12ihipStream_tbENKUlT_T0_E_clISt17integral_constantIbLb1EESZ_IbLb0EEEEDaSV_SW_EUlSV_E_NS1_11comp_targetILNS1_3genE4ELNS1_11target_archE910ELNS1_3gpuE8ELNS1_3repE0EEENS1_30default_config_static_selectorELNS0_4arch9wavefront6targetE1EEEvT1_
	.p2align	8
	.type	_ZN7rocprim17ROCPRIM_400000_NS6detail17trampoline_kernelINS0_14default_configENS1_27scan_by_key_config_selectorIllEEZZNS1_16scan_by_key_implILNS1_25lookback_scan_determinismE0ELb0ES3_N6thrust23THRUST_200600_302600_NS16reverse_iteratorIPKlEESD_NSA_IPlEElN6hipcub16HIPCUB_304000_NS3MaxENSH_8EqualityElEE10hipError_tPvRmT2_T3_T4_T5_mT6_T7_P12ihipStream_tbENKUlT_T0_E_clISt17integral_constantIbLb1EESZ_IbLb0EEEEDaSV_SW_EUlSV_E_NS1_11comp_targetILNS1_3genE4ELNS1_11target_archE910ELNS1_3gpuE8ELNS1_3repE0EEENS1_30default_config_static_selectorELNS0_4arch9wavefront6targetE1EEEvT1_,@function
_ZN7rocprim17ROCPRIM_400000_NS6detail17trampoline_kernelINS0_14default_configENS1_27scan_by_key_config_selectorIllEEZZNS1_16scan_by_key_implILNS1_25lookback_scan_determinismE0ELb0ES3_N6thrust23THRUST_200600_302600_NS16reverse_iteratorIPKlEESD_NSA_IPlEElN6hipcub16HIPCUB_304000_NS3MaxENSH_8EqualityElEE10hipError_tPvRmT2_T3_T4_T5_mT6_T7_P12ihipStream_tbENKUlT_T0_E_clISt17integral_constantIbLb1EESZ_IbLb0EEEEDaSV_SW_EUlSV_E_NS1_11comp_targetILNS1_3genE4ELNS1_11target_archE910ELNS1_3gpuE8ELNS1_3repE0EEENS1_30default_config_static_selectorELNS0_4arch9wavefront6targetE1EEEvT1_: ; @_ZN7rocprim17ROCPRIM_400000_NS6detail17trampoline_kernelINS0_14default_configENS1_27scan_by_key_config_selectorIllEEZZNS1_16scan_by_key_implILNS1_25lookback_scan_determinismE0ELb0ES3_N6thrust23THRUST_200600_302600_NS16reverse_iteratorIPKlEESD_NSA_IPlEElN6hipcub16HIPCUB_304000_NS3MaxENSH_8EqualityElEE10hipError_tPvRmT2_T3_T4_T5_mT6_T7_P12ihipStream_tbENKUlT_T0_E_clISt17integral_constantIbLb1EESZ_IbLb0EEEEDaSV_SW_EUlSV_E_NS1_11comp_targetILNS1_3genE4ELNS1_11target_archE910ELNS1_3gpuE8ELNS1_3repE0EEENS1_30default_config_static_selectorELNS0_4arch9wavefront6targetE1EEEvT1_
; %bb.0:
	.section	.rodata,"a",@progbits
	.p2align	6, 0x0
	.amdhsa_kernel _ZN7rocprim17ROCPRIM_400000_NS6detail17trampoline_kernelINS0_14default_configENS1_27scan_by_key_config_selectorIllEEZZNS1_16scan_by_key_implILNS1_25lookback_scan_determinismE0ELb0ES3_N6thrust23THRUST_200600_302600_NS16reverse_iteratorIPKlEESD_NSA_IPlEElN6hipcub16HIPCUB_304000_NS3MaxENSH_8EqualityElEE10hipError_tPvRmT2_T3_T4_T5_mT6_T7_P12ihipStream_tbENKUlT_T0_E_clISt17integral_constantIbLb1EESZ_IbLb0EEEEDaSV_SW_EUlSV_E_NS1_11comp_targetILNS1_3genE4ELNS1_11target_archE910ELNS1_3gpuE8ELNS1_3repE0EEENS1_30default_config_static_selectorELNS0_4arch9wavefront6targetE1EEEvT1_
		.amdhsa_group_segment_fixed_size 0
		.amdhsa_private_segment_fixed_size 0
		.amdhsa_kernarg_size 136
		.amdhsa_user_sgpr_count 2
		.amdhsa_user_sgpr_dispatch_ptr 0
		.amdhsa_user_sgpr_queue_ptr 0
		.amdhsa_user_sgpr_kernarg_segment_ptr 1
		.amdhsa_user_sgpr_dispatch_id 0
		.amdhsa_user_sgpr_kernarg_preload_length 0
		.amdhsa_user_sgpr_kernarg_preload_offset 0
		.amdhsa_user_sgpr_private_segment_size 0
		.amdhsa_uses_dynamic_stack 0
		.amdhsa_enable_private_segment 0
		.amdhsa_system_sgpr_workgroup_id_x 1
		.amdhsa_system_sgpr_workgroup_id_y 0
		.amdhsa_system_sgpr_workgroup_id_z 0
		.amdhsa_system_sgpr_workgroup_info 0
		.amdhsa_system_vgpr_workitem_id 0
		.amdhsa_next_free_vgpr 1
		.amdhsa_next_free_sgpr 0
		.amdhsa_accum_offset 4
		.amdhsa_reserve_vcc 0
		.amdhsa_float_round_mode_32 0
		.amdhsa_float_round_mode_16_64 0
		.amdhsa_float_denorm_mode_32 3
		.amdhsa_float_denorm_mode_16_64 3
		.amdhsa_dx10_clamp 1
		.amdhsa_ieee_mode 1
		.amdhsa_fp16_overflow 0
		.amdhsa_tg_split 0
		.amdhsa_exception_fp_ieee_invalid_op 0
		.amdhsa_exception_fp_denorm_src 0
		.amdhsa_exception_fp_ieee_div_zero 0
		.amdhsa_exception_fp_ieee_overflow 0
		.amdhsa_exception_fp_ieee_underflow 0
		.amdhsa_exception_fp_ieee_inexact 0
		.amdhsa_exception_int_div_zero 0
	.end_amdhsa_kernel
	.section	.text._ZN7rocprim17ROCPRIM_400000_NS6detail17trampoline_kernelINS0_14default_configENS1_27scan_by_key_config_selectorIllEEZZNS1_16scan_by_key_implILNS1_25lookback_scan_determinismE0ELb0ES3_N6thrust23THRUST_200600_302600_NS16reverse_iteratorIPKlEESD_NSA_IPlEElN6hipcub16HIPCUB_304000_NS3MaxENSH_8EqualityElEE10hipError_tPvRmT2_T3_T4_T5_mT6_T7_P12ihipStream_tbENKUlT_T0_E_clISt17integral_constantIbLb1EESZ_IbLb0EEEEDaSV_SW_EUlSV_E_NS1_11comp_targetILNS1_3genE4ELNS1_11target_archE910ELNS1_3gpuE8ELNS1_3repE0EEENS1_30default_config_static_selectorELNS0_4arch9wavefront6targetE1EEEvT1_,"axG",@progbits,_ZN7rocprim17ROCPRIM_400000_NS6detail17trampoline_kernelINS0_14default_configENS1_27scan_by_key_config_selectorIllEEZZNS1_16scan_by_key_implILNS1_25lookback_scan_determinismE0ELb0ES3_N6thrust23THRUST_200600_302600_NS16reverse_iteratorIPKlEESD_NSA_IPlEElN6hipcub16HIPCUB_304000_NS3MaxENSH_8EqualityElEE10hipError_tPvRmT2_T3_T4_T5_mT6_T7_P12ihipStream_tbENKUlT_T0_E_clISt17integral_constantIbLb1EESZ_IbLb0EEEEDaSV_SW_EUlSV_E_NS1_11comp_targetILNS1_3genE4ELNS1_11target_archE910ELNS1_3gpuE8ELNS1_3repE0EEENS1_30default_config_static_selectorELNS0_4arch9wavefront6targetE1EEEvT1_,comdat
.Lfunc_end160:
	.size	_ZN7rocprim17ROCPRIM_400000_NS6detail17trampoline_kernelINS0_14default_configENS1_27scan_by_key_config_selectorIllEEZZNS1_16scan_by_key_implILNS1_25lookback_scan_determinismE0ELb0ES3_N6thrust23THRUST_200600_302600_NS16reverse_iteratorIPKlEESD_NSA_IPlEElN6hipcub16HIPCUB_304000_NS3MaxENSH_8EqualityElEE10hipError_tPvRmT2_T3_T4_T5_mT6_T7_P12ihipStream_tbENKUlT_T0_E_clISt17integral_constantIbLb1EESZ_IbLb0EEEEDaSV_SW_EUlSV_E_NS1_11comp_targetILNS1_3genE4ELNS1_11target_archE910ELNS1_3gpuE8ELNS1_3repE0EEENS1_30default_config_static_selectorELNS0_4arch9wavefront6targetE1EEEvT1_, .Lfunc_end160-_ZN7rocprim17ROCPRIM_400000_NS6detail17trampoline_kernelINS0_14default_configENS1_27scan_by_key_config_selectorIllEEZZNS1_16scan_by_key_implILNS1_25lookback_scan_determinismE0ELb0ES3_N6thrust23THRUST_200600_302600_NS16reverse_iteratorIPKlEESD_NSA_IPlEElN6hipcub16HIPCUB_304000_NS3MaxENSH_8EqualityElEE10hipError_tPvRmT2_T3_T4_T5_mT6_T7_P12ihipStream_tbENKUlT_T0_E_clISt17integral_constantIbLb1EESZ_IbLb0EEEEDaSV_SW_EUlSV_E_NS1_11comp_targetILNS1_3genE4ELNS1_11target_archE910ELNS1_3gpuE8ELNS1_3repE0EEENS1_30default_config_static_selectorELNS0_4arch9wavefront6targetE1EEEvT1_
                                        ; -- End function
	.section	.AMDGPU.csdata,"",@progbits
; Kernel info:
; codeLenInByte = 0
; NumSgprs: 6
; NumVgprs: 0
; NumAgprs: 0
; TotalNumVgprs: 0
; ScratchSize: 0
; MemoryBound: 0
; FloatMode: 240
; IeeeMode: 1
; LDSByteSize: 0 bytes/workgroup (compile time only)
; SGPRBlocks: 0
; VGPRBlocks: 0
; NumSGPRsForWavesPerEU: 6
; NumVGPRsForWavesPerEU: 1
; AccumOffset: 4
; Occupancy: 8
; WaveLimiterHint : 0
; COMPUTE_PGM_RSRC2:SCRATCH_EN: 0
; COMPUTE_PGM_RSRC2:USER_SGPR: 2
; COMPUTE_PGM_RSRC2:TRAP_HANDLER: 0
; COMPUTE_PGM_RSRC2:TGID_X_EN: 1
; COMPUTE_PGM_RSRC2:TGID_Y_EN: 0
; COMPUTE_PGM_RSRC2:TGID_Z_EN: 0
; COMPUTE_PGM_RSRC2:TIDIG_COMP_CNT: 0
; COMPUTE_PGM_RSRC3_GFX90A:ACCUM_OFFSET: 0
; COMPUTE_PGM_RSRC3_GFX90A:TG_SPLIT: 0
	.section	.text._ZN7rocprim17ROCPRIM_400000_NS6detail17trampoline_kernelINS0_14default_configENS1_27scan_by_key_config_selectorIllEEZZNS1_16scan_by_key_implILNS1_25lookback_scan_determinismE0ELb0ES3_N6thrust23THRUST_200600_302600_NS16reverse_iteratorIPKlEESD_NSA_IPlEElN6hipcub16HIPCUB_304000_NS3MaxENSH_8EqualityElEE10hipError_tPvRmT2_T3_T4_T5_mT6_T7_P12ihipStream_tbENKUlT_T0_E_clISt17integral_constantIbLb1EESZ_IbLb0EEEEDaSV_SW_EUlSV_E_NS1_11comp_targetILNS1_3genE3ELNS1_11target_archE908ELNS1_3gpuE7ELNS1_3repE0EEENS1_30default_config_static_selectorELNS0_4arch9wavefront6targetE1EEEvT1_,"axG",@progbits,_ZN7rocprim17ROCPRIM_400000_NS6detail17trampoline_kernelINS0_14default_configENS1_27scan_by_key_config_selectorIllEEZZNS1_16scan_by_key_implILNS1_25lookback_scan_determinismE0ELb0ES3_N6thrust23THRUST_200600_302600_NS16reverse_iteratorIPKlEESD_NSA_IPlEElN6hipcub16HIPCUB_304000_NS3MaxENSH_8EqualityElEE10hipError_tPvRmT2_T3_T4_T5_mT6_T7_P12ihipStream_tbENKUlT_T0_E_clISt17integral_constantIbLb1EESZ_IbLb0EEEEDaSV_SW_EUlSV_E_NS1_11comp_targetILNS1_3genE3ELNS1_11target_archE908ELNS1_3gpuE7ELNS1_3repE0EEENS1_30default_config_static_selectorELNS0_4arch9wavefront6targetE1EEEvT1_,comdat
	.protected	_ZN7rocprim17ROCPRIM_400000_NS6detail17trampoline_kernelINS0_14default_configENS1_27scan_by_key_config_selectorIllEEZZNS1_16scan_by_key_implILNS1_25lookback_scan_determinismE0ELb0ES3_N6thrust23THRUST_200600_302600_NS16reverse_iteratorIPKlEESD_NSA_IPlEElN6hipcub16HIPCUB_304000_NS3MaxENSH_8EqualityElEE10hipError_tPvRmT2_T3_T4_T5_mT6_T7_P12ihipStream_tbENKUlT_T0_E_clISt17integral_constantIbLb1EESZ_IbLb0EEEEDaSV_SW_EUlSV_E_NS1_11comp_targetILNS1_3genE3ELNS1_11target_archE908ELNS1_3gpuE7ELNS1_3repE0EEENS1_30default_config_static_selectorELNS0_4arch9wavefront6targetE1EEEvT1_ ; -- Begin function _ZN7rocprim17ROCPRIM_400000_NS6detail17trampoline_kernelINS0_14default_configENS1_27scan_by_key_config_selectorIllEEZZNS1_16scan_by_key_implILNS1_25lookback_scan_determinismE0ELb0ES3_N6thrust23THRUST_200600_302600_NS16reverse_iteratorIPKlEESD_NSA_IPlEElN6hipcub16HIPCUB_304000_NS3MaxENSH_8EqualityElEE10hipError_tPvRmT2_T3_T4_T5_mT6_T7_P12ihipStream_tbENKUlT_T0_E_clISt17integral_constantIbLb1EESZ_IbLb0EEEEDaSV_SW_EUlSV_E_NS1_11comp_targetILNS1_3genE3ELNS1_11target_archE908ELNS1_3gpuE7ELNS1_3repE0EEENS1_30default_config_static_selectorELNS0_4arch9wavefront6targetE1EEEvT1_
	.globl	_ZN7rocprim17ROCPRIM_400000_NS6detail17trampoline_kernelINS0_14default_configENS1_27scan_by_key_config_selectorIllEEZZNS1_16scan_by_key_implILNS1_25lookback_scan_determinismE0ELb0ES3_N6thrust23THRUST_200600_302600_NS16reverse_iteratorIPKlEESD_NSA_IPlEElN6hipcub16HIPCUB_304000_NS3MaxENSH_8EqualityElEE10hipError_tPvRmT2_T3_T4_T5_mT6_T7_P12ihipStream_tbENKUlT_T0_E_clISt17integral_constantIbLb1EESZ_IbLb0EEEEDaSV_SW_EUlSV_E_NS1_11comp_targetILNS1_3genE3ELNS1_11target_archE908ELNS1_3gpuE7ELNS1_3repE0EEENS1_30default_config_static_selectorELNS0_4arch9wavefront6targetE1EEEvT1_
	.p2align	8
	.type	_ZN7rocprim17ROCPRIM_400000_NS6detail17trampoline_kernelINS0_14default_configENS1_27scan_by_key_config_selectorIllEEZZNS1_16scan_by_key_implILNS1_25lookback_scan_determinismE0ELb0ES3_N6thrust23THRUST_200600_302600_NS16reverse_iteratorIPKlEESD_NSA_IPlEElN6hipcub16HIPCUB_304000_NS3MaxENSH_8EqualityElEE10hipError_tPvRmT2_T3_T4_T5_mT6_T7_P12ihipStream_tbENKUlT_T0_E_clISt17integral_constantIbLb1EESZ_IbLb0EEEEDaSV_SW_EUlSV_E_NS1_11comp_targetILNS1_3genE3ELNS1_11target_archE908ELNS1_3gpuE7ELNS1_3repE0EEENS1_30default_config_static_selectorELNS0_4arch9wavefront6targetE1EEEvT1_,@function
_ZN7rocprim17ROCPRIM_400000_NS6detail17trampoline_kernelINS0_14default_configENS1_27scan_by_key_config_selectorIllEEZZNS1_16scan_by_key_implILNS1_25lookback_scan_determinismE0ELb0ES3_N6thrust23THRUST_200600_302600_NS16reverse_iteratorIPKlEESD_NSA_IPlEElN6hipcub16HIPCUB_304000_NS3MaxENSH_8EqualityElEE10hipError_tPvRmT2_T3_T4_T5_mT6_T7_P12ihipStream_tbENKUlT_T0_E_clISt17integral_constantIbLb1EESZ_IbLb0EEEEDaSV_SW_EUlSV_E_NS1_11comp_targetILNS1_3genE3ELNS1_11target_archE908ELNS1_3gpuE7ELNS1_3repE0EEENS1_30default_config_static_selectorELNS0_4arch9wavefront6targetE1EEEvT1_: ; @_ZN7rocprim17ROCPRIM_400000_NS6detail17trampoline_kernelINS0_14default_configENS1_27scan_by_key_config_selectorIllEEZZNS1_16scan_by_key_implILNS1_25lookback_scan_determinismE0ELb0ES3_N6thrust23THRUST_200600_302600_NS16reverse_iteratorIPKlEESD_NSA_IPlEElN6hipcub16HIPCUB_304000_NS3MaxENSH_8EqualityElEE10hipError_tPvRmT2_T3_T4_T5_mT6_T7_P12ihipStream_tbENKUlT_T0_E_clISt17integral_constantIbLb1EESZ_IbLb0EEEEDaSV_SW_EUlSV_E_NS1_11comp_targetILNS1_3genE3ELNS1_11target_archE908ELNS1_3gpuE7ELNS1_3repE0EEENS1_30default_config_static_selectorELNS0_4arch9wavefront6targetE1EEEvT1_
; %bb.0:
	.section	.rodata,"a",@progbits
	.p2align	6, 0x0
	.amdhsa_kernel _ZN7rocprim17ROCPRIM_400000_NS6detail17trampoline_kernelINS0_14default_configENS1_27scan_by_key_config_selectorIllEEZZNS1_16scan_by_key_implILNS1_25lookback_scan_determinismE0ELb0ES3_N6thrust23THRUST_200600_302600_NS16reverse_iteratorIPKlEESD_NSA_IPlEElN6hipcub16HIPCUB_304000_NS3MaxENSH_8EqualityElEE10hipError_tPvRmT2_T3_T4_T5_mT6_T7_P12ihipStream_tbENKUlT_T0_E_clISt17integral_constantIbLb1EESZ_IbLb0EEEEDaSV_SW_EUlSV_E_NS1_11comp_targetILNS1_3genE3ELNS1_11target_archE908ELNS1_3gpuE7ELNS1_3repE0EEENS1_30default_config_static_selectorELNS0_4arch9wavefront6targetE1EEEvT1_
		.amdhsa_group_segment_fixed_size 0
		.amdhsa_private_segment_fixed_size 0
		.amdhsa_kernarg_size 136
		.amdhsa_user_sgpr_count 2
		.amdhsa_user_sgpr_dispatch_ptr 0
		.amdhsa_user_sgpr_queue_ptr 0
		.amdhsa_user_sgpr_kernarg_segment_ptr 1
		.amdhsa_user_sgpr_dispatch_id 0
		.amdhsa_user_sgpr_kernarg_preload_length 0
		.amdhsa_user_sgpr_kernarg_preload_offset 0
		.amdhsa_user_sgpr_private_segment_size 0
		.amdhsa_uses_dynamic_stack 0
		.amdhsa_enable_private_segment 0
		.amdhsa_system_sgpr_workgroup_id_x 1
		.amdhsa_system_sgpr_workgroup_id_y 0
		.amdhsa_system_sgpr_workgroup_id_z 0
		.amdhsa_system_sgpr_workgroup_info 0
		.amdhsa_system_vgpr_workitem_id 0
		.amdhsa_next_free_vgpr 1
		.amdhsa_next_free_sgpr 0
		.amdhsa_accum_offset 4
		.amdhsa_reserve_vcc 0
		.amdhsa_float_round_mode_32 0
		.amdhsa_float_round_mode_16_64 0
		.amdhsa_float_denorm_mode_32 3
		.amdhsa_float_denorm_mode_16_64 3
		.amdhsa_dx10_clamp 1
		.amdhsa_ieee_mode 1
		.amdhsa_fp16_overflow 0
		.amdhsa_tg_split 0
		.amdhsa_exception_fp_ieee_invalid_op 0
		.amdhsa_exception_fp_denorm_src 0
		.amdhsa_exception_fp_ieee_div_zero 0
		.amdhsa_exception_fp_ieee_overflow 0
		.amdhsa_exception_fp_ieee_underflow 0
		.amdhsa_exception_fp_ieee_inexact 0
		.amdhsa_exception_int_div_zero 0
	.end_amdhsa_kernel
	.section	.text._ZN7rocprim17ROCPRIM_400000_NS6detail17trampoline_kernelINS0_14default_configENS1_27scan_by_key_config_selectorIllEEZZNS1_16scan_by_key_implILNS1_25lookback_scan_determinismE0ELb0ES3_N6thrust23THRUST_200600_302600_NS16reverse_iteratorIPKlEESD_NSA_IPlEElN6hipcub16HIPCUB_304000_NS3MaxENSH_8EqualityElEE10hipError_tPvRmT2_T3_T4_T5_mT6_T7_P12ihipStream_tbENKUlT_T0_E_clISt17integral_constantIbLb1EESZ_IbLb0EEEEDaSV_SW_EUlSV_E_NS1_11comp_targetILNS1_3genE3ELNS1_11target_archE908ELNS1_3gpuE7ELNS1_3repE0EEENS1_30default_config_static_selectorELNS0_4arch9wavefront6targetE1EEEvT1_,"axG",@progbits,_ZN7rocprim17ROCPRIM_400000_NS6detail17trampoline_kernelINS0_14default_configENS1_27scan_by_key_config_selectorIllEEZZNS1_16scan_by_key_implILNS1_25lookback_scan_determinismE0ELb0ES3_N6thrust23THRUST_200600_302600_NS16reverse_iteratorIPKlEESD_NSA_IPlEElN6hipcub16HIPCUB_304000_NS3MaxENSH_8EqualityElEE10hipError_tPvRmT2_T3_T4_T5_mT6_T7_P12ihipStream_tbENKUlT_T0_E_clISt17integral_constantIbLb1EESZ_IbLb0EEEEDaSV_SW_EUlSV_E_NS1_11comp_targetILNS1_3genE3ELNS1_11target_archE908ELNS1_3gpuE7ELNS1_3repE0EEENS1_30default_config_static_selectorELNS0_4arch9wavefront6targetE1EEEvT1_,comdat
.Lfunc_end161:
	.size	_ZN7rocprim17ROCPRIM_400000_NS6detail17trampoline_kernelINS0_14default_configENS1_27scan_by_key_config_selectorIllEEZZNS1_16scan_by_key_implILNS1_25lookback_scan_determinismE0ELb0ES3_N6thrust23THRUST_200600_302600_NS16reverse_iteratorIPKlEESD_NSA_IPlEElN6hipcub16HIPCUB_304000_NS3MaxENSH_8EqualityElEE10hipError_tPvRmT2_T3_T4_T5_mT6_T7_P12ihipStream_tbENKUlT_T0_E_clISt17integral_constantIbLb1EESZ_IbLb0EEEEDaSV_SW_EUlSV_E_NS1_11comp_targetILNS1_3genE3ELNS1_11target_archE908ELNS1_3gpuE7ELNS1_3repE0EEENS1_30default_config_static_selectorELNS0_4arch9wavefront6targetE1EEEvT1_, .Lfunc_end161-_ZN7rocprim17ROCPRIM_400000_NS6detail17trampoline_kernelINS0_14default_configENS1_27scan_by_key_config_selectorIllEEZZNS1_16scan_by_key_implILNS1_25lookback_scan_determinismE0ELb0ES3_N6thrust23THRUST_200600_302600_NS16reverse_iteratorIPKlEESD_NSA_IPlEElN6hipcub16HIPCUB_304000_NS3MaxENSH_8EqualityElEE10hipError_tPvRmT2_T3_T4_T5_mT6_T7_P12ihipStream_tbENKUlT_T0_E_clISt17integral_constantIbLb1EESZ_IbLb0EEEEDaSV_SW_EUlSV_E_NS1_11comp_targetILNS1_3genE3ELNS1_11target_archE908ELNS1_3gpuE7ELNS1_3repE0EEENS1_30default_config_static_selectorELNS0_4arch9wavefront6targetE1EEEvT1_
                                        ; -- End function
	.section	.AMDGPU.csdata,"",@progbits
; Kernel info:
; codeLenInByte = 0
; NumSgprs: 6
; NumVgprs: 0
; NumAgprs: 0
; TotalNumVgprs: 0
; ScratchSize: 0
; MemoryBound: 0
; FloatMode: 240
; IeeeMode: 1
; LDSByteSize: 0 bytes/workgroup (compile time only)
; SGPRBlocks: 0
; VGPRBlocks: 0
; NumSGPRsForWavesPerEU: 6
; NumVGPRsForWavesPerEU: 1
; AccumOffset: 4
; Occupancy: 8
; WaveLimiterHint : 0
; COMPUTE_PGM_RSRC2:SCRATCH_EN: 0
; COMPUTE_PGM_RSRC2:USER_SGPR: 2
; COMPUTE_PGM_RSRC2:TRAP_HANDLER: 0
; COMPUTE_PGM_RSRC2:TGID_X_EN: 1
; COMPUTE_PGM_RSRC2:TGID_Y_EN: 0
; COMPUTE_PGM_RSRC2:TGID_Z_EN: 0
; COMPUTE_PGM_RSRC2:TIDIG_COMP_CNT: 0
; COMPUTE_PGM_RSRC3_GFX90A:ACCUM_OFFSET: 0
; COMPUTE_PGM_RSRC3_GFX90A:TG_SPLIT: 0
	.section	.text._ZN7rocprim17ROCPRIM_400000_NS6detail17trampoline_kernelINS0_14default_configENS1_27scan_by_key_config_selectorIllEEZZNS1_16scan_by_key_implILNS1_25lookback_scan_determinismE0ELb0ES3_N6thrust23THRUST_200600_302600_NS16reverse_iteratorIPKlEESD_NSA_IPlEElN6hipcub16HIPCUB_304000_NS3MaxENSH_8EqualityElEE10hipError_tPvRmT2_T3_T4_T5_mT6_T7_P12ihipStream_tbENKUlT_T0_E_clISt17integral_constantIbLb1EESZ_IbLb0EEEEDaSV_SW_EUlSV_E_NS1_11comp_targetILNS1_3genE2ELNS1_11target_archE906ELNS1_3gpuE6ELNS1_3repE0EEENS1_30default_config_static_selectorELNS0_4arch9wavefront6targetE1EEEvT1_,"axG",@progbits,_ZN7rocprim17ROCPRIM_400000_NS6detail17trampoline_kernelINS0_14default_configENS1_27scan_by_key_config_selectorIllEEZZNS1_16scan_by_key_implILNS1_25lookback_scan_determinismE0ELb0ES3_N6thrust23THRUST_200600_302600_NS16reverse_iteratorIPKlEESD_NSA_IPlEElN6hipcub16HIPCUB_304000_NS3MaxENSH_8EqualityElEE10hipError_tPvRmT2_T3_T4_T5_mT6_T7_P12ihipStream_tbENKUlT_T0_E_clISt17integral_constantIbLb1EESZ_IbLb0EEEEDaSV_SW_EUlSV_E_NS1_11comp_targetILNS1_3genE2ELNS1_11target_archE906ELNS1_3gpuE6ELNS1_3repE0EEENS1_30default_config_static_selectorELNS0_4arch9wavefront6targetE1EEEvT1_,comdat
	.protected	_ZN7rocprim17ROCPRIM_400000_NS6detail17trampoline_kernelINS0_14default_configENS1_27scan_by_key_config_selectorIllEEZZNS1_16scan_by_key_implILNS1_25lookback_scan_determinismE0ELb0ES3_N6thrust23THRUST_200600_302600_NS16reverse_iteratorIPKlEESD_NSA_IPlEElN6hipcub16HIPCUB_304000_NS3MaxENSH_8EqualityElEE10hipError_tPvRmT2_T3_T4_T5_mT6_T7_P12ihipStream_tbENKUlT_T0_E_clISt17integral_constantIbLb1EESZ_IbLb0EEEEDaSV_SW_EUlSV_E_NS1_11comp_targetILNS1_3genE2ELNS1_11target_archE906ELNS1_3gpuE6ELNS1_3repE0EEENS1_30default_config_static_selectorELNS0_4arch9wavefront6targetE1EEEvT1_ ; -- Begin function _ZN7rocprim17ROCPRIM_400000_NS6detail17trampoline_kernelINS0_14default_configENS1_27scan_by_key_config_selectorIllEEZZNS1_16scan_by_key_implILNS1_25lookback_scan_determinismE0ELb0ES3_N6thrust23THRUST_200600_302600_NS16reverse_iteratorIPKlEESD_NSA_IPlEElN6hipcub16HIPCUB_304000_NS3MaxENSH_8EqualityElEE10hipError_tPvRmT2_T3_T4_T5_mT6_T7_P12ihipStream_tbENKUlT_T0_E_clISt17integral_constantIbLb1EESZ_IbLb0EEEEDaSV_SW_EUlSV_E_NS1_11comp_targetILNS1_3genE2ELNS1_11target_archE906ELNS1_3gpuE6ELNS1_3repE0EEENS1_30default_config_static_selectorELNS0_4arch9wavefront6targetE1EEEvT1_
	.globl	_ZN7rocprim17ROCPRIM_400000_NS6detail17trampoline_kernelINS0_14default_configENS1_27scan_by_key_config_selectorIllEEZZNS1_16scan_by_key_implILNS1_25lookback_scan_determinismE0ELb0ES3_N6thrust23THRUST_200600_302600_NS16reverse_iteratorIPKlEESD_NSA_IPlEElN6hipcub16HIPCUB_304000_NS3MaxENSH_8EqualityElEE10hipError_tPvRmT2_T3_T4_T5_mT6_T7_P12ihipStream_tbENKUlT_T0_E_clISt17integral_constantIbLb1EESZ_IbLb0EEEEDaSV_SW_EUlSV_E_NS1_11comp_targetILNS1_3genE2ELNS1_11target_archE906ELNS1_3gpuE6ELNS1_3repE0EEENS1_30default_config_static_selectorELNS0_4arch9wavefront6targetE1EEEvT1_
	.p2align	8
	.type	_ZN7rocprim17ROCPRIM_400000_NS6detail17trampoline_kernelINS0_14default_configENS1_27scan_by_key_config_selectorIllEEZZNS1_16scan_by_key_implILNS1_25lookback_scan_determinismE0ELb0ES3_N6thrust23THRUST_200600_302600_NS16reverse_iteratorIPKlEESD_NSA_IPlEElN6hipcub16HIPCUB_304000_NS3MaxENSH_8EqualityElEE10hipError_tPvRmT2_T3_T4_T5_mT6_T7_P12ihipStream_tbENKUlT_T0_E_clISt17integral_constantIbLb1EESZ_IbLb0EEEEDaSV_SW_EUlSV_E_NS1_11comp_targetILNS1_3genE2ELNS1_11target_archE906ELNS1_3gpuE6ELNS1_3repE0EEENS1_30default_config_static_selectorELNS0_4arch9wavefront6targetE1EEEvT1_,@function
_ZN7rocprim17ROCPRIM_400000_NS6detail17trampoline_kernelINS0_14default_configENS1_27scan_by_key_config_selectorIllEEZZNS1_16scan_by_key_implILNS1_25lookback_scan_determinismE0ELb0ES3_N6thrust23THRUST_200600_302600_NS16reverse_iteratorIPKlEESD_NSA_IPlEElN6hipcub16HIPCUB_304000_NS3MaxENSH_8EqualityElEE10hipError_tPvRmT2_T3_T4_T5_mT6_T7_P12ihipStream_tbENKUlT_T0_E_clISt17integral_constantIbLb1EESZ_IbLb0EEEEDaSV_SW_EUlSV_E_NS1_11comp_targetILNS1_3genE2ELNS1_11target_archE906ELNS1_3gpuE6ELNS1_3repE0EEENS1_30default_config_static_selectorELNS0_4arch9wavefront6targetE1EEEvT1_: ; @_ZN7rocprim17ROCPRIM_400000_NS6detail17trampoline_kernelINS0_14default_configENS1_27scan_by_key_config_selectorIllEEZZNS1_16scan_by_key_implILNS1_25lookback_scan_determinismE0ELb0ES3_N6thrust23THRUST_200600_302600_NS16reverse_iteratorIPKlEESD_NSA_IPlEElN6hipcub16HIPCUB_304000_NS3MaxENSH_8EqualityElEE10hipError_tPvRmT2_T3_T4_T5_mT6_T7_P12ihipStream_tbENKUlT_T0_E_clISt17integral_constantIbLb1EESZ_IbLb0EEEEDaSV_SW_EUlSV_E_NS1_11comp_targetILNS1_3genE2ELNS1_11target_archE906ELNS1_3gpuE6ELNS1_3repE0EEENS1_30default_config_static_selectorELNS0_4arch9wavefront6targetE1EEEvT1_
; %bb.0:
	.section	.rodata,"a",@progbits
	.p2align	6, 0x0
	.amdhsa_kernel _ZN7rocprim17ROCPRIM_400000_NS6detail17trampoline_kernelINS0_14default_configENS1_27scan_by_key_config_selectorIllEEZZNS1_16scan_by_key_implILNS1_25lookback_scan_determinismE0ELb0ES3_N6thrust23THRUST_200600_302600_NS16reverse_iteratorIPKlEESD_NSA_IPlEElN6hipcub16HIPCUB_304000_NS3MaxENSH_8EqualityElEE10hipError_tPvRmT2_T3_T4_T5_mT6_T7_P12ihipStream_tbENKUlT_T0_E_clISt17integral_constantIbLb1EESZ_IbLb0EEEEDaSV_SW_EUlSV_E_NS1_11comp_targetILNS1_3genE2ELNS1_11target_archE906ELNS1_3gpuE6ELNS1_3repE0EEENS1_30default_config_static_selectorELNS0_4arch9wavefront6targetE1EEEvT1_
		.amdhsa_group_segment_fixed_size 0
		.amdhsa_private_segment_fixed_size 0
		.amdhsa_kernarg_size 136
		.amdhsa_user_sgpr_count 2
		.amdhsa_user_sgpr_dispatch_ptr 0
		.amdhsa_user_sgpr_queue_ptr 0
		.amdhsa_user_sgpr_kernarg_segment_ptr 1
		.amdhsa_user_sgpr_dispatch_id 0
		.amdhsa_user_sgpr_kernarg_preload_length 0
		.amdhsa_user_sgpr_kernarg_preload_offset 0
		.amdhsa_user_sgpr_private_segment_size 0
		.amdhsa_uses_dynamic_stack 0
		.amdhsa_enable_private_segment 0
		.amdhsa_system_sgpr_workgroup_id_x 1
		.amdhsa_system_sgpr_workgroup_id_y 0
		.amdhsa_system_sgpr_workgroup_id_z 0
		.amdhsa_system_sgpr_workgroup_info 0
		.amdhsa_system_vgpr_workitem_id 0
		.amdhsa_next_free_vgpr 1
		.amdhsa_next_free_sgpr 0
		.amdhsa_accum_offset 4
		.amdhsa_reserve_vcc 0
		.amdhsa_float_round_mode_32 0
		.amdhsa_float_round_mode_16_64 0
		.amdhsa_float_denorm_mode_32 3
		.amdhsa_float_denorm_mode_16_64 3
		.amdhsa_dx10_clamp 1
		.amdhsa_ieee_mode 1
		.amdhsa_fp16_overflow 0
		.amdhsa_tg_split 0
		.amdhsa_exception_fp_ieee_invalid_op 0
		.amdhsa_exception_fp_denorm_src 0
		.amdhsa_exception_fp_ieee_div_zero 0
		.amdhsa_exception_fp_ieee_overflow 0
		.amdhsa_exception_fp_ieee_underflow 0
		.amdhsa_exception_fp_ieee_inexact 0
		.amdhsa_exception_int_div_zero 0
	.end_amdhsa_kernel
	.section	.text._ZN7rocprim17ROCPRIM_400000_NS6detail17trampoline_kernelINS0_14default_configENS1_27scan_by_key_config_selectorIllEEZZNS1_16scan_by_key_implILNS1_25lookback_scan_determinismE0ELb0ES3_N6thrust23THRUST_200600_302600_NS16reverse_iteratorIPKlEESD_NSA_IPlEElN6hipcub16HIPCUB_304000_NS3MaxENSH_8EqualityElEE10hipError_tPvRmT2_T3_T4_T5_mT6_T7_P12ihipStream_tbENKUlT_T0_E_clISt17integral_constantIbLb1EESZ_IbLb0EEEEDaSV_SW_EUlSV_E_NS1_11comp_targetILNS1_3genE2ELNS1_11target_archE906ELNS1_3gpuE6ELNS1_3repE0EEENS1_30default_config_static_selectorELNS0_4arch9wavefront6targetE1EEEvT1_,"axG",@progbits,_ZN7rocprim17ROCPRIM_400000_NS6detail17trampoline_kernelINS0_14default_configENS1_27scan_by_key_config_selectorIllEEZZNS1_16scan_by_key_implILNS1_25lookback_scan_determinismE0ELb0ES3_N6thrust23THRUST_200600_302600_NS16reverse_iteratorIPKlEESD_NSA_IPlEElN6hipcub16HIPCUB_304000_NS3MaxENSH_8EqualityElEE10hipError_tPvRmT2_T3_T4_T5_mT6_T7_P12ihipStream_tbENKUlT_T0_E_clISt17integral_constantIbLb1EESZ_IbLb0EEEEDaSV_SW_EUlSV_E_NS1_11comp_targetILNS1_3genE2ELNS1_11target_archE906ELNS1_3gpuE6ELNS1_3repE0EEENS1_30default_config_static_selectorELNS0_4arch9wavefront6targetE1EEEvT1_,comdat
.Lfunc_end162:
	.size	_ZN7rocprim17ROCPRIM_400000_NS6detail17trampoline_kernelINS0_14default_configENS1_27scan_by_key_config_selectorIllEEZZNS1_16scan_by_key_implILNS1_25lookback_scan_determinismE0ELb0ES3_N6thrust23THRUST_200600_302600_NS16reverse_iteratorIPKlEESD_NSA_IPlEElN6hipcub16HIPCUB_304000_NS3MaxENSH_8EqualityElEE10hipError_tPvRmT2_T3_T4_T5_mT6_T7_P12ihipStream_tbENKUlT_T0_E_clISt17integral_constantIbLb1EESZ_IbLb0EEEEDaSV_SW_EUlSV_E_NS1_11comp_targetILNS1_3genE2ELNS1_11target_archE906ELNS1_3gpuE6ELNS1_3repE0EEENS1_30default_config_static_selectorELNS0_4arch9wavefront6targetE1EEEvT1_, .Lfunc_end162-_ZN7rocprim17ROCPRIM_400000_NS6detail17trampoline_kernelINS0_14default_configENS1_27scan_by_key_config_selectorIllEEZZNS1_16scan_by_key_implILNS1_25lookback_scan_determinismE0ELb0ES3_N6thrust23THRUST_200600_302600_NS16reverse_iteratorIPKlEESD_NSA_IPlEElN6hipcub16HIPCUB_304000_NS3MaxENSH_8EqualityElEE10hipError_tPvRmT2_T3_T4_T5_mT6_T7_P12ihipStream_tbENKUlT_T0_E_clISt17integral_constantIbLb1EESZ_IbLb0EEEEDaSV_SW_EUlSV_E_NS1_11comp_targetILNS1_3genE2ELNS1_11target_archE906ELNS1_3gpuE6ELNS1_3repE0EEENS1_30default_config_static_selectorELNS0_4arch9wavefront6targetE1EEEvT1_
                                        ; -- End function
	.section	.AMDGPU.csdata,"",@progbits
; Kernel info:
; codeLenInByte = 0
; NumSgprs: 6
; NumVgprs: 0
; NumAgprs: 0
; TotalNumVgprs: 0
; ScratchSize: 0
; MemoryBound: 0
; FloatMode: 240
; IeeeMode: 1
; LDSByteSize: 0 bytes/workgroup (compile time only)
; SGPRBlocks: 0
; VGPRBlocks: 0
; NumSGPRsForWavesPerEU: 6
; NumVGPRsForWavesPerEU: 1
; AccumOffset: 4
; Occupancy: 8
; WaveLimiterHint : 0
; COMPUTE_PGM_RSRC2:SCRATCH_EN: 0
; COMPUTE_PGM_RSRC2:USER_SGPR: 2
; COMPUTE_PGM_RSRC2:TRAP_HANDLER: 0
; COMPUTE_PGM_RSRC2:TGID_X_EN: 1
; COMPUTE_PGM_RSRC2:TGID_Y_EN: 0
; COMPUTE_PGM_RSRC2:TGID_Z_EN: 0
; COMPUTE_PGM_RSRC2:TIDIG_COMP_CNT: 0
; COMPUTE_PGM_RSRC3_GFX90A:ACCUM_OFFSET: 0
; COMPUTE_PGM_RSRC3_GFX90A:TG_SPLIT: 0
	.section	.text._ZN7rocprim17ROCPRIM_400000_NS6detail17trampoline_kernelINS0_14default_configENS1_27scan_by_key_config_selectorIllEEZZNS1_16scan_by_key_implILNS1_25lookback_scan_determinismE0ELb0ES3_N6thrust23THRUST_200600_302600_NS16reverse_iteratorIPKlEESD_NSA_IPlEElN6hipcub16HIPCUB_304000_NS3MaxENSH_8EqualityElEE10hipError_tPvRmT2_T3_T4_T5_mT6_T7_P12ihipStream_tbENKUlT_T0_E_clISt17integral_constantIbLb1EESZ_IbLb0EEEEDaSV_SW_EUlSV_E_NS1_11comp_targetILNS1_3genE10ELNS1_11target_archE1200ELNS1_3gpuE4ELNS1_3repE0EEENS1_30default_config_static_selectorELNS0_4arch9wavefront6targetE1EEEvT1_,"axG",@progbits,_ZN7rocprim17ROCPRIM_400000_NS6detail17trampoline_kernelINS0_14default_configENS1_27scan_by_key_config_selectorIllEEZZNS1_16scan_by_key_implILNS1_25lookback_scan_determinismE0ELb0ES3_N6thrust23THRUST_200600_302600_NS16reverse_iteratorIPKlEESD_NSA_IPlEElN6hipcub16HIPCUB_304000_NS3MaxENSH_8EqualityElEE10hipError_tPvRmT2_T3_T4_T5_mT6_T7_P12ihipStream_tbENKUlT_T0_E_clISt17integral_constantIbLb1EESZ_IbLb0EEEEDaSV_SW_EUlSV_E_NS1_11comp_targetILNS1_3genE10ELNS1_11target_archE1200ELNS1_3gpuE4ELNS1_3repE0EEENS1_30default_config_static_selectorELNS0_4arch9wavefront6targetE1EEEvT1_,comdat
	.protected	_ZN7rocprim17ROCPRIM_400000_NS6detail17trampoline_kernelINS0_14default_configENS1_27scan_by_key_config_selectorIllEEZZNS1_16scan_by_key_implILNS1_25lookback_scan_determinismE0ELb0ES3_N6thrust23THRUST_200600_302600_NS16reverse_iteratorIPKlEESD_NSA_IPlEElN6hipcub16HIPCUB_304000_NS3MaxENSH_8EqualityElEE10hipError_tPvRmT2_T3_T4_T5_mT6_T7_P12ihipStream_tbENKUlT_T0_E_clISt17integral_constantIbLb1EESZ_IbLb0EEEEDaSV_SW_EUlSV_E_NS1_11comp_targetILNS1_3genE10ELNS1_11target_archE1200ELNS1_3gpuE4ELNS1_3repE0EEENS1_30default_config_static_selectorELNS0_4arch9wavefront6targetE1EEEvT1_ ; -- Begin function _ZN7rocprim17ROCPRIM_400000_NS6detail17trampoline_kernelINS0_14default_configENS1_27scan_by_key_config_selectorIllEEZZNS1_16scan_by_key_implILNS1_25lookback_scan_determinismE0ELb0ES3_N6thrust23THRUST_200600_302600_NS16reverse_iteratorIPKlEESD_NSA_IPlEElN6hipcub16HIPCUB_304000_NS3MaxENSH_8EqualityElEE10hipError_tPvRmT2_T3_T4_T5_mT6_T7_P12ihipStream_tbENKUlT_T0_E_clISt17integral_constantIbLb1EESZ_IbLb0EEEEDaSV_SW_EUlSV_E_NS1_11comp_targetILNS1_3genE10ELNS1_11target_archE1200ELNS1_3gpuE4ELNS1_3repE0EEENS1_30default_config_static_selectorELNS0_4arch9wavefront6targetE1EEEvT1_
	.globl	_ZN7rocprim17ROCPRIM_400000_NS6detail17trampoline_kernelINS0_14default_configENS1_27scan_by_key_config_selectorIllEEZZNS1_16scan_by_key_implILNS1_25lookback_scan_determinismE0ELb0ES3_N6thrust23THRUST_200600_302600_NS16reverse_iteratorIPKlEESD_NSA_IPlEElN6hipcub16HIPCUB_304000_NS3MaxENSH_8EqualityElEE10hipError_tPvRmT2_T3_T4_T5_mT6_T7_P12ihipStream_tbENKUlT_T0_E_clISt17integral_constantIbLb1EESZ_IbLb0EEEEDaSV_SW_EUlSV_E_NS1_11comp_targetILNS1_3genE10ELNS1_11target_archE1200ELNS1_3gpuE4ELNS1_3repE0EEENS1_30default_config_static_selectorELNS0_4arch9wavefront6targetE1EEEvT1_
	.p2align	8
	.type	_ZN7rocprim17ROCPRIM_400000_NS6detail17trampoline_kernelINS0_14default_configENS1_27scan_by_key_config_selectorIllEEZZNS1_16scan_by_key_implILNS1_25lookback_scan_determinismE0ELb0ES3_N6thrust23THRUST_200600_302600_NS16reverse_iteratorIPKlEESD_NSA_IPlEElN6hipcub16HIPCUB_304000_NS3MaxENSH_8EqualityElEE10hipError_tPvRmT2_T3_T4_T5_mT6_T7_P12ihipStream_tbENKUlT_T0_E_clISt17integral_constantIbLb1EESZ_IbLb0EEEEDaSV_SW_EUlSV_E_NS1_11comp_targetILNS1_3genE10ELNS1_11target_archE1200ELNS1_3gpuE4ELNS1_3repE0EEENS1_30default_config_static_selectorELNS0_4arch9wavefront6targetE1EEEvT1_,@function
_ZN7rocprim17ROCPRIM_400000_NS6detail17trampoline_kernelINS0_14default_configENS1_27scan_by_key_config_selectorIllEEZZNS1_16scan_by_key_implILNS1_25lookback_scan_determinismE0ELb0ES3_N6thrust23THRUST_200600_302600_NS16reverse_iteratorIPKlEESD_NSA_IPlEElN6hipcub16HIPCUB_304000_NS3MaxENSH_8EqualityElEE10hipError_tPvRmT2_T3_T4_T5_mT6_T7_P12ihipStream_tbENKUlT_T0_E_clISt17integral_constantIbLb1EESZ_IbLb0EEEEDaSV_SW_EUlSV_E_NS1_11comp_targetILNS1_3genE10ELNS1_11target_archE1200ELNS1_3gpuE4ELNS1_3repE0EEENS1_30default_config_static_selectorELNS0_4arch9wavefront6targetE1EEEvT1_: ; @_ZN7rocprim17ROCPRIM_400000_NS6detail17trampoline_kernelINS0_14default_configENS1_27scan_by_key_config_selectorIllEEZZNS1_16scan_by_key_implILNS1_25lookback_scan_determinismE0ELb0ES3_N6thrust23THRUST_200600_302600_NS16reverse_iteratorIPKlEESD_NSA_IPlEElN6hipcub16HIPCUB_304000_NS3MaxENSH_8EqualityElEE10hipError_tPvRmT2_T3_T4_T5_mT6_T7_P12ihipStream_tbENKUlT_T0_E_clISt17integral_constantIbLb1EESZ_IbLb0EEEEDaSV_SW_EUlSV_E_NS1_11comp_targetILNS1_3genE10ELNS1_11target_archE1200ELNS1_3gpuE4ELNS1_3repE0EEENS1_30default_config_static_selectorELNS0_4arch9wavefront6targetE1EEEvT1_
; %bb.0:
	.section	.rodata,"a",@progbits
	.p2align	6, 0x0
	.amdhsa_kernel _ZN7rocprim17ROCPRIM_400000_NS6detail17trampoline_kernelINS0_14default_configENS1_27scan_by_key_config_selectorIllEEZZNS1_16scan_by_key_implILNS1_25lookback_scan_determinismE0ELb0ES3_N6thrust23THRUST_200600_302600_NS16reverse_iteratorIPKlEESD_NSA_IPlEElN6hipcub16HIPCUB_304000_NS3MaxENSH_8EqualityElEE10hipError_tPvRmT2_T3_T4_T5_mT6_T7_P12ihipStream_tbENKUlT_T0_E_clISt17integral_constantIbLb1EESZ_IbLb0EEEEDaSV_SW_EUlSV_E_NS1_11comp_targetILNS1_3genE10ELNS1_11target_archE1200ELNS1_3gpuE4ELNS1_3repE0EEENS1_30default_config_static_selectorELNS0_4arch9wavefront6targetE1EEEvT1_
		.amdhsa_group_segment_fixed_size 0
		.amdhsa_private_segment_fixed_size 0
		.amdhsa_kernarg_size 136
		.amdhsa_user_sgpr_count 2
		.amdhsa_user_sgpr_dispatch_ptr 0
		.amdhsa_user_sgpr_queue_ptr 0
		.amdhsa_user_sgpr_kernarg_segment_ptr 1
		.amdhsa_user_sgpr_dispatch_id 0
		.amdhsa_user_sgpr_kernarg_preload_length 0
		.amdhsa_user_sgpr_kernarg_preload_offset 0
		.amdhsa_user_sgpr_private_segment_size 0
		.amdhsa_uses_dynamic_stack 0
		.amdhsa_enable_private_segment 0
		.amdhsa_system_sgpr_workgroup_id_x 1
		.amdhsa_system_sgpr_workgroup_id_y 0
		.amdhsa_system_sgpr_workgroup_id_z 0
		.amdhsa_system_sgpr_workgroup_info 0
		.amdhsa_system_vgpr_workitem_id 0
		.amdhsa_next_free_vgpr 1
		.amdhsa_next_free_sgpr 0
		.amdhsa_accum_offset 4
		.amdhsa_reserve_vcc 0
		.amdhsa_float_round_mode_32 0
		.amdhsa_float_round_mode_16_64 0
		.amdhsa_float_denorm_mode_32 3
		.amdhsa_float_denorm_mode_16_64 3
		.amdhsa_dx10_clamp 1
		.amdhsa_ieee_mode 1
		.amdhsa_fp16_overflow 0
		.amdhsa_tg_split 0
		.amdhsa_exception_fp_ieee_invalid_op 0
		.amdhsa_exception_fp_denorm_src 0
		.amdhsa_exception_fp_ieee_div_zero 0
		.amdhsa_exception_fp_ieee_overflow 0
		.amdhsa_exception_fp_ieee_underflow 0
		.amdhsa_exception_fp_ieee_inexact 0
		.amdhsa_exception_int_div_zero 0
	.end_amdhsa_kernel
	.section	.text._ZN7rocprim17ROCPRIM_400000_NS6detail17trampoline_kernelINS0_14default_configENS1_27scan_by_key_config_selectorIllEEZZNS1_16scan_by_key_implILNS1_25lookback_scan_determinismE0ELb0ES3_N6thrust23THRUST_200600_302600_NS16reverse_iteratorIPKlEESD_NSA_IPlEElN6hipcub16HIPCUB_304000_NS3MaxENSH_8EqualityElEE10hipError_tPvRmT2_T3_T4_T5_mT6_T7_P12ihipStream_tbENKUlT_T0_E_clISt17integral_constantIbLb1EESZ_IbLb0EEEEDaSV_SW_EUlSV_E_NS1_11comp_targetILNS1_3genE10ELNS1_11target_archE1200ELNS1_3gpuE4ELNS1_3repE0EEENS1_30default_config_static_selectorELNS0_4arch9wavefront6targetE1EEEvT1_,"axG",@progbits,_ZN7rocprim17ROCPRIM_400000_NS6detail17trampoline_kernelINS0_14default_configENS1_27scan_by_key_config_selectorIllEEZZNS1_16scan_by_key_implILNS1_25lookback_scan_determinismE0ELb0ES3_N6thrust23THRUST_200600_302600_NS16reverse_iteratorIPKlEESD_NSA_IPlEElN6hipcub16HIPCUB_304000_NS3MaxENSH_8EqualityElEE10hipError_tPvRmT2_T3_T4_T5_mT6_T7_P12ihipStream_tbENKUlT_T0_E_clISt17integral_constantIbLb1EESZ_IbLb0EEEEDaSV_SW_EUlSV_E_NS1_11comp_targetILNS1_3genE10ELNS1_11target_archE1200ELNS1_3gpuE4ELNS1_3repE0EEENS1_30default_config_static_selectorELNS0_4arch9wavefront6targetE1EEEvT1_,comdat
.Lfunc_end163:
	.size	_ZN7rocprim17ROCPRIM_400000_NS6detail17trampoline_kernelINS0_14default_configENS1_27scan_by_key_config_selectorIllEEZZNS1_16scan_by_key_implILNS1_25lookback_scan_determinismE0ELb0ES3_N6thrust23THRUST_200600_302600_NS16reverse_iteratorIPKlEESD_NSA_IPlEElN6hipcub16HIPCUB_304000_NS3MaxENSH_8EqualityElEE10hipError_tPvRmT2_T3_T4_T5_mT6_T7_P12ihipStream_tbENKUlT_T0_E_clISt17integral_constantIbLb1EESZ_IbLb0EEEEDaSV_SW_EUlSV_E_NS1_11comp_targetILNS1_3genE10ELNS1_11target_archE1200ELNS1_3gpuE4ELNS1_3repE0EEENS1_30default_config_static_selectorELNS0_4arch9wavefront6targetE1EEEvT1_, .Lfunc_end163-_ZN7rocprim17ROCPRIM_400000_NS6detail17trampoline_kernelINS0_14default_configENS1_27scan_by_key_config_selectorIllEEZZNS1_16scan_by_key_implILNS1_25lookback_scan_determinismE0ELb0ES3_N6thrust23THRUST_200600_302600_NS16reverse_iteratorIPKlEESD_NSA_IPlEElN6hipcub16HIPCUB_304000_NS3MaxENSH_8EqualityElEE10hipError_tPvRmT2_T3_T4_T5_mT6_T7_P12ihipStream_tbENKUlT_T0_E_clISt17integral_constantIbLb1EESZ_IbLb0EEEEDaSV_SW_EUlSV_E_NS1_11comp_targetILNS1_3genE10ELNS1_11target_archE1200ELNS1_3gpuE4ELNS1_3repE0EEENS1_30default_config_static_selectorELNS0_4arch9wavefront6targetE1EEEvT1_
                                        ; -- End function
	.section	.AMDGPU.csdata,"",@progbits
; Kernel info:
; codeLenInByte = 0
; NumSgprs: 6
; NumVgprs: 0
; NumAgprs: 0
; TotalNumVgprs: 0
; ScratchSize: 0
; MemoryBound: 0
; FloatMode: 240
; IeeeMode: 1
; LDSByteSize: 0 bytes/workgroup (compile time only)
; SGPRBlocks: 0
; VGPRBlocks: 0
; NumSGPRsForWavesPerEU: 6
; NumVGPRsForWavesPerEU: 1
; AccumOffset: 4
; Occupancy: 8
; WaveLimiterHint : 0
; COMPUTE_PGM_RSRC2:SCRATCH_EN: 0
; COMPUTE_PGM_RSRC2:USER_SGPR: 2
; COMPUTE_PGM_RSRC2:TRAP_HANDLER: 0
; COMPUTE_PGM_RSRC2:TGID_X_EN: 1
; COMPUTE_PGM_RSRC2:TGID_Y_EN: 0
; COMPUTE_PGM_RSRC2:TGID_Z_EN: 0
; COMPUTE_PGM_RSRC2:TIDIG_COMP_CNT: 0
; COMPUTE_PGM_RSRC3_GFX90A:ACCUM_OFFSET: 0
; COMPUTE_PGM_RSRC3_GFX90A:TG_SPLIT: 0
	.section	.text._ZN7rocprim17ROCPRIM_400000_NS6detail17trampoline_kernelINS0_14default_configENS1_27scan_by_key_config_selectorIllEEZZNS1_16scan_by_key_implILNS1_25lookback_scan_determinismE0ELb0ES3_N6thrust23THRUST_200600_302600_NS16reverse_iteratorIPKlEESD_NSA_IPlEElN6hipcub16HIPCUB_304000_NS3MaxENSH_8EqualityElEE10hipError_tPvRmT2_T3_T4_T5_mT6_T7_P12ihipStream_tbENKUlT_T0_E_clISt17integral_constantIbLb1EESZ_IbLb0EEEEDaSV_SW_EUlSV_E_NS1_11comp_targetILNS1_3genE9ELNS1_11target_archE1100ELNS1_3gpuE3ELNS1_3repE0EEENS1_30default_config_static_selectorELNS0_4arch9wavefront6targetE1EEEvT1_,"axG",@progbits,_ZN7rocprim17ROCPRIM_400000_NS6detail17trampoline_kernelINS0_14default_configENS1_27scan_by_key_config_selectorIllEEZZNS1_16scan_by_key_implILNS1_25lookback_scan_determinismE0ELb0ES3_N6thrust23THRUST_200600_302600_NS16reverse_iteratorIPKlEESD_NSA_IPlEElN6hipcub16HIPCUB_304000_NS3MaxENSH_8EqualityElEE10hipError_tPvRmT2_T3_T4_T5_mT6_T7_P12ihipStream_tbENKUlT_T0_E_clISt17integral_constantIbLb1EESZ_IbLb0EEEEDaSV_SW_EUlSV_E_NS1_11comp_targetILNS1_3genE9ELNS1_11target_archE1100ELNS1_3gpuE3ELNS1_3repE0EEENS1_30default_config_static_selectorELNS0_4arch9wavefront6targetE1EEEvT1_,comdat
	.protected	_ZN7rocprim17ROCPRIM_400000_NS6detail17trampoline_kernelINS0_14default_configENS1_27scan_by_key_config_selectorIllEEZZNS1_16scan_by_key_implILNS1_25lookback_scan_determinismE0ELb0ES3_N6thrust23THRUST_200600_302600_NS16reverse_iteratorIPKlEESD_NSA_IPlEElN6hipcub16HIPCUB_304000_NS3MaxENSH_8EqualityElEE10hipError_tPvRmT2_T3_T4_T5_mT6_T7_P12ihipStream_tbENKUlT_T0_E_clISt17integral_constantIbLb1EESZ_IbLb0EEEEDaSV_SW_EUlSV_E_NS1_11comp_targetILNS1_3genE9ELNS1_11target_archE1100ELNS1_3gpuE3ELNS1_3repE0EEENS1_30default_config_static_selectorELNS0_4arch9wavefront6targetE1EEEvT1_ ; -- Begin function _ZN7rocprim17ROCPRIM_400000_NS6detail17trampoline_kernelINS0_14default_configENS1_27scan_by_key_config_selectorIllEEZZNS1_16scan_by_key_implILNS1_25lookback_scan_determinismE0ELb0ES3_N6thrust23THRUST_200600_302600_NS16reverse_iteratorIPKlEESD_NSA_IPlEElN6hipcub16HIPCUB_304000_NS3MaxENSH_8EqualityElEE10hipError_tPvRmT2_T3_T4_T5_mT6_T7_P12ihipStream_tbENKUlT_T0_E_clISt17integral_constantIbLb1EESZ_IbLb0EEEEDaSV_SW_EUlSV_E_NS1_11comp_targetILNS1_3genE9ELNS1_11target_archE1100ELNS1_3gpuE3ELNS1_3repE0EEENS1_30default_config_static_selectorELNS0_4arch9wavefront6targetE1EEEvT1_
	.globl	_ZN7rocprim17ROCPRIM_400000_NS6detail17trampoline_kernelINS0_14default_configENS1_27scan_by_key_config_selectorIllEEZZNS1_16scan_by_key_implILNS1_25lookback_scan_determinismE0ELb0ES3_N6thrust23THRUST_200600_302600_NS16reverse_iteratorIPKlEESD_NSA_IPlEElN6hipcub16HIPCUB_304000_NS3MaxENSH_8EqualityElEE10hipError_tPvRmT2_T3_T4_T5_mT6_T7_P12ihipStream_tbENKUlT_T0_E_clISt17integral_constantIbLb1EESZ_IbLb0EEEEDaSV_SW_EUlSV_E_NS1_11comp_targetILNS1_3genE9ELNS1_11target_archE1100ELNS1_3gpuE3ELNS1_3repE0EEENS1_30default_config_static_selectorELNS0_4arch9wavefront6targetE1EEEvT1_
	.p2align	8
	.type	_ZN7rocprim17ROCPRIM_400000_NS6detail17trampoline_kernelINS0_14default_configENS1_27scan_by_key_config_selectorIllEEZZNS1_16scan_by_key_implILNS1_25lookback_scan_determinismE0ELb0ES3_N6thrust23THRUST_200600_302600_NS16reverse_iteratorIPKlEESD_NSA_IPlEElN6hipcub16HIPCUB_304000_NS3MaxENSH_8EqualityElEE10hipError_tPvRmT2_T3_T4_T5_mT6_T7_P12ihipStream_tbENKUlT_T0_E_clISt17integral_constantIbLb1EESZ_IbLb0EEEEDaSV_SW_EUlSV_E_NS1_11comp_targetILNS1_3genE9ELNS1_11target_archE1100ELNS1_3gpuE3ELNS1_3repE0EEENS1_30default_config_static_selectorELNS0_4arch9wavefront6targetE1EEEvT1_,@function
_ZN7rocprim17ROCPRIM_400000_NS6detail17trampoline_kernelINS0_14default_configENS1_27scan_by_key_config_selectorIllEEZZNS1_16scan_by_key_implILNS1_25lookback_scan_determinismE0ELb0ES3_N6thrust23THRUST_200600_302600_NS16reverse_iteratorIPKlEESD_NSA_IPlEElN6hipcub16HIPCUB_304000_NS3MaxENSH_8EqualityElEE10hipError_tPvRmT2_T3_T4_T5_mT6_T7_P12ihipStream_tbENKUlT_T0_E_clISt17integral_constantIbLb1EESZ_IbLb0EEEEDaSV_SW_EUlSV_E_NS1_11comp_targetILNS1_3genE9ELNS1_11target_archE1100ELNS1_3gpuE3ELNS1_3repE0EEENS1_30default_config_static_selectorELNS0_4arch9wavefront6targetE1EEEvT1_: ; @_ZN7rocprim17ROCPRIM_400000_NS6detail17trampoline_kernelINS0_14default_configENS1_27scan_by_key_config_selectorIllEEZZNS1_16scan_by_key_implILNS1_25lookback_scan_determinismE0ELb0ES3_N6thrust23THRUST_200600_302600_NS16reverse_iteratorIPKlEESD_NSA_IPlEElN6hipcub16HIPCUB_304000_NS3MaxENSH_8EqualityElEE10hipError_tPvRmT2_T3_T4_T5_mT6_T7_P12ihipStream_tbENKUlT_T0_E_clISt17integral_constantIbLb1EESZ_IbLb0EEEEDaSV_SW_EUlSV_E_NS1_11comp_targetILNS1_3genE9ELNS1_11target_archE1100ELNS1_3gpuE3ELNS1_3repE0EEENS1_30default_config_static_selectorELNS0_4arch9wavefront6targetE1EEEvT1_
; %bb.0:
	.section	.rodata,"a",@progbits
	.p2align	6, 0x0
	.amdhsa_kernel _ZN7rocprim17ROCPRIM_400000_NS6detail17trampoline_kernelINS0_14default_configENS1_27scan_by_key_config_selectorIllEEZZNS1_16scan_by_key_implILNS1_25lookback_scan_determinismE0ELb0ES3_N6thrust23THRUST_200600_302600_NS16reverse_iteratorIPKlEESD_NSA_IPlEElN6hipcub16HIPCUB_304000_NS3MaxENSH_8EqualityElEE10hipError_tPvRmT2_T3_T4_T5_mT6_T7_P12ihipStream_tbENKUlT_T0_E_clISt17integral_constantIbLb1EESZ_IbLb0EEEEDaSV_SW_EUlSV_E_NS1_11comp_targetILNS1_3genE9ELNS1_11target_archE1100ELNS1_3gpuE3ELNS1_3repE0EEENS1_30default_config_static_selectorELNS0_4arch9wavefront6targetE1EEEvT1_
		.amdhsa_group_segment_fixed_size 0
		.amdhsa_private_segment_fixed_size 0
		.amdhsa_kernarg_size 136
		.amdhsa_user_sgpr_count 2
		.amdhsa_user_sgpr_dispatch_ptr 0
		.amdhsa_user_sgpr_queue_ptr 0
		.amdhsa_user_sgpr_kernarg_segment_ptr 1
		.amdhsa_user_sgpr_dispatch_id 0
		.amdhsa_user_sgpr_kernarg_preload_length 0
		.amdhsa_user_sgpr_kernarg_preload_offset 0
		.amdhsa_user_sgpr_private_segment_size 0
		.amdhsa_uses_dynamic_stack 0
		.amdhsa_enable_private_segment 0
		.amdhsa_system_sgpr_workgroup_id_x 1
		.amdhsa_system_sgpr_workgroup_id_y 0
		.amdhsa_system_sgpr_workgroup_id_z 0
		.amdhsa_system_sgpr_workgroup_info 0
		.amdhsa_system_vgpr_workitem_id 0
		.amdhsa_next_free_vgpr 1
		.amdhsa_next_free_sgpr 0
		.amdhsa_accum_offset 4
		.amdhsa_reserve_vcc 0
		.amdhsa_float_round_mode_32 0
		.amdhsa_float_round_mode_16_64 0
		.amdhsa_float_denorm_mode_32 3
		.amdhsa_float_denorm_mode_16_64 3
		.amdhsa_dx10_clamp 1
		.amdhsa_ieee_mode 1
		.amdhsa_fp16_overflow 0
		.amdhsa_tg_split 0
		.amdhsa_exception_fp_ieee_invalid_op 0
		.amdhsa_exception_fp_denorm_src 0
		.amdhsa_exception_fp_ieee_div_zero 0
		.amdhsa_exception_fp_ieee_overflow 0
		.amdhsa_exception_fp_ieee_underflow 0
		.amdhsa_exception_fp_ieee_inexact 0
		.amdhsa_exception_int_div_zero 0
	.end_amdhsa_kernel
	.section	.text._ZN7rocprim17ROCPRIM_400000_NS6detail17trampoline_kernelINS0_14default_configENS1_27scan_by_key_config_selectorIllEEZZNS1_16scan_by_key_implILNS1_25lookback_scan_determinismE0ELb0ES3_N6thrust23THRUST_200600_302600_NS16reverse_iteratorIPKlEESD_NSA_IPlEElN6hipcub16HIPCUB_304000_NS3MaxENSH_8EqualityElEE10hipError_tPvRmT2_T3_T4_T5_mT6_T7_P12ihipStream_tbENKUlT_T0_E_clISt17integral_constantIbLb1EESZ_IbLb0EEEEDaSV_SW_EUlSV_E_NS1_11comp_targetILNS1_3genE9ELNS1_11target_archE1100ELNS1_3gpuE3ELNS1_3repE0EEENS1_30default_config_static_selectorELNS0_4arch9wavefront6targetE1EEEvT1_,"axG",@progbits,_ZN7rocprim17ROCPRIM_400000_NS6detail17trampoline_kernelINS0_14default_configENS1_27scan_by_key_config_selectorIllEEZZNS1_16scan_by_key_implILNS1_25lookback_scan_determinismE0ELb0ES3_N6thrust23THRUST_200600_302600_NS16reverse_iteratorIPKlEESD_NSA_IPlEElN6hipcub16HIPCUB_304000_NS3MaxENSH_8EqualityElEE10hipError_tPvRmT2_T3_T4_T5_mT6_T7_P12ihipStream_tbENKUlT_T0_E_clISt17integral_constantIbLb1EESZ_IbLb0EEEEDaSV_SW_EUlSV_E_NS1_11comp_targetILNS1_3genE9ELNS1_11target_archE1100ELNS1_3gpuE3ELNS1_3repE0EEENS1_30default_config_static_selectorELNS0_4arch9wavefront6targetE1EEEvT1_,comdat
.Lfunc_end164:
	.size	_ZN7rocprim17ROCPRIM_400000_NS6detail17trampoline_kernelINS0_14default_configENS1_27scan_by_key_config_selectorIllEEZZNS1_16scan_by_key_implILNS1_25lookback_scan_determinismE0ELb0ES3_N6thrust23THRUST_200600_302600_NS16reverse_iteratorIPKlEESD_NSA_IPlEElN6hipcub16HIPCUB_304000_NS3MaxENSH_8EqualityElEE10hipError_tPvRmT2_T3_T4_T5_mT6_T7_P12ihipStream_tbENKUlT_T0_E_clISt17integral_constantIbLb1EESZ_IbLb0EEEEDaSV_SW_EUlSV_E_NS1_11comp_targetILNS1_3genE9ELNS1_11target_archE1100ELNS1_3gpuE3ELNS1_3repE0EEENS1_30default_config_static_selectorELNS0_4arch9wavefront6targetE1EEEvT1_, .Lfunc_end164-_ZN7rocprim17ROCPRIM_400000_NS6detail17trampoline_kernelINS0_14default_configENS1_27scan_by_key_config_selectorIllEEZZNS1_16scan_by_key_implILNS1_25lookback_scan_determinismE0ELb0ES3_N6thrust23THRUST_200600_302600_NS16reverse_iteratorIPKlEESD_NSA_IPlEElN6hipcub16HIPCUB_304000_NS3MaxENSH_8EqualityElEE10hipError_tPvRmT2_T3_T4_T5_mT6_T7_P12ihipStream_tbENKUlT_T0_E_clISt17integral_constantIbLb1EESZ_IbLb0EEEEDaSV_SW_EUlSV_E_NS1_11comp_targetILNS1_3genE9ELNS1_11target_archE1100ELNS1_3gpuE3ELNS1_3repE0EEENS1_30default_config_static_selectorELNS0_4arch9wavefront6targetE1EEEvT1_
                                        ; -- End function
	.section	.AMDGPU.csdata,"",@progbits
; Kernel info:
; codeLenInByte = 0
; NumSgprs: 6
; NumVgprs: 0
; NumAgprs: 0
; TotalNumVgprs: 0
; ScratchSize: 0
; MemoryBound: 0
; FloatMode: 240
; IeeeMode: 1
; LDSByteSize: 0 bytes/workgroup (compile time only)
; SGPRBlocks: 0
; VGPRBlocks: 0
; NumSGPRsForWavesPerEU: 6
; NumVGPRsForWavesPerEU: 1
; AccumOffset: 4
; Occupancy: 8
; WaveLimiterHint : 0
; COMPUTE_PGM_RSRC2:SCRATCH_EN: 0
; COMPUTE_PGM_RSRC2:USER_SGPR: 2
; COMPUTE_PGM_RSRC2:TRAP_HANDLER: 0
; COMPUTE_PGM_RSRC2:TGID_X_EN: 1
; COMPUTE_PGM_RSRC2:TGID_Y_EN: 0
; COMPUTE_PGM_RSRC2:TGID_Z_EN: 0
; COMPUTE_PGM_RSRC2:TIDIG_COMP_CNT: 0
; COMPUTE_PGM_RSRC3_GFX90A:ACCUM_OFFSET: 0
; COMPUTE_PGM_RSRC3_GFX90A:TG_SPLIT: 0
	.section	.text._ZN7rocprim17ROCPRIM_400000_NS6detail17trampoline_kernelINS0_14default_configENS1_27scan_by_key_config_selectorIllEEZZNS1_16scan_by_key_implILNS1_25lookback_scan_determinismE0ELb0ES3_N6thrust23THRUST_200600_302600_NS16reverse_iteratorIPKlEESD_NSA_IPlEElN6hipcub16HIPCUB_304000_NS3MaxENSH_8EqualityElEE10hipError_tPvRmT2_T3_T4_T5_mT6_T7_P12ihipStream_tbENKUlT_T0_E_clISt17integral_constantIbLb1EESZ_IbLb0EEEEDaSV_SW_EUlSV_E_NS1_11comp_targetILNS1_3genE8ELNS1_11target_archE1030ELNS1_3gpuE2ELNS1_3repE0EEENS1_30default_config_static_selectorELNS0_4arch9wavefront6targetE1EEEvT1_,"axG",@progbits,_ZN7rocprim17ROCPRIM_400000_NS6detail17trampoline_kernelINS0_14default_configENS1_27scan_by_key_config_selectorIllEEZZNS1_16scan_by_key_implILNS1_25lookback_scan_determinismE0ELb0ES3_N6thrust23THRUST_200600_302600_NS16reverse_iteratorIPKlEESD_NSA_IPlEElN6hipcub16HIPCUB_304000_NS3MaxENSH_8EqualityElEE10hipError_tPvRmT2_T3_T4_T5_mT6_T7_P12ihipStream_tbENKUlT_T0_E_clISt17integral_constantIbLb1EESZ_IbLb0EEEEDaSV_SW_EUlSV_E_NS1_11comp_targetILNS1_3genE8ELNS1_11target_archE1030ELNS1_3gpuE2ELNS1_3repE0EEENS1_30default_config_static_selectorELNS0_4arch9wavefront6targetE1EEEvT1_,comdat
	.protected	_ZN7rocprim17ROCPRIM_400000_NS6detail17trampoline_kernelINS0_14default_configENS1_27scan_by_key_config_selectorIllEEZZNS1_16scan_by_key_implILNS1_25lookback_scan_determinismE0ELb0ES3_N6thrust23THRUST_200600_302600_NS16reverse_iteratorIPKlEESD_NSA_IPlEElN6hipcub16HIPCUB_304000_NS3MaxENSH_8EqualityElEE10hipError_tPvRmT2_T3_T4_T5_mT6_T7_P12ihipStream_tbENKUlT_T0_E_clISt17integral_constantIbLb1EESZ_IbLb0EEEEDaSV_SW_EUlSV_E_NS1_11comp_targetILNS1_3genE8ELNS1_11target_archE1030ELNS1_3gpuE2ELNS1_3repE0EEENS1_30default_config_static_selectorELNS0_4arch9wavefront6targetE1EEEvT1_ ; -- Begin function _ZN7rocprim17ROCPRIM_400000_NS6detail17trampoline_kernelINS0_14default_configENS1_27scan_by_key_config_selectorIllEEZZNS1_16scan_by_key_implILNS1_25lookback_scan_determinismE0ELb0ES3_N6thrust23THRUST_200600_302600_NS16reverse_iteratorIPKlEESD_NSA_IPlEElN6hipcub16HIPCUB_304000_NS3MaxENSH_8EqualityElEE10hipError_tPvRmT2_T3_T4_T5_mT6_T7_P12ihipStream_tbENKUlT_T0_E_clISt17integral_constantIbLb1EESZ_IbLb0EEEEDaSV_SW_EUlSV_E_NS1_11comp_targetILNS1_3genE8ELNS1_11target_archE1030ELNS1_3gpuE2ELNS1_3repE0EEENS1_30default_config_static_selectorELNS0_4arch9wavefront6targetE1EEEvT1_
	.globl	_ZN7rocprim17ROCPRIM_400000_NS6detail17trampoline_kernelINS0_14default_configENS1_27scan_by_key_config_selectorIllEEZZNS1_16scan_by_key_implILNS1_25lookback_scan_determinismE0ELb0ES3_N6thrust23THRUST_200600_302600_NS16reverse_iteratorIPKlEESD_NSA_IPlEElN6hipcub16HIPCUB_304000_NS3MaxENSH_8EqualityElEE10hipError_tPvRmT2_T3_T4_T5_mT6_T7_P12ihipStream_tbENKUlT_T0_E_clISt17integral_constantIbLb1EESZ_IbLb0EEEEDaSV_SW_EUlSV_E_NS1_11comp_targetILNS1_3genE8ELNS1_11target_archE1030ELNS1_3gpuE2ELNS1_3repE0EEENS1_30default_config_static_selectorELNS0_4arch9wavefront6targetE1EEEvT1_
	.p2align	8
	.type	_ZN7rocprim17ROCPRIM_400000_NS6detail17trampoline_kernelINS0_14default_configENS1_27scan_by_key_config_selectorIllEEZZNS1_16scan_by_key_implILNS1_25lookback_scan_determinismE0ELb0ES3_N6thrust23THRUST_200600_302600_NS16reverse_iteratorIPKlEESD_NSA_IPlEElN6hipcub16HIPCUB_304000_NS3MaxENSH_8EqualityElEE10hipError_tPvRmT2_T3_T4_T5_mT6_T7_P12ihipStream_tbENKUlT_T0_E_clISt17integral_constantIbLb1EESZ_IbLb0EEEEDaSV_SW_EUlSV_E_NS1_11comp_targetILNS1_3genE8ELNS1_11target_archE1030ELNS1_3gpuE2ELNS1_3repE0EEENS1_30default_config_static_selectorELNS0_4arch9wavefront6targetE1EEEvT1_,@function
_ZN7rocprim17ROCPRIM_400000_NS6detail17trampoline_kernelINS0_14default_configENS1_27scan_by_key_config_selectorIllEEZZNS1_16scan_by_key_implILNS1_25lookback_scan_determinismE0ELb0ES3_N6thrust23THRUST_200600_302600_NS16reverse_iteratorIPKlEESD_NSA_IPlEElN6hipcub16HIPCUB_304000_NS3MaxENSH_8EqualityElEE10hipError_tPvRmT2_T3_T4_T5_mT6_T7_P12ihipStream_tbENKUlT_T0_E_clISt17integral_constantIbLb1EESZ_IbLb0EEEEDaSV_SW_EUlSV_E_NS1_11comp_targetILNS1_3genE8ELNS1_11target_archE1030ELNS1_3gpuE2ELNS1_3repE0EEENS1_30default_config_static_selectorELNS0_4arch9wavefront6targetE1EEEvT1_: ; @_ZN7rocprim17ROCPRIM_400000_NS6detail17trampoline_kernelINS0_14default_configENS1_27scan_by_key_config_selectorIllEEZZNS1_16scan_by_key_implILNS1_25lookback_scan_determinismE0ELb0ES3_N6thrust23THRUST_200600_302600_NS16reverse_iteratorIPKlEESD_NSA_IPlEElN6hipcub16HIPCUB_304000_NS3MaxENSH_8EqualityElEE10hipError_tPvRmT2_T3_T4_T5_mT6_T7_P12ihipStream_tbENKUlT_T0_E_clISt17integral_constantIbLb1EESZ_IbLb0EEEEDaSV_SW_EUlSV_E_NS1_11comp_targetILNS1_3genE8ELNS1_11target_archE1030ELNS1_3gpuE2ELNS1_3repE0EEENS1_30default_config_static_selectorELNS0_4arch9wavefront6targetE1EEEvT1_
; %bb.0:
	.section	.rodata,"a",@progbits
	.p2align	6, 0x0
	.amdhsa_kernel _ZN7rocprim17ROCPRIM_400000_NS6detail17trampoline_kernelINS0_14default_configENS1_27scan_by_key_config_selectorIllEEZZNS1_16scan_by_key_implILNS1_25lookback_scan_determinismE0ELb0ES3_N6thrust23THRUST_200600_302600_NS16reverse_iteratorIPKlEESD_NSA_IPlEElN6hipcub16HIPCUB_304000_NS3MaxENSH_8EqualityElEE10hipError_tPvRmT2_T3_T4_T5_mT6_T7_P12ihipStream_tbENKUlT_T0_E_clISt17integral_constantIbLb1EESZ_IbLb0EEEEDaSV_SW_EUlSV_E_NS1_11comp_targetILNS1_3genE8ELNS1_11target_archE1030ELNS1_3gpuE2ELNS1_3repE0EEENS1_30default_config_static_selectorELNS0_4arch9wavefront6targetE1EEEvT1_
		.amdhsa_group_segment_fixed_size 0
		.amdhsa_private_segment_fixed_size 0
		.amdhsa_kernarg_size 136
		.amdhsa_user_sgpr_count 2
		.amdhsa_user_sgpr_dispatch_ptr 0
		.amdhsa_user_sgpr_queue_ptr 0
		.amdhsa_user_sgpr_kernarg_segment_ptr 1
		.amdhsa_user_sgpr_dispatch_id 0
		.amdhsa_user_sgpr_kernarg_preload_length 0
		.amdhsa_user_sgpr_kernarg_preload_offset 0
		.amdhsa_user_sgpr_private_segment_size 0
		.amdhsa_uses_dynamic_stack 0
		.amdhsa_enable_private_segment 0
		.amdhsa_system_sgpr_workgroup_id_x 1
		.amdhsa_system_sgpr_workgroup_id_y 0
		.amdhsa_system_sgpr_workgroup_id_z 0
		.amdhsa_system_sgpr_workgroup_info 0
		.amdhsa_system_vgpr_workitem_id 0
		.amdhsa_next_free_vgpr 1
		.amdhsa_next_free_sgpr 0
		.amdhsa_accum_offset 4
		.amdhsa_reserve_vcc 0
		.amdhsa_float_round_mode_32 0
		.amdhsa_float_round_mode_16_64 0
		.amdhsa_float_denorm_mode_32 3
		.amdhsa_float_denorm_mode_16_64 3
		.amdhsa_dx10_clamp 1
		.amdhsa_ieee_mode 1
		.amdhsa_fp16_overflow 0
		.amdhsa_tg_split 0
		.amdhsa_exception_fp_ieee_invalid_op 0
		.amdhsa_exception_fp_denorm_src 0
		.amdhsa_exception_fp_ieee_div_zero 0
		.amdhsa_exception_fp_ieee_overflow 0
		.amdhsa_exception_fp_ieee_underflow 0
		.amdhsa_exception_fp_ieee_inexact 0
		.amdhsa_exception_int_div_zero 0
	.end_amdhsa_kernel
	.section	.text._ZN7rocprim17ROCPRIM_400000_NS6detail17trampoline_kernelINS0_14default_configENS1_27scan_by_key_config_selectorIllEEZZNS1_16scan_by_key_implILNS1_25lookback_scan_determinismE0ELb0ES3_N6thrust23THRUST_200600_302600_NS16reverse_iteratorIPKlEESD_NSA_IPlEElN6hipcub16HIPCUB_304000_NS3MaxENSH_8EqualityElEE10hipError_tPvRmT2_T3_T4_T5_mT6_T7_P12ihipStream_tbENKUlT_T0_E_clISt17integral_constantIbLb1EESZ_IbLb0EEEEDaSV_SW_EUlSV_E_NS1_11comp_targetILNS1_3genE8ELNS1_11target_archE1030ELNS1_3gpuE2ELNS1_3repE0EEENS1_30default_config_static_selectorELNS0_4arch9wavefront6targetE1EEEvT1_,"axG",@progbits,_ZN7rocprim17ROCPRIM_400000_NS6detail17trampoline_kernelINS0_14default_configENS1_27scan_by_key_config_selectorIllEEZZNS1_16scan_by_key_implILNS1_25lookback_scan_determinismE0ELb0ES3_N6thrust23THRUST_200600_302600_NS16reverse_iteratorIPKlEESD_NSA_IPlEElN6hipcub16HIPCUB_304000_NS3MaxENSH_8EqualityElEE10hipError_tPvRmT2_T3_T4_T5_mT6_T7_P12ihipStream_tbENKUlT_T0_E_clISt17integral_constantIbLb1EESZ_IbLb0EEEEDaSV_SW_EUlSV_E_NS1_11comp_targetILNS1_3genE8ELNS1_11target_archE1030ELNS1_3gpuE2ELNS1_3repE0EEENS1_30default_config_static_selectorELNS0_4arch9wavefront6targetE1EEEvT1_,comdat
.Lfunc_end165:
	.size	_ZN7rocprim17ROCPRIM_400000_NS6detail17trampoline_kernelINS0_14default_configENS1_27scan_by_key_config_selectorIllEEZZNS1_16scan_by_key_implILNS1_25lookback_scan_determinismE0ELb0ES3_N6thrust23THRUST_200600_302600_NS16reverse_iteratorIPKlEESD_NSA_IPlEElN6hipcub16HIPCUB_304000_NS3MaxENSH_8EqualityElEE10hipError_tPvRmT2_T3_T4_T5_mT6_T7_P12ihipStream_tbENKUlT_T0_E_clISt17integral_constantIbLb1EESZ_IbLb0EEEEDaSV_SW_EUlSV_E_NS1_11comp_targetILNS1_3genE8ELNS1_11target_archE1030ELNS1_3gpuE2ELNS1_3repE0EEENS1_30default_config_static_selectorELNS0_4arch9wavefront6targetE1EEEvT1_, .Lfunc_end165-_ZN7rocprim17ROCPRIM_400000_NS6detail17trampoline_kernelINS0_14default_configENS1_27scan_by_key_config_selectorIllEEZZNS1_16scan_by_key_implILNS1_25lookback_scan_determinismE0ELb0ES3_N6thrust23THRUST_200600_302600_NS16reverse_iteratorIPKlEESD_NSA_IPlEElN6hipcub16HIPCUB_304000_NS3MaxENSH_8EqualityElEE10hipError_tPvRmT2_T3_T4_T5_mT6_T7_P12ihipStream_tbENKUlT_T0_E_clISt17integral_constantIbLb1EESZ_IbLb0EEEEDaSV_SW_EUlSV_E_NS1_11comp_targetILNS1_3genE8ELNS1_11target_archE1030ELNS1_3gpuE2ELNS1_3repE0EEENS1_30default_config_static_selectorELNS0_4arch9wavefront6targetE1EEEvT1_
                                        ; -- End function
	.section	.AMDGPU.csdata,"",@progbits
; Kernel info:
; codeLenInByte = 0
; NumSgprs: 6
; NumVgprs: 0
; NumAgprs: 0
; TotalNumVgprs: 0
; ScratchSize: 0
; MemoryBound: 0
; FloatMode: 240
; IeeeMode: 1
; LDSByteSize: 0 bytes/workgroup (compile time only)
; SGPRBlocks: 0
; VGPRBlocks: 0
; NumSGPRsForWavesPerEU: 6
; NumVGPRsForWavesPerEU: 1
; AccumOffset: 4
; Occupancy: 8
; WaveLimiterHint : 0
; COMPUTE_PGM_RSRC2:SCRATCH_EN: 0
; COMPUTE_PGM_RSRC2:USER_SGPR: 2
; COMPUTE_PGM_RSRC2:TRAP_HANDLER: 0
; COMPUTE_PGM_RSRC2:TGID_X_EN: 1
; COMPUTE_PGM_RSRC2:TGID_Y_EN: 0
; COMPUTE_PGM_RSRC2:TGID_Z_EN: 0
; COMPUTE_PGM_RSRC2:TIDIG_COMP_CNT: 0
; COMPUTE_PGM_RSRC3_GFX90A:ACCUM_OFFSET: 0
; COMPUTE_PGM_RSRC3_GFX90A:TG_SPLIT: 0
	.section	.text._ZN7rocprim17ROCPRIM_400000_NS6detail30init_device_scan_by_key_kernelINS1_19lookback_scan_stateINS0_5tupleIJlbEEELb0ELb0EEEN6thrust23THRUST_200600_302600_NS16reverse_iteratorIPKlEEjNS1_16block_id_wrapperIjLb1EEEEEvT_jjPNSF_10value_typeET0_PNSt15iterator_traitsISI_E10value_typeEmT1_T2_,"axG",@progbits,_ZN7rocprim17ROCPRIM_400000_NS6detail30init_device_scan_by_key_kernelINS1_19lookback_scan_stateINS0_5tupleIJlbEEELb0ELb0EEEN6thrust23THRUST_200600_302600_NS16reverse_iteratorIPKlEEjNS1_16block_id_wrapperIjLb1EEEEEvT_jjPNSF_10value_typeET0_PNSt15iterator_traitsISI_E10value_typeEmT1_T2_,comdat
	.protected	_ZN7rocprim17ROCPRIM_400000_NS6detail30init_device_scan_by_key_kernelINS1_19lookback_scan_stateINS0_5tupleIJlbEEELb0ELb0EEEN6thrust23THRUST_200600_302600_NS16reverse_iteratorIPKlEEjNS1_16block_id_wrapperIjLb1EEEEEvT_jjPNSF_10value_typeET0_PNSt15iterator_traitsISI_E10value_typeEmT1_T2_ ; -- Begin function _ZN7rocprim17ROCPRIM_400000_NS6detail30init_device_scan_by_key_kernelINS1_19lookback_scan_stateINS0_5tupleIJlbEEELb0ELb0EEEN6thrust23THRUST_200600_302600_NS16reverse_iteratorIPKlEEjNS1_16block_id_wrapperIjLb1EEEEEvT_jjPNSF_10value_typeET0_PNSt15iterator_traitsISI_E10value_typeEmT1_T2_
	.globl	_ZN7rocprim17ROCPRIM_400000_NS6detail30init_device_scan_by_key_kernelINS1_19lookback_scan_stateINS0_5tupleIJlbEEELb0ELb0EEEN6thrust23THRUST_200600_302600_NS16reverse_iteratorIPKlEEjNS1_16block_id_wrapperIjLb1EEEEEvT_jjPNSF_10value_typeET0_PNSt15iterator_traitsISI_E10value_typeEmT1_T2_
	.p2align	8
	.type	_ZN7rocprim17ROCPRIM_400000_NS6detail30init_device_scan_by_key_kernelINS1_19lookback_scan_stateINS0_5tupleIJlbEEELb0ELb0EEEN6thrust23THRUST_200600_302600_NS16reverse_iteratorIPKlEEjNS1_16block_id_wrapperIjLb1EEEEEvT_jjPNSF_10value_typeET0_PNSt15iterator_traitsISI_E10value_typeEmT1_T2_,@function
_ZN7rocprim17ROCPRIM_400000_NS6detail30init_device_scan_by_key_kernelINS1_19lookback_scan_stateINS0_5tupleIJlbEEELb0ELb0EEEN6thrust23THRUST_200600_302600_NS16reverse_iteratorIPKlEEjNS1_16block_id_wrapperIjLb1EEEEEvT_jjPNSF_10value_typeET0_PNSt15iterator_traitsISI_E10value_typeEmT1_T2_: ; @_ZN7rocprim17ROCPRIM_400000_NS6detail30init_device_scan_by_key_kernelINS1_19lookback_scan_stateINS0_5tupleIJlbEEELb0ELb0EEEN6thrust23THRUST_200600_302600_NS16reverse_iteratorIPKlEEjNS1_16block_id_wrapperIjLb1EEEEEvT_jjPNSF_10value_typeET0_PNSt15iterator_traitsISI_E10value_typeEmT1_T2_
; %bb.0:
	s_load_dword s3, s[0:1], 0x5c
	s_load_dwordx8 s[4:11], s[0:1], 0x10
	s_load_dword s20, s[0:1], 0x50
	s_waitcnt lgkmcnt(0)
	s_and_b32 s21, s3, 0xffff
	s_mul_i32 s2, s2, s21
	s_cmp_eq_u64 s[8:9], 0
	v_add_u32_e32 v0, s2, v0
	s_cbranch_scc1 .LBB166_7
; %bb.1:
	s_cmp_lt_u32 s7, s6
	s_cselect_b32 s2, s7, 0
	s_mov_b32 s17, 0
	v_cmp_eq_u32_e32 vcc, s2, v0
	s_and_saveexec_b64 s[2:3], vcc
	s_cbranch_execz .LBB166_6
; %bb.2:
	s_add_i32 s16, s7, 64
	v_mov_b32_e32 v1, s16
	global_load_ubyte v1, v1, s[4:5] sc1
	s_load_dwordx4 s[12:15], s[0:1], 0x0
	s_add_u32 s18, s4, s16
	s_addc_u32 s19, s5, 0
	s_waitcnt vmcnt(0)
	v_cmp_ne_u16_e32 vcc, 0, v1
	v_readfirstlane_b32 s7, v1
	s_cbranch_vccnz .LBB166_5
; %bb.3:
	v_mov_b32_e32 v1, 0
.LBB166_4:                              ; =>This Inner Loop Header: Depth=1
	global_load_ubyte v2, v1, s[18:19] sc1
	s_waitcnt vmcnt(0)
	v_cmp_eq_u16_e32 vcc, 0, v2
	v_readfirstlane_b32 s7, v2
	s_cbranch_vccnz .LBB166_4
.LBB166_5:
	s_and_b32 s7, 0xffff, s7
	s_cmp_eq_u32 s7, 1
	s_waitcnt lgkmcnt(0)
	s_cselect_b32 s7, s13, s15
	s_cselect_b32 s14, s12, s14
	s_lshl_b64 s[12:13], s[16:17], 4
	s_add_u32 s12, s14, s12
	s_addc_u32 s13, s7, s13
	v_mov_b32_e32 v1, 0
	s_waitcnt vmcnt(0)
	global_load_dword v2, v1, s[12:13] sc1
	global_load_dword v3, v1, s[12:13] offset:4 sc1
	global_load_dword v4, v1, s[12:13] offset:8 sc1
	;; [unrolled: 1-line block ×3, first 2 shown]
	s_waitcnt vmcnt(2)
	global_store_dwordx2 v1, v[2:3], s[8:9]
	s_waitcnt vmcnt(2)
	global_store_byte v1, v4, s[8:9] offset:8
.LBB166_6:
	s_or_b64 exec, exec, s[2:3]
.LBB166_7:
	v_cmp_eq_u32_e32 vcc, 0, v0
	s_and_saveexec_b64 s[2:3], vcc
	s_cbranch_execz .LBB166_9
; %bb.8:
	s_load_dwordx2 s[8:9], s[0:1], 0x48
	v_mov_b32_e32 v1, 0
	s_waitcnt lgkmcnt(0)
	global_store_dword v1, v1, s[8:9]
.LBB166_9:
	s_or_b64 exec, exec, s[2:3]
	v_cmp_gt_u32_e32 vcc, s6, v0
	s_and_saveexec_b64 s[2:3], vcc
	s_cbranch_execz .LBB166_11
; %bb.10:
	v_add_u32_e32 v1, 64, v0
	v_mov_b32_e32 v2, 0
	global_store_byte v1, v2, s[4:5]
.LBB166_11:
	s_or_b64 exec, exec, s[2:3]
	v_cmp_gt_u32_e32 vcc, 64, v0
	v_mov_b32_e32 v1, 0
	s_and_saveexec_b64 s[2:3], vcc
	s_cbranch_execz .LBB166_13
; %bb.12:
	v_lshl_add_u64 v[2:3], s[4:5], 0, v[0:1]
	v_mov_b32_e32 v4, 0xff
	global_store_byte v[2:3], v4, off
.LBB166_13:
	s_or_b64 exec, exec, s[2:3]
	s_load_dwordx2 s[2:3], s[0:1], 0x38
	s_waitcnt lgkmcnt(0)
	v_cmp_gt_u64_e32 vcc, s[2:3], v[0:1]
	s_and_saveexec_b64 s[4:5], vcc
	s_cbranch_execz .LBB166_16
; %bb.14:
	s_load_dword s6, s[0:1], 0x40
	s_load_dwordx2 s[8:9], s[0:1], 0x30
	v_mov_b32_e32 v3, 0
	s_mul_i32 s0, s20, s21
	v_mov_b32_e32 v4, s11
	s_waitcnt lgkmcnt(0)
	s_add_i32 s4, s6, -1
	v_mov_b32_e32 v2, s4
	v_mad_u64_u32 v[2:3], s[4:5], s6, v0, v[2:3]
	v_lshlrev_b64 v[2:3], 3, v[2:3]
	s_mul_hi_u32 s5, s6, s0
	s_mul_i32 s4, s6, s0
	v_sub_co_u32_e32 v2, vcc, s10, v2
	s_lshl_b64 s[6:7], s[4:5], 3
	s_mov_b32 s1, 0
	v_subb_co_u32_e32 v3, vcc, v4, v3, vcc
	s_sub_u32 s6, 0, s6
	v_lshl_add_u64 v[2:3], v[2:3], 0, -8
	s_mov_b64 s[4:5], 0
	s_subb_u32 s7, 0, s7
	s_waitcnt vmcnt(2)
	v_lshl_add_u64 v[4:5], v[0:1], 3, s[8:9]
	s_lshl_b64 s[8:9], s[0:1], 3
.LBB166_15:                             ; =>This Inner Loop Header: Depth=1
	global_load_dwordx2 v[6:7], v[2:3], off
	v_lshl_add_u64 v[0:1], v[0:1], 0, s[0:1]
	v_cmp_le_u64_e32 vcc, s[2:3], v[0:1]
	v_lshl_add_u64 v[2:3], v[2:3], 0, s[6:7]
	s_or_b64 s[4:5], vcc, s[4:5]
	s_waitcnt vmcnt(0)
	global_store_dwordx2 v[4:5], v[6:7], off
	v_lshl_add_u64 v[4:5], v[4:5], 0, s[8:9]
	s_andn2_b64 exec, exec, s[4:5]
	s_cbranch_execnz .LBB166_15
.LBB166_16:
	s_endpgm
	.section	.rodata,"a",@progbits
	.p2align	6, 0x0
	.amdhsa_kernel _ZN7rocprim17ROCPRIM_400000_NS6detail30init_device_scan_by_key_kernelINS1_19lookback_scan_stateINS0_5tupleIJlbEEELb0ELb0EEEN6thrust23THRUST_200600_302600_NS16reverse_iteratorIPKlEEjNS1_16block_id_wrapperIjLb1EEEEEvT_jjPNSF_10value_typeET0_PNSt15iterator_traitsISI_E10value_typeEmT1_T2_
		.amdhsa_group_segment_fixed_size 0
		.amdhsa_private_segment_fixed_size 0
		.amdhsa_kernarg_size 336
		.amdhsa_user_sgpr_count 2
		.amdhsa_user_sgpr_dispatch_ptr 0
		.amdhsa_user_sgpr_queue_ptr 0
		.amdhsa_user_sgpr_kernarg_segment_ptr 1
		.amdhsa_user_sgpr_dispatch_id 0
		.amdhsa_user_sgpr_kernarg_preload_length 0
		.amdhsa_user_sgpr_kernarg_preload_offset 0
		.amdhsa_user_sgpr_private_segment_size 0
		.amdhsa_uses_dynamic_stack 0
		.amdhsa_enable_private_segment 0
		.amdhsa_system_sgpr_workgroup_id_x 1
		.amdhsa_system_sgpr_workgroup_id_y 0
		.amdhsa_system_sgpr_workgroup_id_z 0
		.amdhsa_system_sgpr_workgroup_info 0
		.amdhsa_system_vgpr_workitem_id 0
		.amdhsa_next_free_vgpr 8
		.amdhsa_next_free_sgpr 22
		.amdhsa_accum_offset 8
		.amdhsa_reserve_vcc 1
		.amdhsa_float_round_mode_32 0
		.amdhsa_float_round_mode_16_64 0
		.amdhsa_float_denorm_mode_32 3
		.amdhsa_float_denorm_mode_16_64 3
		.amdhsa_dx10_clamp 1
		.amdhsa_ieee_mode 1
		.amdhsa_fp16_overflow 0
		.amdhsa_tg_split 0
		.amdhsa_exception_fp_ieee_invalid_op 0
		.amdhsa_exception_fp_denorm_src 0
		.amdhsa_exception_fp_ieee_div_zero 0
		.amdhsa_exception_fp_ieee_overflow 0
		.amdhsa_exception_fp_ieee_underflow 0
		.amdhsa_exception_fp_ieee_inexact 0
		.amdhsa_exception_int_div_zero 0
	.end_amdhsa_kernel
	.section	.text._ZN7rocprim17ROCPRIM_400000_NS6detail30init_device_scan_by_key_kernelINS1_19lookback_scan_stateINS0_5tupleIJlbEEELb0ELb0EEEN6thrust23THRUST_200600_302600_NS16reverse_iteratorIPKlEEjNS1_16block_id_wrapperIjLb1EEEEEvT_jjPNSF_10value_typeET0_PNSt15iterator_traitsISI_E10value_typeEmT1_T2_,"axG",@progbits,_ZN7rocprim17ROCPRIM_400000_NS6detail30init_device_scan_by_key_kernelINS1_19lookback_scan_stateINS0_5tupleIJlbEEELb0ELb0EEEN6thrust23THRUST_200600_302600_NS16reverse_iteratorIPKlEEjNS1_16block_id_wrapperIjLb1EEEEEvT_jjPNSF_10value_typeET0_PNSt15iterator_traitsISI_E10value_typeEmT1_T2_,comdat
.Lfunc_end166:
	.size	_ZN7rocprim17ROCPRIM_400000_NS6detail30init_device_scan_by_key_kernelINS1_19lookback_scan_stateINS0_5tupleIJlbEEELb0ELb0EEEN6thrust23THRUST_200600_302600_NS16reverse_iteratorIPKlEEjNS1_16block_id_wrapperIjLb1EEEEEvT_jjPNSF_10value_typeET0_PNSt15iterator_traitsISI_E10value_typeEmT1_T2_, .Lfunc_end166-_ZN7rocprim17ROCPRIM_400000_NS6detail30init_device_scan_by_key_kernelINS1_19lookback_scan_stateINS0_5tupleIJlbEEELb0ELb0EEEN6thrust23THRUST_200600_302600_NS16reverse_iteratorIPKlEEjNS1_16block_id_wrapperIjLb1EEEEEvT_jjPNSF_10value_typeET0_PNSt15iterator_traitsISI_E10value_typeEmT1_T2_
                                        ; -- End function
	.section	.AMDGPU.csdata,"",@progbits
; Kernel info:
; codeLenInByte = 576
; NumSgprs: 28
; NumVgprs: 8
; NumAgprs: 0
; TotalNumVgprs: 8
; ScratchSize: 0
; MemoryBound: 0
; FloatMode: 240
; IeeeMode: 1
; LDSByteSize: 0 bytes/workgroup (compile time only)
; SGPRBlocks: 3
; VGPRBlocks: 0
; NumSGPRsForWavesPerEU: 28
; NumVGPRsForWavesPerEU: 8
; AccumOffset: 8
; Occupancy: 8
; WaveLimiterHint : 0
; COMPUTE_PGM_RSRC2:SCRATCH_EN: 0
; COMPUTE_PGM_RSRC2:USER_SGPR: 2
; COMPUTE_PGM_RSRC2:TRAP_HANDLER: 0
; COMPUTE_PGM_RSRC2:TGID_X_EN: 1
; COMPUTE_PGM_RSRC2:TGID_Y_EN: 0
; COMPUTE_PGM_RSRC2:TGID_Z_EN: 0
; COMPUTE_PGM_RSRC2:TIDIG_COMP_CNT: 0
; COMPUTE_PGM_RSRC3_GFX90A:ACCUM_OFFSET: 1
; COMPUTE_PGM_RSRC3_GFX90A:TG_SPLIT: 0
	.section	.text._ZN7rocprim17ROCPRIM_400000_NS6detail17trampoline_kernelINS0_14default_configENS1_27scan_by_key_config_selectorIllEEZZNS1_16scan_by_key_implILNS1_25lookback_scan_determinismE0ELb0ES3_N6thrust23THRUST_200600_302600_NS16reverse_iteratorIPKlEESD_NSA_IPlEElN6hipcub16HIPCUB_304000_NS3MaxENSH_8EqualityElEE10hipError_tPvRmT2_T3_T4_T5_mT6_T7_P12ihipStream_tbENKUlT_T0_E_clISt17integral_constantIbLb0EESZ_IbLb1EEEEDaSV_SW_EUlSV_E_NS1_11comp_targetILNS1_3genE0ELNS1_11target_archE4294967295ELNS1_3gpuE0ELNS1_3repE0EEENS1_30default_config_static_selectorELNS0_4arch9wavefront6targetE1EEEvT1_,"axG",@progbits,_ZN7rocprim17ROCPRIM_400000_NS6detail17trampoline_kernelINS0_14default_configENS1_27scan_by_key_config_selectorIllEEZZNS1_16scan_by_key_implILNS1_25lookback_scan_determinismE0ELb0ES3_N6thrust23THRUST_200600_302600_NS16reverse_iteratorIPKlEESD_NSA_IPlEElN6hipcub16HIPCUB_304000_NS3MaxENSH_8EqualityElEE10hipError_tPvRmT2_T3_T4_T5_mT6_T7_P12ihipStream_tbENKUlT_T0_E_clISt17integral_constantIbLb0EESZ_IbLb1EEEEDaSV_SW_EUlSV_E_NS1_11comp_targetILNS1_3genE0ELNS1_11target_archE4294967295ELNS1_3gpuE0ELNS1_3repE0EEENS1_30default_config_static_selectorELNS0_4arch9wavefront6targetE1EEEvT1_,comdat
	.protected	_ZN7rocprim17ROCPRIM_400000_NS6detail17trampoline_kernelINS0_14default_configENS1_27scan_by_key_config_selectorIllEEZZNS1_16scan_by_key_implILNS1_25lookback_scan_determinismE0ELb0ES3_N6thrust23THRUST_200600_302600_NS16reverse_iteratorIPKlEESD_NSA_IPlEElN6hipcub16HIPCUB_304000_NS3MaxENSH_8EqualityElEE10hipError_tPvRmT2_T3_T4_T5_mT6_T7_P12ihipStream_tbENKUlT_T0_E_clISt17integral_constantIbLb0EESZ_IbLb1EEEEDaSV_SW_EUlSV_E_NS1_11comp_targetILNS1_3genE0ELNS1_11target_archE4294967295ELNS1_3gpuE0ELNS1_3repE0EEENS1_30default_config_static_selectorELNS0_4arch9wavefront6targetE1EEEvT1_ ; -- Begin function _ZN7rocprim17ROCPRIM_400000_NS6detail17trampoline_kernelINS0_14default_configENS1_27scan_by_key_config_selectorIllEEZZNS1_16scan_by_key_implILNS1_25lookback_scan_determinismE0ELb0ES3_N6thrust23THRUST_200600_302600_NS16reverse_iteratorIPKlEESD_NSA_IPlEElN6hipcub16HIPCUB_304000_NS3MaxENSH_8EqualityElEE10hipError_tPvRmT2_T3_T4_T5_mT6_T7_P12ihipStream_tbENKUlT_T0_E_clISt17integral_constantIbLb0EESZ_IbLb1EEEEDaSV_SW_EUlSV_E_NS1_11comp_targetILNS1_3genE0ELNS1_11target_archE4294967295ELNS1_3gpuE0ELNS1_3repE0EEENS1_30default_config_static_selectorELNS0_4arch9wavefront6targetE1EEEvT1_
	.globl	_ZN7rocprim17ROCPRIM_400000_NS6detail17trampoline_kernelINS0_14default_configENS1_27scan_by_key_config_selectorIllEEZZNS1_16scan_by_key_implILNS1_25lookback_scan_determinismE0ELb0ES3_N6thrust23THRUST_200600_302600_NS16reverse_iteratorIPKlEESD_NSA_IPlEElN6hipcub16HIPCUB_304000_NS3MaxENSH_8EqualityElEE10hipError_tPvRmT2_T3_T4_T5_mT6_T7_P12ihipStream_tbENKUlT_T0_E_clISt17integral_constantIbLb0EESZ_IbLb1EEEEDaSV_SW_EUlSV_E_NS1_11comp_targetILNS1_3genE0ELNS1_11target_archE4294967295ELNS1_3gpuE0ELNS1_3repE0EEENS1_30default_config_static_selectorELNS0_4arch9wavefront6targetE1EEEvT1_
	.p2align	8
	.type	_ZN7rocprim17ROCPRIM_400000_NS6detail17trampoline_kernelINS0_14default_configENS1_27scan_by_key_config_selectorIllEEZZNS1_16scan_by_key_implILNS1_25lookback_scan_determinismE0ELb0ES3_N6thrust23THRUST_200600_302600_NS16reverse_iteratorIPKlEESD_NSA_IPlEElN6hipcub16HIPCUB_304000_NS3MaxENSH_8EqualityElEE10hipError_tPvRmT2_T3_T4_T5_mT6_T7_P12ihipStream_tbENKUlT_T0_E_clISt17integral_constantIbLb0EESZ_IbLb1EEEEDaSV_SW_EUlSV_E_NS1_11comp_targetILNS1_3genE0ELNS1_11target_archE4294967295ELNS1_3gpuE0ELNS1_3repE0EEENS1_30default_config_static_selectorELNS0_4arch9wavefront6targetE1EEEvT1_,@function
_ZN7rocprim17ROCPRIM_400000_NS6detail17trampoline_kernelINS0_14default_configENS1_27scan_by_key_config_selectorIllEEZZNS1_16scan_by_key_implILNS1_25lookback_scan_determinismE0ELb0ES3_N6thrust23THRUST_200600_302600_NS16reverse_iteratorIPKlEESD_NSA_IPlEElN6hipcub16HIPCUB_304000_NS3MaxENSH_8EqualityElEE10hipError_tPvRmT2_T3_T4_T5_mT6_T7_P12ihipStream_tbENKUlT_T0_E_clISt17integral_constantIbLb0EESZ_IbLb1EEEEDaSV_SW_EUlSV_E_NS1_11comp_targetILNS1_3genE0ELNS1_11target_archE4294967295ELNS1_3gpuE0ELNS1_3repE0EEENS1_30default_config_static_selectorELNS0_4arch9wavefront6targetE1EEEvT1_: ; @_ZN7rocprim17ROCPRIM_400000_NS6detail17trampoline_kernelINS0_14default_configENS1_27scan_by_key_config_selectorIllEEZZNS1_16scan_by_key_implILNS1_25lookback_scan_determinismE0ELb0ES3_N6thrust23THRUST_200600_302600_NS16reverse_iteratorIPKlEESD_NSA_IPlEElN6hipcub16HIPCUB_304000_NS3MaxENSH_8EqualityElEE10hipError_tPvRmT2_T3_T4_T5_mT6_T7_P12ihipStream_tbENKUlT_T0_E_clISt17integral_constantIbLb0EESZ_IbLb1EEEEDaSV_SW_EUlSV_E_NS1_11comp_targetILNS1_3genE0ELNS1_11target_archE4294967295ELNS1_3gpuE0ELNS1_3repE0EEENS1_30default_config_static_selectorELNS0_4arch9wavefront6targetE1EEEvT1_
; %bb.0:
	.section	.rodata,"a",@progbits
	.p2align	6, 0x0
	.amdhsa_kernel _ZN7rocprim17ROCPRIM_400000_NS6detail17trampoline_kernelINS0_14default_configENS1_27scan_by_key_config_selectorIllEEZZNS1_16scan_by_key_implILNS1_25lookback_scan_determinismE0ELb0ES3_N6thrust23THRUST_200600_302600_NS16reverse_iteratorIPKlEESD_NSA_IPlEElN6hipcub16HIPCUB_304000_NS3MaxENSH_8EqualityElEE10hipError_tPvRmT2_T3_T4_T5_mT6_T7_P12ihipStream_tbENKUlT_T0_E_clISt17integral_constantIbLb0EESZ_IbLb1EEEEDaSV_SW_EUlSV_E_NS1_11comp_targetILNS1_3genE0ELNS1_11target_archE4294967295ELNS1_3gpuE0ELNS1_3repE0EEENS1_30default_config_static_selectorELNS0_4arch9wavefront6targetE1EEEvT1_
		.amdhsa_group_segment_fixed_size 0
		.amdhsa_private_segment_fixed_size 0
		.amdhsa_kernarg_size 136
		.amdhsa_user_sgpr_count 2
		.amdhsa_user_sgpr_dispatch_ptr 0
		.amdhsa_user_sgpr_queue_ptr 0
		.amdhsa_user_sgpr_kernarg_segment_ptr 1
		.amdhsa_user_sgpr_dispatch_id 0
		.amdhsa_user_sgpr_kernarg_preload_length 0
		.amdhsa_user_sgpr_kernarg_preload_offset 0
		.amdhsa_user_sgpr_private_segment_size 0
		.amdhsa_uses_dynamic_stack 0
		.amdhsa_enable_private_segment 0
		.amdhsa_system_sgpr_workgroup_id_x 1
		.amdhsa_system_sgpr_workgroup_id_y 0
		.amdhsa_system_sgpr_workgroup_id_z 0
		.amdhsa_system_sgpr_workgroup_info 0
		.amdhsa_system_vgpr_workitem_id 0
		.amdhsa_next_free_vgpr 1
		.amdhsa_next_free_sgpr 0
		.amdhsa_accum_offset 4
		.amdhsa_reserve_vcc 0
		.amdhsa_float_round_mode_32 0
		.amdhsa_float_round_mode_16_64 0
		.amdhsa_float_denorm_mode_32 3
		.amdhsa_float_denorm_mode_16_64 3
		.amdhsa_dx10_clamp 1
		.amdhsa_ieee_mode 1
		.amdhsa_fp16_overflow 0
		.amdhsa_tg_split 0
		.amdhsa_exception_fp_ieee_invalid_op 0
		.amdhsa_exception_fp_denorm_src 0
		.amdhsa_exception_fp_ieee_div_zero 0
		.amdhsa_exception_fp_ieee_overflow 0
		.amdhsa_exception_fp_ieee_underflow 0
		.amdhsa_exception_fp_ieee_inexact 0
		.amdhsa_exception_int_div_zero 0
	.end_amdhsa_kernel
	.section	.text._ZN7rocprim17ROCPRIM_400000_NS6detail17trampoline_kernelINS0_14default_configENS1_27scan_by_key_config_selectorIllEEZZNS1_16scan_by_key_implILNS1_25lookback_scan_determinismE0ELb0ES3_N6thrust23THRUST_200600_302600_NS16reverse_iteratorIPKlEESD_NSA_IPlEElN6hipcub16HIPCUB_304000_NS3MaxENSH_8EqualityElEE10hipError_tPvRmT2_T3_T4_T5_mT6_T7_P12ihipStream_tbENKUlT_T0_E_clISt17integral_constantIbLb0EESZ_IbLb1EEEEDaSV_SW_EUlSV_E_NS1_11comp_targetILNS1_3genE0ELNS1_11target_archE4294967295ELNS1_3gpuE0ELNS1_3repE0EEENS1_30default_config_static_selectorELNS0_4arch9wavefront6targetE1EEEvT1_,"axG",@progbits,_ZN7rocprim17ROCPRIM_400000_NS6detail17trampoline_kernelINS0_14default_configENS1_27scan_by_key_config_selectorIllEEZZNS1_16scan_by_key_implILNS1_25lookback_scan_determinismE0ELb0ES3_N6thrust23THRUST_200600_302600_NS16reverse_iteratorIPKlEESD_NSA_IPlEElN6hipcub16HIPCUB_304000_NS3MaxENSH_8EqualityElEE10hipError_tPvRmT2_T3_T4_T5_mT6_T7_P12ihipStream_tbENKUlT_T0_E_clISt17integral_constantIbLb0EESZ_IbLb1EEEEDaSV_SW_EUlSV_E_NS1_11comp_targetILNS1_3genE0ELNS1_11target_archE4294967295ELNS1_3gpuE0ELNS1_3repE0EEENS1_30default_config_static_selectorELNS0_4arch9wavefront6targetE1EEEvT1_,comdat
.Lfunc_end167:
	.size	_ZN7rocprim17ROCPRIM_400000_NS6detail17trampoline_kernelINS0_14default_configENS1_27scan_by_key_config_selectorIllEEZZNS1_16scan_by_key_implILNS1_25lookback_scan_determinismE0ELb0ES3_N6thrust23THRUST_200600_302600_NS16reverse_iteratorIPKlEESD_NSA_IPlEElN6hipcub16HIPCUB_304000_NS3MaxENSH_8EqualityElEE10hipError_tPvRmT2_T3_T4_T5_mT6_T7_P12ihipStream_tbENKUlT_T0_E_clISt17integral_constantIbLb0EESZ_IbLb1EEEEDaSV_SW_EUlSV_E_NS1_11comp_targetILNS1_3genE0ELNS1_11target_archE4294967295ELNS1_3gpuE0ELNS1_3repE0EEENS1_30default_config_static_selectorELNS0_4arch9wavefront6targetE1EEEvT1_, .Lfunc_end167-_ZN7rocprim17ROCPRIM_400000_NS6detail17trampoline_kernelINS0_14default_configENS1_27scan_by_key_config_selectorIllEEZZNS1_16scan_by_key_implILNS1_25lookback_scan_determinismE0ELb0ES3_N6thrust23THRUST_200600_302600_NS16reverse_iteratorIPKlEESD_NSA_IPlEElN6hipcub16HIPCUB_304000_NS3MaxENSH_8EqualityElEE10hipError_tPvRmT2_T3_T4_T5_mT6_T7_P12ihipStream_tbENKUlT_T0_E_clISt17integral_constantIbLb0EESZ_IbLb1EEEEDaSV_SW_EUlSV_E_NS1_11comp_targetILNS1_3genE0ELNS1_11target_archE4294967295ELNS1_3gpuE0ELNS1_3repE0EEENS1_30default_config_static_selectorELNS0_4arch9wavefront6targetE1EEEvT1_
                                        ; -- End function
	.section	.AMDGPU.csdata,"",@progbits
; Kernel info:
; codeLenInByte = 0
; NumSgprs: 6
; NumVgprs: 0
; NumAgprs: 0
; TotalNumVgprs: 0
; ScratchSize: 0
; MemoryBound: 0
; FloatMode: 240
; IeeeMode: 1
; LDSByteSize: 0 bytes/workgroup (compile time only)
; SGPRBlocks: 0
; VGPRBlocks: 0
; NumSGPRsForWavesPerEU: 6
; NumVGPRsForWavesPerEU: 1
; AccumOffset: 4
; Occupancy: 8
; WaveLimiterHint : 0
; COMPUTE_PGM_RSRC2:SCRATCH_EN: 0
; COMPUTE_PGM_RSRC2:USER_SGPR: 2
; COMPUTE_PGM_RSRC2:TRAP_HANDLER: 0
; COMPUTE_PGM_RSRC2:TGID_X_EN: 1
; COMPUTE_PGM_RSRC2:TGID_Y_EN: 0
; COMPUTE_PGM_RSRC2:TGID_Z_EN: 0
; COMPUTE_PGM_RSRC2:TIDIG_COMP_CNT: 0
; COMPUTE_PGM_RSRC3_GFX90A:ACCUM_OFFSET: 0
; COMPUTE_PGM_RSRC3_GFX90A:TG_SPLIT: 0
	.section	.text._ZN7rocprim17ROCPRIM_400000_NS6detail17trampoline_kernelINS0_14default_configENS1_27scan_by_key_config_selectorIllEEZZNS1_16scan_by_key_implILNS1_25lookback_scan_determinismE0ELb0ES3_N6thrust23THRUST_200600_302600_NS16reverse_iteratorIPKlEESD_NSA_IPlEElN6hipcub16HIPCUB_304000_NS3MaxENSH_8EqualityElEE10hipError_tPvRmT2_T3_T4_T5_mT6_T7_P12ihipStream_tbENKUlT_T0_E_clISt17integral_constantIbLb0EESZ_IbLb1EEEEDaSV_SW_EUlSV_E_NS1_11comp_targetILNS1_3genE10ELNS1_11target_archE1201ELNS1_3gpuE5ELNS1_3repE0EEENS1_30default_config_static_selectorELNS0_4arch9wavefront6targetE1EEEvT1_,"axG",@progbits,_ZN7rocprim17ROCPRIM_400000_NS6detail17trampoline_kernelINS0_14default_configENS1_27scan_by_key_config_selectorIllEEZZNS1_16scan_by_key_implILNS1_25lookback_scan_determinismE0ELb0ES3_N6thrust23THRUST_200600_302600_NS16reverse_iteratorIPKlEESD_NSA_IPlEElN6hipcub16HIPCUB_304000_NS3MaxENSH_8EqualityElEE10hipError_tPvRmT2_T3_T4_T5_mT6_T7_P12ihipStream_tbENKUlT_T0_E_clISt17integral_constantIbLb0EESZ_IbLb1EEEEDaSV_SW_EUlSV_E_NS1_11comp_targetILNS1_3genE10ELNS1_11target_archE1201ELNS1_3gpuE5ELNS1_3repE0EEENS1_30default_config_static_selectorELNS0_4arch9wavefront6targetE1EEEvT1_,comdat
	.protected	_ZN7rocprim17ROCPRIM_400000_NS6detail17trampoline_kernelINS0_14default_configENS1_27scan_by_key_config_selectorIllEEZZNS1_16scan_by_key_implILNS1_25lookback_scan_determinismE0ELb0ES3_N6thrust23THRUST_200600_302600_NS16reverse_iteratorIPKlEESD_NSA_IPlEElN6hipcub16HIPCUB_304000_NS3MaxENSH_8EqualityElEE10hipError_tPvRmT2_T3_T4_T5_mT6_T7_P12ihipStream_tbENKUlT_T0_E_clISt17integral_constantIbLb0EESZ_IbLb1EEEEDaSV_SW_EUlSV_E_NS1_11comp_targetILNS1_3genE10ELNS1_11target_archE1201ELNS1_3gpuE5ELNS1_3repE0EEENS1_30default_config_static_selectorELNS0_4arch9wavefront6targetE1EEEvT1_ ; -- Begin function _ZN7rocprim17ROCPRIM_400000_NS6detail17trampoline_kernelINS0_14default_configENS1_27scan_by_key_config_selectorIllEEZZNS1_16scan_by_key_implILNS1_25lookback_scan_determinismE0ELb0ES3_N6thrust23THRUST_200600_302600_NS16reverse_iteratorIPKlEESD_NSA_IPlEElN6hipcub16HIPCUB_304000_NS3MaxENSH_8EqualityElEE10hipError_tPvRmT2_T3_T4_T5_mT6_T7_P12ihipStream_tbENKUlT_T0_E_clISt17integral_constantIbLb0EESZ_IbLb1EEEEDaSV_SW_EUlSV_E_NS1_11comp_targetILNS1_3genE10ELNS1_11target_archE1201ELNS1_3gpuE5ELNS1_3repE0EEENS1_30default_config_static_selectorELNS0_4arch9wavefront6targetE1EEEvT1_
	.globl	_ZN7rocprim17ROCPRIM_400000_NS6detail17trampoline_kernelINS0_14default_configENS1_27scan_by_key_config_selectorIllEEZZNS1_16scan_by_key_implILNS1_25lookback_scan_determinismE0ELb0ES3_N6thrust23THRUST_200600_302600_NS16reverse_iteratorIPKlEESD_NSA_IPlEElN6hipcub16HIPCUB_304000_NS3MaxENSH_8EqualityElEE10hipError_tPvRmT2_T3_T4_T5_mT6_T7_P12ihipStream_tbENKUlT_T0_E_clISt17integral_constantIbLb0EESZ_IbLb1EEEEDaSV_SW_EUlSV_E_NS1_11comp_targetILNS1_3genE10ELNS1_11target_archE1201ELNS1_3gpuE5ELNS1_3repE0EEENS1_30default_config_static_selectorELNS0_4arch9wavefront6targetE1EEEvT1_
	.p2align	8
	.type	_ZN7rocprim17ROCPRIM_400000_NS6detail17trampoline_kernelINS0_14default_configENS1_27scan_by_key_config_selectorIllEEZZNS1_16scan_by_key_implILNS1_25lookback_scan_determinismE0ELb0ES3_N6thrust23THRUST_200600_302600_NS16reverse_iteratorIPKlEESD_NSA_IPlEElN6hipcub16HIPCUB_304000_NS3MaxENSH_8EqualityElEE10hipError_tPvRmT2_T3_T4_T5_mT6_T7_P12ihipStream_tbENKUlT_T0_E_clISt17integral_constantIbLb0EESZ_IbLb1EEEEDaSV_SW_EUlSV_E_NS1_11comp_targetILNS1_3genE10ELNS1_11target_archE1201ELNS1_3gpuE5ELNS1_3repE0EEENS1_30default_config_static_selectorELNS0_4arch9wavefront6targetE1EEEvT1_,@function
_ZN7rocprim17ROCPRIM_400000_NS6detail17trampoline_kernelINS0_14default_configENS1_27scan_by_key_config_selectorIllEEZZNS1_16scan_by_key_implILNS1_25lookback_scan_determinismE0ELb0ES3_N6thrust23THRUST_200600_302600_NS16reverse_iteratorIPKlEESD_NSA_IPlEElN6hipcub16HIPCUB_304000_NS3MaxENSH_8EqualityElEE10hipError_tPvRmT2_T3_T4_T5_mT6_T7_P12ihipStream_tbENKUlT_T0_E_clISt17integral_constantIbLb0EESZ_IbLb1EEEEDaSV_SW_EUlSV_E_NS1_11comp_targetILNS1_3genE10ELNS1_11target_archE1201ELNS1_3gpuE5ELNS1_3repE0EEENS1_30default_config_static_selectorELNS0_4arch9wavefront6targetE1EEEvT1_: ; @_ZN7rocprim17ROCPRIM_400000_NS6detail17trampoline_kernelINS0_14default_configENS1_27scan_by_key_config_selectorIllEEZZNS1_16scan_by_key_implILNS1_25lookback_scan_determinismE0ELb0ES3_N6thrust23THRUST_200600_302600_NS16reverse_iteratorIPKlEESD_NSA_IPlEElN6hipcub16HIPCUB_304000_NS3MaxENSH_8EqualityElEE10hipError_tPvRmT2_T3_T4_T5_mT6_T7_P12ihipStream_tbENKUlT_T0_E_clISt17integral_constantIbLb0EESZ_IbLb1EEEEDaSV_SW_EUlSV_E_NS1_11comp_targetILNS1_3genE10ELNS1_11target_archE1201ELNS1_3gpuE5ELNS1_3repE0EEENS1_30default_config_static_selectorELNS0_4arch9wavefront6targetE1EEEvT1_
; %bb.0:
	.section	.rodata,"a",@progbits
	.p2align	6, 0x0
	.amdhsa_kernel _ZN7rocprim17ROCPRIM_400000_NS6detail17trampoline_kernelINS0_14default_configENS1_27scan_by_key_config_selectorIllEEZZNS1_16scan_by_key_implILNS1_25lookback_scan_determinismE0ELb0ES3_N6thrust23THRUST_200600_302600_NS16reverse_iteratorIPKlEESD_NSA_IPlEElN6hipcub16HIPCUB_304000_NS3MaxENSH_8EqualityElEE10hipError_tPvRmT2_T3_T4_T5_mT6_T7_P12ihipStream_tbENKUlT_T0_E_clISt17integral_constantIbLb0EESZ_IbLb1EEEEDaSV_SW_EUlSV_E_NS1_11comp_targetILNS1_3genE10ELNS1_11target_archE1201ELNS1_3gpuE5ELNS1_3repE0EEENS1_30default_config_static_selectorELNS0_4arch9wavefront6targetE1EEEvT1_
		.amdhsa_group_segment_fixed_size 0
		.amdhsa_private_segment_fixed_size 0
		.amdhsa_kernarg_size 136
		.amdhsa_user_sgpr_count 2
		.amdhsa_user_sgpr_dispatch_ptr 0
		.amdhsa_user_sgpr_queue_ptr 0
		.amdhsa_user_sgpr_kernarg_segment_ptr 1
		.amdhsa_user_sgpr_dispatch_id 0
		.amdhsa_user_sgpr_kernarg_preload_length 0
		.amdhsa_user_sgpr_kernarg_preload_offset 0
		.amdhsa_user_sgpr_private_segment_size 0
		.amdhsa_uses_dynamic_stack 0
		.amdhsa_enable_private_segment 0
		.amdhsa_system_sgpr_workgroup_id_x 1
		.amdhsa_system_sgpr_workgroup_id_y 0
		.amdhsa_system_sgpr_workgroup_id_z 0
		.amdhsa_system_sgpr_workgroup_info 0
		.amdhsa_system_vgpr_workitem_id 0
		.amdhsa_next_free_vgpr 1
		.amdhsa_next_free_sgpr 0
		.amdhsa_accum_offset 4
		.amdhsa_reserve_vcc 0
		.amdhsa_float_round_mode_32 0
		.amdhsa_float_round_mode_16_64 0
		.amdhsa_float_denorm_mode_32 3
		.amdhsa_float_denorm_mode_16_64 3
		.amdhsa_dx10_clamp 1
		.amdhsa_ieee_mode 1
		.amdhsa_fp16_overflow 0
		.amdhsa_tg_split 0
		.amdhsa_exception_fp_ieee_invalid_op 0
		.amdhsa_exception_fp_denorm_src 0
		.amdhsa_exception_fp_ieee_div_zero 0
		.amdhsa_exception_fp_ieee_overflow 0
		.amdhsa_exception_fp_ieee_underflow 0
		.amdhsa_exception_fp_ieee_inexact 0
		.amdhsa_exception_int_div_zero 0
	.end_amdhsa_kernel
	.section	.text._ZN7rocprim17ROCPRIM_400000_NS6detail17trampoline_kernelINS0_14default_configENS1_27scan_by_key_config_selectorIllEEZZNS1_16scan_by_key_implILNS1_25lookback_scan_determinismE0ELb0ES3_N6thrust23THRUST_200600_302600_NS16reverse_iteratorIPKlEESD_NSA_IPlEElN6hipcub16HIPCUB_304000_NS3MaxENSH_8EqualityElEE10hipError_tPvRmT2_T3_T4_T5_mT6_T7_P12ihipStream_tbENKUlT_T0_E_clISt17integral_constantIbLb0EESZ_IbLb1EEEEDaSV_SW_EUlSV_E_NS1_11comp_targetILNS1_3genE10ELNS1_11target_archE1201ELNS1_3gpuE5ELNS1_3repE0EEENS1_30default_config_static_selectorELNS0_4arch9wavefront6targetE1EEEvT1_,"axG",@progbits,_ZN7rocprim17ROCPRIM_400000_NS6detail17trampoline_kernelINS0_14default_configENS1_27scan_by_key_config_selectorIllEEZZNS1_16scan_by_key_implILNS1_25lookback_scan_determinismE0ELb0ES3_N6thrust23THRUST_200600_302600_NS16reverse_iteratorIPKlEESD_NSA_IPlEElN6hipcub16HIPCUB_304000_NS3MaxENSH_8EqualityElEE10hipError_tPvRmT2_T3_T4_T5_mT6_T7_P12ihipStream_tbENKUlT_T0_E_clISt17integral_constantIbLb0EESZ_IbLb1EEEEDaSV_SW_EUlSV_E_NS1_11comp_targetILNS1_3genE10ELNS1_11target_archE1201ELNS1_3gpuE5ELNS1_3repE0EEENS1_30default_config_static_selectorELNS0_4arch9wavefront6targetE1EEEvT1_,comdat
.Lfunc_end168:
	.size	_ZN7rocprim17ROCPRIM_400000_NS6detail17trampoline_kernelINS0_14default_configENS1_27scan_by_key_config_selectorIllEEZZNS1_16scan_by_key_implILNS1_25lookback_scan_determinismE0ELb0ES3_N6thrust23THRUST_200600_302600_NS16reverse_iteratorIPKlEESD_NSA_IPlEElN6hipcub16HIPCUB_304000_NS3MaxENSH_8EqualityElEE10hipError_tPvRmT2_T3_T4_T5_mT6_T7_P12ihipStream_tbENKUlT_T0_E_clISt17integral_constantIbLb0EESZ_IbLb1EEEEDaSV_SW_EUlSV_E_NS1_11comp_targetILNS1_3genE10ELNS1_11target_archE1201ELNS1_3gpuE5ELNS1_3repE0EEENS1_30default_config_static_selectorELNS0_4arch9wavefront6targetE1EEEvT1_, .Lfunc_end168-_ZN7rocprim17ROCPRIM_400000_NS6detail17trampoline_kernelINS0_14default_configENS1_27scan_by_key_config_selectorIllEEZZNS1_16scan_by_key_implILNS1_25lookback_scan_determinismE0ELb0ES3_N6thrust23THRUST_200600_302600_NS16reverse_iteratorIPKlEESD_NSA_IPlEElN6hipcub16HIPCUB_304000_NS3MaxENSH_8EqualityElEE10hipError_tPvRmT2_T3_T4_T5_mT6_T7_P12ihipStream_tbENKUlT_T0_E_clISt17integral_constantIbLb0EESZ_IbLb1EEEEDaSV_SW_EUlSV_E_NS1_11comp_targetILNS1_3genE10ELNS1_11target_archE1201ELNS1_3gpuE5ELNS1_3repE0EEENS1_30default_config_static_selectorELNS0_4arch9wavefront6targetE1EEEvT1_
                                        ; -- End function
	.section	.AMDGPU.csdata,"",@progbits
; Kernel info:
; codeLenInByte = 0
; NumSgprs: 6
; NumVgprs: 0
; NumAgprs: 0
; TotalNumVgprs: 0
; ScratchSize: 0
; MemoryBound: 0
; FloatMode: 240
; IeeeMode: 1
; LDSByteSize: 0 bytes/workgroup (compile time only)
; SGPRBlocks: 0
; VGPRBlocks: 0
; NumSGPRsForWavesPerEU: 6
; NumVGPRsForWavesPerEU: 1
; AccumOffset: 4
; Occupancy: 8
; WaveLimiterHint : 0
; COMPUTE_PGM_RSRC2:SCRATCH_EN: 0
; COMPUTE_PGM_RSRC2:USER_SGPR: 2
; COMPUTE_PGM_RSRC2:TRAP_HANDLER: 0
; COMPUTE_PGM_RSRC2:TGID_X_EN: 1
; COMPUTE_PGM_RSRC2:TGID_Y_EN: 0
; COMPUTE_PGM_RSRC2:TGID_Z_EN: 0
; COMPUTE_PGM_RSRC2:TIDIG_COMP_CNT: 0
; COMPUTE_PGM_RSRC3_GFX90A:ACCUM_OFFSET: 0
; COMPUTE_PGM_RSRC3_GFX90A:TG_SPLIT: 0
	.section	.text._ZN7rocprim17ROCPRIM_400000_NS6detail17trampoline_kernelINS0_14default_configENS1_27scan_by_key_config_selectorIllEEZZNS1_16scan_by_key_implILNS1_25lookback_scan_determinismE0ELb0ES3_N6thrust23THRUST_200600_302600_NS16reverse_iteratorIPKlEESD_NSA_IPlEElN6hipcub16HIPCUB_304000_NS3MaxENSH_8EqualityElEE10hipError_tPvRmT2_T3_T4_T5_mT6_T7_P12ihipStream_tbENKUlT_T0_E_clISt17integral_constantIbLb0EESZ_IbLb1EEEEDaSV_SW_EUlSV_E_NS1_11comp_targetILNS1_3genE5ELNS1_11target_archE942ELNS1_3gpuE9ELNS1_3repE0EEENS1_30default_config_static_selectorELNS0_4arch9wavefront6targetE1EEEvT1_,"axG",@progbits,_ZN7rocprim17ROCPRIM_400000_NS6detail17trampoline_kernelINS0_14default_configENS1_27scan_by_key_config_selectorIllEEZZNS1_16scan_by_key_implILNS1_25lookback_scan_determinismE0ELb0ES3_N6thrust23THRUST_200600_302600_NS16reverse_iteratorIPKlEESD_NSA_IPlEElN6hipcub16HIPCUB_304000_NS3MaxENSH_8EqualityElEE10hipError_tPvRmT2_T3_T4_T5_mT6_T7_P12ihipStream_tbENKUlT_T0_E_clISt17integral_constantIbLb0EESZ_IbLb1EEEEDaSV_SW_EUlSV_E_NS1_11comp_targetILNS1_3genE5ELNS1_11target_archE942ELNS1_3gpuE9ELNS1_3repE0EEENS1_30default_config_static_selectorELNS0_4arch9wavefront6targetE1EEEvT1_,comdat
	.protected	_ZN7rocprim17ROCPRIM_400000_NS6detail17trampoline_kernelINS0_14default_configENS1_27scan_by_key_config_selectorIllEEZZNS1_16scan_by_key_implILNS1_25lookback_scan_determinismE0ELb0ES3_N6thrust23THRUST_200600_302600_NS16reverse_iteratorIPKlEESD_NSA_IPlEElN6hipcub16HIPCUB_304000_NS3MaxENSH_8EqualityElEE10hipError_tPvRmT2_T3_T4_T5_mT6_T7_P12ihipStream_tbENKUlT_T0_E_clISt17integral_constantIbLb0EESZ_IbLb1EEEEDaSV_SW_EUlSV_E_NS1_11comp_targetILNS1_3genE5ELNS1_11target_archE942ELNS1_3gpuE9ELNS1_3repE0EEENS1_30default_config_static_selectorELNS0_4arch9wavefront6targetE1EEEvT1_ ; -- Begin function _ZN7rocprim17ROCPRIM_400000_NS6detail17trampoline_kernelINS0_14default_configENS1_27scan_by_key_config_selectorIllEEZZNS1_16scan_by_key_implILNS1_25lookback_scan_determinismE0ELb0ES3_N6thrust23THRUST_200600_302600_NS16reverse_iteratorIPKlEESD_NSA_IPlEElN6hipcub16HIPCUB_304000_NS3MaxENSH_8EqualityElEE10hipError_tPvRmT2_T3_T4_T5_mT6_T7_P12ihipStream_tbENKUlT_T0_E_clISt17integral_constantIbLb0EESZ_IbLb1EEEEDaSV_SW_EUlSV_E_NS1_11comp_targetILNS1_3genE5ELNS1_11target_archE942ELNS1_3gpuE9ELNS1_3repE0EEENS1_30default_config_static_selectorELNS0_4arch9wavefront6targetE1EEEvT1_
	.globl	_ZN7rocprim17ROCPRIM_400000_NS6detail17trampoline_kernelINS0_14default_configENS1_27scan_by_key_config_selectorIllEEZZNS1_16scan_by_key_implILNS1_25lookback_scan_determinismE0ELb0ES3_N6thrust23THRUST_200600_302600_NS16reverse_iteratorIPKlEESD_NSA_IPlEElN6hipcub16HIPCUB_304000_NS3MaxENSH_8EqualityElEE10hipError_tPvRmT2_T3_T4_T5_mT6_T7_P12ihipStream_tbENKUlT_T0_E_clISt17integral_constantIbLb0EESZ_IbLb1EEEEDaSV_SW_EUlSV_E_NS1_11comp_targetILNS1_3genE5ELNS1_11target_archE942ELNS1_3gpuE9ELNS1_3repE0EEENS1_30default_config_static_selectorELNS0_4arch9wavefront6targetE1EEEvT1_
	.p2align	8
	.type	_ZN7rocprim17ROCPRIM_400000_NS6detail17trampoline_kernelINS0_14default_configENS1_27scan_by_key_config_selectorIllEEZZNS1_16scan_by_key_implILNS1_25lookback_scan_determinismE0ELb0ES3_N6thrust23THRUST_200600_302600_NS16reverse_iteratorIPKlEESD_NSA_IPlEElN6hipcub16HIPCUB_304000_NS3MaxENSH_8EqualityElEE10hipError_tPvRmT2_T3_T4_T5_mT6_T7_P12ihipStream_tbENKUlT_T0_E_clISt17integral_constantIbLb0EESZ_IbLb1EEEEDaSV_SW_EUlSV_E_NS1_11comp_targetILNS1_3genE5ELNS1_11target_archE942ELNS1_3gpuE9ELNS1_3repE0EEENS1_30default_config_static_selectorELNS0_4arch9wavefront6targetE1EEEvT1_,@function
_ZN7rocprim17ROCPRIM_400000_NS6detail17trampoline_kernelINS0_14default_configENS1_27scan_by_key_config_selectorIllEEZZNS1_16scan_by_key_implILNS1_25lookback_scan_determinismE0ELb0ES3_N6thrust23THRUST_200600_302600_NS16reverse_iteratorIPKlEESD_NSA_IPlEElN6hipcub16HIPCUB_304000_NS3MaxENSH_8EqualityElEE10hipError_tPvRmT2_T3_T4_T5_mT6_T7_P12ihipStream_tbENKUlT_T0_E_clISt17integral_constantIbLb0EESZ_IbLb1EEEEDaSV_SW_EUlSV_E_NS1_11comp_targetILNS1_3genE5ELNS1_11target_archE942ELNS1_3gpuE9ELNS1_3repE0EEENS1_30default_config_static_selectorELNS0_4arch9wavefront6targetE1EEEvT1_: ; @_ZN7rocprim17ROCPRIM_400000_NS6detail17trampoline_kernelINS0_14default_configENS1_27scan_by_key_config_selectorIllEEZZNS1_16scan_by_key_implILNS1_25lookback_scan_determinismE0ELb0ES3_N6thrust23THRUST_200600_302600_NS16reverse_iteratorIPKlEESD_NSA_IPlEElN6hipcub16HIPCUB_304000_NS3MaxENSH_8EqualityElEE10hipError_tPvRmT2_T3_T4_T5_mT6_T7_P12ihipStream_tbENKUlT_T0_E_clISt17integral_constantIbLb0EESZ_IbLb1EEEEDaSV_SW_EUlSV_E_NS1_11comp_targetILNS1_3genE5ELNS1_11target_archE942ELNS1_3gpuE9ELNS1_3repE0EEENS1_30default_config_static_selectorELNS0_4arch9wavefront6targetE1EEEvT1_
; %bb.0:
	s_load_dwordx8 s[40:47], s[0:1], 0x30
	s_load_dwordx2 s[64:65], s[0:1], 0x50
	v_cmp_ne_u32_e64 s[4:5], 0, v0
	v_cmp_eq_u32_e64 s[36:37], 0, v0
	s_and_saveexec_b64 s[2:3], s[36:37]
	s_cbranch_execz .LBB169_4
; %bb.1:
	s_mov_b64 s[8:9], exec
	v_mbcnt_lo_u32_b32 v1, s8, 0
	v_mbcnt_hi_u32_b32 v1, s9, v1
	v_cmp_eq_u32_e32 vcc, 0, v1
                                        ; implicit-def: $vgpr2
	s_and_saveexec_b64 s[6:7], vcc
	s_cbranch_execz .LBB169_3
; %bb.2:
	s_load_dwordx2 s[10:11], s[0:1], 0x80
	s_bcnt1_i32_b64 s8, s[8:9]
	v_mov_b32_e32 v2, 0
	v_mov_b32_e32 v3, s8
	s_waitcnt lgkmcnt(0)
	global_atomic_add v2, v2, v3, s[10:11] sc0
.LBB169_3:
	s_or_b64 exec, exec, s[6:7]
	s_waitcnt vmcnt(0)
	v_readfirstlane_b32 s6, v2
	v_mov_b32_e32 v2, 0
	s_nop 0
	v_add_u32_e32 v1, s6, v1
	ds_write_b32 v2, v1
.LBB169_4:
	s_or_b64 exec, exec, s[2:3]
	s_load_dwordx8 s[48:55], s[0:1], 0x0
	s_load_dword s2, s[0:1], 0x58
	s_load_dwordx8 s[56:63], s[0:1], 0x60
	v_mov_b32_e32 v1, 0
	s_waitcnt lgkmcnt(0)
	s_sub_u32 s38, 0, s50
	s_subb_u32 s39, 0, s51
	s_lshl_b64 s[0:1], s[50:51], 3
	s_barrier
	ds_read_b32 v1, v1
	s_sub_u32 s3, s48, s0
	s_subb_u32 s6, s49, s1
	s_sub_u32 s7, s52, s0
	s_subb_u32 s8, s53, s1
	s_mul_i32 s0, s65, s2
	s_mul_hi_u32 s1, s64, s2
	s_add_i32 s9, s1, s0
	s_waitcnt lgkmcnt(0)
	v_readfirstlane_b32 s47, v1
	s_cmp_eq_u64 s[60:61], 0
	s_mul_i32 s0, s47, 0xe00
	s_cselect_b64 s[50:51], -1, 0
	s_mov_b32 s1, 0
	s_sub_u32 s48, 0, s0
	s_subb_u32 s49, 0, 0
	s_lshl_b64 s[0:1], s[0:1], 3
	s_sub_u32 s66, s3, s0
	s_subb_u32 s67, s6, s1
	s_sub_u32 s34, s7, s0
	s_mul_i32 s2, s64, s2
	s_subb_u32 s35, s8, s1
	s_add_u32 s52, s2, s47
	s_addc_u32 s53, s9, 0
	s_add_u32 s0, s56, -1
	s_addc_u32 s1, s57, -1
	v_mov_b64_e32 v[2:3], s[0:1]
	v_cmp_ge_u64_e64 s[2:3], s[52:53], v[2:3]
	s_mov_b64 s[10:11], 0
	s_mov_b64 s[6:7], -1
	s_and_b64 vcc, exec, s[2:3]
	s_mul_i32 s33, s0, 0xfffff200
	s_barrier
	s_barrier
	s_cbranch_vccz .LBB169_78
; %bb.5:
	v_mov_b32_e32 v1, s67
	v_add_co_u32_e64 v2, vcc, -8, s66
	s_add_i32 s69, s33, s46
	s_nop 0
	v_addc_co_u32_e32 v3, vcc, -1, v1, vcc
	flat_load_dwordx2 v[2:3], v[2:3]
	s_add_u32 s60, s66, -8
	s_addc_u32 s61, s67, -1
	v_cmp_gt_u32_e32 vcc, s69, v0
	s_waitcnt vmcnt(0) lgkmcnt(0)
	v_mov_b64_e32 v[4:5], v[2:3]
	s_and_saveexec_b64 s[6:7], vcc
	s_cbranch_execz .LBB169_7
; %bb.6:
	v_lshlrev_b32_e32 v1, 3, v0
	v_mov_b32_e32 v5, s61
	v_sub_co_u32_e64 v4, s[0:1], s60, v1
	s_nop 1
	v_subbrev_co_u32_e64 v5, s[0:1], 0, v5, s[0:1]
	flat_load_dwordx2 v[4:5], v[4:5]
.LBB169_7:
	s_or_b64 exec, exec, s[6:7]
	v_or_b32_e32 v1, 0x100, v0
	v_cmp_gt_u32_e64 s[6:7], s69, v1
	v_lshlrev_b32_e32 v1, 3, v1
	v_mov_b64_e32 v[6:7], v[2:3]
	s_and_saveexec_b64 s[8:9], s[6:7]
	s_cbranch_execz .LBB169_9
; %bb.8:
	v_mov_b32_e32 v7, s61
	v_sub_co_u32_e64 v6, s[0:1], s60, v1
	s_nop 1
	v_subbrev_co_u32_e64 v7, s[0:1], 0, v7, s[0:1]
	flat_load_dwordx2 v[6:7], v[6:7]
.LBB169_9:
	s_or_b64 exec, exec, s[8:9]
	v_or_b32_e32 v8, 0x200, v0
	v_cmp_gt_u32_e64 s[8:9], s69, v8
	v_lshlrev_b32_e32 v30, 3, v8
	v_mov_b64_e32 v[8:9], v[2:3]
	s_and_saveexec_b64 s[10:11], s[8:9]
	s_cbranch_execz .LBB169_11
; %bb.10:
	v_mov_b32_e32 v9, s61
	v_sub_co_u32_e64 v8, s[0:1], s60, v30
	s_nop 1
	v_subbrev_co_u32_e64 v9, s[0:1], 0, v9, s[0:1]
	flat_load_dwordx2 v[8:9], v[8:9]
.LBB169_11:
	;; [unrolled: 14-line block ×12, first 2 shown]
	s_or_b64 exec, exec, s[30:31]
	v_or_b32_e32 v36, 0xd00, v0
	v_cmp_gt_u32_e64 s[30:31], s69, v36
	v_lshlrev_b32_e32 v42, 3, v36
	s_and_saveexec_b64 s[56:57], s[30:31]
	s_cbranch_execz .LBB169_33
; %bb.32:
	v_mov_b32_e32 v3, s61
	v_sub_co_u32_e64 v2, s[0:1], s60, v42
	s_nop 1
	v_subbrev_co_u32_e64 v3, s[0:1], 0, v3, s[0:1]
	flat_load_dwordx2 v[2:3], v[2:3]
.LBB169_33:
	s_or_b64 exec, exec, s[56:57]
	s_lshl_b64 s[0:1], s[52:53], 3
	s_add_u32 s0, s62, s0
	s_addc_u32 s1, s63, s1
	s_add_u32 s56, s0, -8
	s_addc_u32 s57, s1, -1
	s_and_b64 s[0:1], s[50:51], exec
	s_cselect_b32 s0, s66, s56
	s_cselect_b32 s1, s67, s57
	s_cmp_eq_u64 s[52:53], 0
	v_lshlrev_b32_e32 v43, 3, v0
	s_cselect_b32 s1, s61, s1
	s_cselect_b32 s0, s60, s0
	s_waitcnt vmcnt(0) lgkmcnt(0)
	ds_write2st64_b64 v43, v[4:5], v[6:7] offset1:4
	ds_write2st64_b64 v43, v[8:9], v[10:11] offset0:8 offset1:12
	ds_write2st64_b64 v43, v[12:13], v[14:15] offset0:16 offset1:20
	;; [unrolled: 1-line block ×6, first 2 shown]
	v_mov_b32_e32 v2, s0
	v_mov_b32_e32 v3, s1
	s_waitcnt lgkmcnt(0)
	s_barrier
	flat_load_dwordx2 v[4:5], v[2:3]
	s_movk_i32 s0, 0x68
	v_mad_u32_u24 v36, v0, s0, v43
	ds_read_b128 v[74:77], v36
	ds_read_b128 v[70:73], v36 offset:16
	ds_read_b128 v[66:69], v36 offset:32
	;; [unrolled: 1-line block ×6, first 2 shown]
	s_movk_i32 s0, 0xff98
	v_mad_i32_i24 v2, v0, s0, v36
	s_waitcnt lgkmcnt(0)
	ds_write_b64 v2, v[56:57] offset:28672
	s_waitcnt lgkmcnt(0)
	s_barrier
	s_and_saveexec_b64 s[0:1], s[4:5]
	s_cbranch_execz .LBB169_35
; %bb.34:
	v_mul_i32_i24_e32 v2, 0xffffff98, v0
	v_add_u32_e32 v2, v36, v2
	s_waitcnt vmcnt(0)
	ds_read_b64 v[4:5], v2 offset:28664
.LBB169_35:
	s_or_b64 exec, exec, s[0:1]
	s_add_u32 s56, s34, -8
	s_addc_u32 s57, s35, -1
	s_waitcnt lgkmcnt(0)
	s_barrier
	s_waitcnt lgkmcnt(0)
                                        ; implicit-def: $vgpr2_vgpr3
	s_and_saveexec_b64 s[0:1], vcc
	s_cbranch_execz .LBB169_151
; %bb.36:
	v_mov_b32_e32 v3, s57
	v_sub_co_u32_e32 v2, vcc, s56, v43
	s_nop 1
	v_subbrev_co_u32_e32 v3, vcc, 0, v3, vcc
	flat_load_dwordx2 v[2:3], v[2:3]
	s_or_b64 exec, exec, s[0:1]
                                        ; implicit-def: $vgpr6_vgpr7
	s_and_saveexec_b64 s[0:1], s[6:7]
	s_cbranch_execnz .LBB169_152
.LBB169_37:
	s_or_b64 exec, exec, s[0:1]
                                        ; implicit-def: $vgpr8_vgpr9
	s_and_saveexec_b64 s[0:1], s[8:9]
	s_cbranch_execz .LBB169_153
.LBB169_38:
	v_mov_b32_e32 v1, s57
	v_sub_co_u32_e32 v8, vcc, s56, v30
	s_nop 1
	v_subbrev_co_u32_e32 v9, vcc, 0, v1, vcc
	flat_load_dwordx2 v[8:9], v[8:9]
	s_or_b64 exec, exec, s[0:1]
                                        ; implicit-def: $vgpr10_vgpr11
	s_and_saveexec_b64 s[0:1], s[10:11]
	s_cbranch_execnz .LBB169_154
.LBB169_39:
	s_or_b64 exec, exec, s[0:1]
                                        ; implicit-def: $vgpr12_vgpr13
	s_and_saveexec_b64 s[0:1], s[12:13]
	s_cbranch_execz .LBB169_155
.LBB169_40:
	v_mov_b32_e32 v1, s57
	v_sub_co_u32_e32 v12, vcc, s56, v32
	s_nop 1
	v_subbrev_co_u32_e32 v13, vcc, 0, v1, vcc
	flat_load_dwordx2 v[12:13], v[12:13]
	s_or_b64 exec, exec, s[0:1]
                                        ; implicit-def: $vgpr14_vgpr15
	s_and_saveexec_b64 s[0:1], s[14:15]
	s_cbranch_execnz .LBB169_156
.LBB169_41:
	s_or_b64 exec, exec, s[0:1]
                                        ; implicit-def: $vgpr16_vgpr17
	s_and_saveexec_b64 s[0:1], s[16:17]
	s_cbranch_execz .LBB169_157
.LBB169_42:
	v_mov_b32_e32 v1, s57
	v_sub_co_u32_e32 v16, vcc, s56, v34
	s_nop 1
	v_subbrev_co_u32_e32 v17, vcc, 0, v1, vcc
	flat_load_dwordx2 v[16:17], v[16:17]
	s_or_b64 exec, exec, s[0:1]
                                        ; implicit-def: $vgpr18_vgpr19
	s_and_saveexec_b64 s[0:1], s[18:19]
	s_cbranch_execnz .LBB169_158
.LBB169_43:
	s_or_b64 exec, exec, s[0:1]
                                        ; implicit-def: $vgpr20_vgpr21
	s_and_saveexec_b64 s[0:1], s[20:21]
	s_cbranch_execz .LBB169_159
.LBB169_44:
	v_mov_b32_e32 v1, s57
	v_sub_co_u32_e32 v20, vcc, s56, v37
	s_nop 1
	v_subbrev_co_u32_e32 v21, vcc, 0, v1, vcc
	flat_load_dwordx2 v[20:21], v[20:21]
	s_or_b64 exec, exec, s[0:1]
                                        ; implicit-def: $vgpr22_vgpr23
	s_and_saveexec_b64 s[0:1], s[22:23]
	s_cbranch_execnz .LBB169_160
.LBB169_45:
	s_or_b64 exec, exec, s[0:1]
                                        ; implicit-def: $vgpr24_vgpr25
	s_and_saveexec_b64 s[0:1], s[24:25]
	s_cbranch_execz .LBB169_161
.LBB169_46:
	v_mov_b32_e32 v1, s57
	v_sub_co_u32_e32 v24, vcc, s56, v39
	s_nop 1
	v_subbrev_co_u32_e32 v25, vcc, 0, v1, vcc
	flat_load_dwordx2 v[24:25], v[24:25]
	s_or_b64 exec, exec, s[0:1]
                                        ; implicit-def: $vgpr26_vgpr27
	s_and_saveexec_b64 s[0:1], s[26:27]
	s_cbranch_execnz .LBB169_162
.LBB169_47:
	s_or_b64 exec, exec, s[0:1]
                                        ; implicit-def: $vgpr28_vgpr29
	s_and_saveexec_b64 s[0:1], s[28:29]
	s_cbranch_execz .LBB169_49
.LBB169_48:
	v_mov_b32_e32 v1, s57
	v_sub_co_u32_e32 v28, vcc, s56, v41
	s_nop 1
	v_subbrev_co_u32_e32 v29, vcc, 0, v1, vcc
	flat_load_dwordx2 v[28:29], v[28:29]
.LBB169_49:
	s_or_b64 exec, exec, s[0:1]
	v_mul_u32_u24_e32 v37, 14, v0
                                        ; implicit-def: $vgpr30_vgpr31
	s_and_saveexec_b64 s[0:1], s[30:31]
	s_cbranch_execz .LBB169_51
; %bb.50:
	v_mov_b32_e32 v1, s57
	v_sub_co_u32_e32 v30, vcc, s56, v42
	s_nop 1
	v_subbrev_co_u32_e32 v31, vcc, 0, v1, vcc
	flat_load_dwordx2 v[30:31], v[30:31]
.LBB169_51:
	s_or_b64 exec, exec, s[0:1]
	v_mov_b64_e32 v[78:79], 0
	s_waitcnt vmcnt(0) lgkmcnt(0)
	ds_write2st64_b64 v43, v[2:3], v[6:7] offset1:4
	ds_write2st64_b64 v43, v[8:9], v[10:11] offset0:8 offset1:12
	ds_write2st64_b64 v43, v[12:13], v[14:15] offset0:16 offset1:20
	;; [unrolled: 1-line block ×6, first 2 shown]
	v_cmp_gt_u32_e32 vcc, s69, v37
	s_mov_b64 s[10:11], 0
	s_mov_b64 s[6:7], 0
	s_mov_b32 s68, 0
	v_mov_b32_e32 v80, 0
	v_mov_b32_e32 v91, 0
	v_mov_b64_e32 v[46:47], v[78:79]
	v_mov_b32_e32 v90, 0
	v_mov_b64_e32 v[34:35], v[78:79]
	;; [unrolled: 2-line block ×12, first 2 shown]
	s_waitcnt lgkmcnt(0)
	s_barrier
	s_waitcnt lgkmcnt(0)
                                        ; implicit-def: $sgpr0_sgpr1
                                        ; implicit-def: $vgpr52_vgpr53
	s_and_saveexec_b64 s[8:9], vcc
	s_cbranch_execz .LBB169_77
; %bb.52:
	ds_read_b64 v[2:3], v36
	v_cmp_ne_u64_e32 vcc, v[4:5], v[74:75]
	v_or_b32_e32 v4, 1, v37
	v_mov_b64_e32 v[78:79], 0
	v_cndmask_b32_e64 v1, 0, 1, vcc
	v_cmp_gt_u32_e32 vcc, s69, v4
	s_mov_b64 s[12:13], 0
	s_mov_b64 s[0:1], 0
	v_mov_b32_e32 v80, 0
	v_mov_b32_e32 v91, 0
	v_mov_b64_e32 v[46:47], v[78:79]
	v_mov_b32_e32 v90, 0
	v_mov_b64_e32 v[34:35], v[78:79]
	;; [unrolled: 2-line block ×11, first 2 shown]
                                        ; implicit-def: $sgpr14_sgpr15
                                        ; implicit-def: $vgpr52_vgpr53
	s_and_saveexec_b64 s[10:11], vcc
	s_cbranch_execz .LBB169_76
; %bb.53:
	ds_read2_b64 v[14:17], v36 offset0:1 offset1:2
	v_add_u32_e32 v4, 2, v37
	v_cmp_ne_u64_e32 vcc, v[74:75], v[76:77]
	v_mov_b64_e32 v[78:79], 0
	s_mov_b64 s[16:17], 0
	v_cndmask_b32_e64 v82, 0, 1, vcc
	v_cmp_gt_u32_e32 vcc, s69, v4
	v_mov_b32_e32 v80, 0
	v_mov_b32_e32 v91, 0
	v_mov_b64_e32 v[46:47], v[78:79]
	v_mov_b32_e32 v90, 0
	v_mov_b64_e32 v[34:35], v[78:79]
	;; [unrolled: 2-line block ×10, first 2 shown]
                                        ; implicit-def: $sgpr14_sgpr15
                                        ; implicit-def: $vgpr52_vgpr53
	s_and_saveexec_b64 s[12:13], vcc
	s_cbranch_execz .LBB169_75
; %bb.54:
	v_add_u32_e32 v4, 3, v37
	v_cmp_ne_u64_e32 vcc, v[76:77], v[70:71]
	v_mov_b64_e32 v[78:79], 0
	s_waitcnt lgkmcnt(0)
	v_mov_b32_e32 v6, v16
	v_mov_b32_e32 v7, v17
	v_cndmask_b32_e64 v81, 0, 1, vcc
	v_cmp_gt_u32_e32 vcc, s69, v4
	v_mov_b32_e32 v80, 0
	v_mov_b32_e32 v91, 0
	v_mov_b64_e32 v[46:47], v[78:79]
	v_mov_b32_e32 v90, 0
	v_mov_b64_e32 v[34:35], v[78:79]
	;; [unrolled: 2-line block ×9, first 2 shown]
                                        ; implicit-def: $sgpr18_sgpr19
                                        ; implicit-def: $vgpr52_vgpr53
	s_and_saveexec_b64 s[14:15], vcc
	s_cbranch_execz .LBB169_74
; %bb.55:
	ds_read2_b64 v[22:25], v36 offset0:3 offset1:4
	v_add_u32_e32 v4, 4, v37
	v_cmp_ne_u64_e32 vcc, v[70:71], v[72:73]
	v_mov_b64_e32 v[78:79], 0
	s_mov_b64 s[20:21], 0
	v_cndmask_b32_e64 v83, 0, 1, vcc
	v_cmp_gt_u32_e32 vcc, s69, v4
	v_mov_b32_e32 v80, 0
	v_mov_b32_e32 v91, 0
	v_mov_b64_e32 v[46:47], v[78:79]
	v_mov_b32_e32 v90, 0
	v_mov_b64_e32 v[34:35], v[78:79]
	;; [unrolled: 2-line block ×8, first 2 shown]
                                        ; implicit-def: $sgpr18_sgpr19
                                        ; implicit-def: $vgpr52_vgpr53
	s_and_saveexec_b64 s[16:17], vcc
	s_cbranch_execz .LBB169_73
; %bb.56:
	v_add_u32_e32 v4, 5, v37
	v_cmp_ne_u64_e32 vcc, v[72:73], v[66:67]
	v_mov_b64_e32 v[78:79], 0
	s_waitcnt lgkmcnt(0)
	v_mov_b32_e32 v10, v24
	v_mov_b32_e32 v11, v25
	v_cndmask_b32_e64 v84, 0, 1, vcc
	v_cmp_gt_u32_e32 vcc, s69, v4
	v_mov_b32_e32 v80, 0
	v_mov_b32_e32 v91, 0
	v_mov_b64_e32 v[46:47], v[78:79]
	v_mov_b32_e32 v90, 0
	v_mov_b64_e32 v[34:35], v[78:79]
	;; [unrolled: 2-line block ×7, first 2 shown]
                                        ; implicit-def: $sgpr22_sgpr23
                                        ; implicit-def: $vgpr52_vgpr53
	s_and_saveexec_b64 s[18:19], vcc
	s_cbranch_execz .LBB169_72
; %bb.57:
	ds_read2_b64 v[30:33], v36 offset0:5 offset1:6
	v_add_u32_e32 v4, 6, v37
	v_cmp_ne_u64_e32 vcc, v[66:67], v[68:69]
	v_mov_b64_e32 v[78:79], 0
	s_mov_b64 s[24:25], 0
	v_cndmask_b32_e64 v85, 0, 1, vcc
	v_cmp_gt_u32_e32 vcc, s69, v4
	v_mov_b32_e32 v80, 0
	v_mov_b32_e32 v91, 0
	v_mov_b64_e32 v[46:47], v[78:79]
	v_mov_b32_e32 v90, 0
	v_mov_b64_e32 v[34:35], v[78:79]
	;; [unrolled: 2-line block ×6, first 2 shown]
                                        ; implicit-def: $sgpr22_sgpr23
                                        ; implicit-def: $vgpr52_vgpr53
	s_and_saveexec_b64 s[20:21], vcc
	s_cbranch_execz .LBB169_71
; %bb.58:
	v_add_u32_e32 v4, 7, v37
	v_cmp_ne_u64_e32 vcc, v[68:69], v[62:63]
	v_mov_b64_e32 v[78:79], 0
	s_waitcnt lgkmcnt(0)
	v_mov_b32_e32 v18, v32
	v_mov_b32_e32 v19, v33
	v_cndmask_b32_e64 v86, 0, 1, vcc
	v_cmp_gt_u32_e32 vcc, s69, v4
	v_mov_b32_e32 v80, 0
	v_mov_b32_e32 v91, 0
	v_mov_b64_e32 v[46:47], v[78:79]
	v_mov_b32_e32 v90, 0
	v_mov_b64_e32 v[34:35], v[78:79]
	;; [unrolled: 2-line block ×5, first 2 shown]
                                        ; implicit-def: $sgpr26_sgpr27
                                        ; implicit-def: $vgpr52_vgpr53
	s_and_saveexec_b64 s[22:23], vcc
	s_cbranch_execz .LBB169_70
; %bb.59:
	ds_read2_b64 v[38:41], v36 offset0:7 offset1:8
	v_add_u32_e32 v4, 8, v37
	v_cmp_ne_u64_e32 vcc, v[62:63], v[64:65]
	v_mov_b64_e32 v[78:79], 0
	s_mov_b64 s[28:29], 0
	v_cndmask_b32_e64 v87, 0, 1, vcc
	v_cmp_gt_u32_e32 vcc, s69, v4
	v_mov_b32_e32 v80, 0
	v_mov_b32_e32 v91, 0
	v_mov_b64_e32 v[46:47], v[78:79]
	v_mov_b32_e32 v90, 0
	v_mov_b64_e32 v[34:35], v[78:79]
	;; [unrolled: 2-line block ×4, first 2 shown]
                                        ; implicit-def: $sgpr26_sgpr27
                                        ; implicit-def: $vgpr52_vgpr53
	s_and_saveexec_b64 s[24:25], vcc
	s_cbranch_execz .LBB169_69
; %bb.60:
	v_add_u32_e32 v4, 9, v37
	v_cmp_ne_u64_e32 vcc, v[64:65], v[48:49]
	v_mov_b64_e32 v[78:79], 0
	s_waitcnt lgkmcnt(0)
	v_mov_b32_e32 v26, v40
	v_mov_b32_e32 v27, v41
	v_cndmask_b32_e64 v88, 0, 1, vcc
	v_cmp_gt_u32_e32 vcc, s69, v4
	v_mov_b32_e32 v80, 0
	v_mov_b32_e32 v91, 0
	v_mov_b64_e32 v[46:47], v[78:79]
	v_mov_b32_e32 v90, 0
	v_mov_b64_e32 v[34:35], v[78:79]
	;; [unrolled: 2-line block ×3, first 2 shown]
                                        ; implicit-def: $sgpr30_sgpr31
                                        ; implicit-def: $vgpr52_vgpr53
	s_and_saveexec_b64 s[26:27], vcc
	s_cbranch_execz .LBB169_68
; %bb.61:
	ds_read2_b64 v[42:45], v36 offset0:9 offset1:10
	v_add_u32_e32 v4, 10, v37
	v_cmp_ne_u64_e32 vcc, v[48:49], v[50:51]
	v_mov_b64_e32 v[78:79], 0
	s_mov_b64 s[56:57], 0
	v_cndmask_b32_e64 v89, 0, 1, vcc
	v_cmp_gt_u32_e32 vcc, s69, v4
	v_mov_b32_e32 v80, 0
	v_mov_b32_e32 v91, 0
	v_mov_b64_e32 v[46:47], v[78:79]
	v_mov_b32_e32 v90, 0
	v_mov_b64_e32 v[34:35], v[78:79]
                                        ; implicit-def: $sgpr30_sgpr31
                                        ; implicit-def: $vgpr52_vgpr53
	s_and_saveexec_b64 s[28:29], vcc
	s_cbranch_execz .LBB169_67
; %bb.62:
	v_add_u32_e32 v4, 11, v37
	v_cmp_ne_u64_e32 vcc, v[50:51], v[58:59]
	v_mov_b64_e32 v[78:79], 0
	s_waitcnt lgkmcnt(0)
	v_mov_b32_e32 v34, v44
	v_mov_b32_e32 v35, v45
	v_cndmask_b32_e64 v90, 0, 1, vcc
	v_cmp_gt_u32_e32 vcc, s69, v4
	v_mov_b32_e32 v80, 0
	v_mov_b32_e32 v91, 0
	v_mov_b64_e32 v[46:47], v[78:79]
                                        ; implicit-def: $sgpr60_sgpr61
                                        ; implicit-def: $vgpr52_vgpr53
	s_and_saveexec_b64 s[30:31], vcc
	s_cbranch_execz .LBB169_66
; %bb.63:
	ds_read2_b64 v[46:49], v36 offset0:11 offset1:12
	v_add_u32_e32 v4, 12, v37
	v_cmp_ne_u64_e32 vcc, v[58:59], v[60:61]
	v_mov_b32_e32 v80, 0
	v_mov_b64_e32 v[78:79], 0
	v_cndmask_b32_e64 v91, 0, 1, vcc
	v_cmp_gt_u32_e32 vcc, s69, v4
                                        ; implicit-def: $sgpr56_sgpr57
                                        ; implicit-def: $vgpr52_vgpr53
	s_and_saveexec_b64 s[60:61], vcc
	s_xor_b64 s[60:61], exec, s[60:61]
	s_cbranch_execz .LBB169_65
; %bb.64:
	ds_read_b64 v[52:53], v36 offset:104
	v_add_u32_e32 v4, 13, v37
	v_cmp_ne_u64_e64 s[0:1], v[60:61], v[54:55]
	v_cmp_ne_u64_e32 vcc, v[54:55], v[56:57]
	s_and_b64 s[56:57], vcc, exec
	v_cndmask_b32_e64 v80, 0, 1, s[0:1]
	v_cmp_gt_u32_e64 s[0:1], s69, v4
	s_and_b64 s[0:1], s[0:1], exec
	s_waitcnt lgkmcnt(1)
	v_mov_b64_e32 v[50:51], v[48:49]
	v_mov_b64_e32 v[78:79], v[48:49]
.LBB169_65:
	s_or_b64 exec, exec, s[60:61]
	s_and_b64 s[60:61], s[56:57], exec
	s_and_b64 s[56:57], s[0:1], exec
.LBB169_66:
	s_or_b64 exec, exec, s[30:31]
	s_and_b64 s[30:31], s[60:61], exec
	s_and_b64 s[0:1], s[56:57], exec
	s_waitcnt lgkmcnt(0)
	v_mov_b64_e32 v[36:37], v[46:47]
	v_mov_b64_e32 v[28:29], v[42:43]
	;; [unrolled: 1-line block ×6, first 2 shown]
.LBB169_67:
	s_or_b64 exec, exec, s[28:29]
	s_and_b64 s[30:31], s[30:31], exec
	s_and_b64 s[28:29], s[0:1], exec
.LBB169_68:
	s_or_b64 exec, exec, s[26:27]
	s_and_b64 s[26:27], s[30:31], exec
	s_and_b64 s[0:1], s[28:29], exec
.LBB169_69:
	s_or_b64 exec, exec, s[24:25]
	s_and_b64 s[26:27], s[26:27], exec
	s_and_b64 s[24:25], s[0:1], exec
.LBB169_70:
	s_or_b64 exec, exec, s[22:23]
	s_and_b64 s[22:23], s[26:27], exec
	s_and_b64 s[0:1], s[24:25], exec
.LBB169_71:
	s_or_b64 exec, exec, s[20:21]
	s_and_b64 s[22:23], s[22:23], exec
	s_and_b64 s[20:21], s[0:1], exec
.LBB169_72:
	s_or_b64 exec, exec, s[18:19]
	s_and_b64 s[18:19], s[22:23], exec
	s_and_b64 s[0:1], s[20:21], exec
.LBB169_73:
	s_or_b64 exec, exec, s[16:17]
	s_and_b64 s[18:19], s[18:19], exec
	s_and_b64 s[16:17], s[0:1], exec
.LBB169_74:
	s_or_b64 exec, exec, s[14:15]
	s_and_b64 s[14:15], s[18:19], exec
	s_and_b64 s[0:1], s[16:17], exec
.LBB169_75:
	s_or_b64 exec, exec, s[12:13]
	s_and_b64 s[14:15], s[14:15], exec
	s_and_b64 s[12:13], s[0:1], exec
.LBB169_76:
	s_or_b64 exec, exec, s[10:11]
	s_and_b64 s[0:1], s[14:15], exec
	s_and_b64 s[10:11], s[12:13], exec
.LBB169_77:
	s_or_b64 exec, exec, s[8:9]
	s_mov_b64 s[8:9], 0
	s_and_b64 vcc, exec, s[6:7]
	s_waitcnt lgkmcnt(0)
	v_lshlrev_b32_e32 v40, 3, v0
	s_cbranch_vccnz .LBB169_79
	s_branch .LBB169_82
.LBB169_78:
                                        ; implicit-def: $sgpr0_sgpr1
                                        ; implicit-def: $vgpr52_vgpr53
                                        ; implicit-def: $vgpr80
                                        ; implicit-def: $vgpr91
                                        ; implicit-def: $vgpr36_vgpr37
                                        ; implicit-def: $vgpr90
                                        ; implicit-def: $vgpr89
                                        ; implicit-def: $vgpr28_vgpr29
                                        ; implicit-def: $vgpr88
                                        ; implicit-def: $vgpr87
                                        ; implicit-def: $vgpr20_vgpr21
                                        ; implicit-def: $vgpr86
                                        ; implicit-def: $vgpr85
                                        ; implicit-def: $vgpr12_vgpr13
                                        ; implicit-def: $vgpr84
                                        ; implicit-def: $vgpr83
                                        ; implicit-def: $vgpr8_vgpr9
                                        ; implicit-def: $vgpr81
                                        ; implicit-def: $vgpr82
                                        ; implicit-def: $vgpr4_vgpr5
                                        ; implicit-def: $vgpr1
                                        ; implicit-def: $sgpr68
                                        ; implicit-def: $sgpr8_sgpr9
                                        ; implicit-def: $vgpr78_vgpr79
                                        ; implicit-def: $vgpr46_vgpr47
                                        ; implicit-def: $vgpr42_vgpr43
                                        ; implicit-def: $vgpr38_vgpr39
                                        ; implicit-def: $vgpr30_vgpr31
                                        ; implicit-def: $vgpr22_vgpr23
                                        ; implicit-def: $vgpr14_vgpr15
	s_and_b64 vcc, exec, s[6:7]
	v_lshlrev_b32_e32 v40, 3, v0
	s_cbranch_vccz .LBB169_82
.LBB169_79:
	v_mov_b32_e32 v1, s67
	v_sub_co_u32_e32 v34, vcc, s66, v40
	s_add_u32 s6, s66, -8
	s_nop 0
	v_subbrev_co_u32_e32 v1, vcc, 0, v1, vcc
	v_add_co_u32_e32 v2, vcc, -8, v34
	s_addc_u32 s7, s67, -1
	s_nop 0
	v_addc_co_u32_e32 v3, vcc, -1, v1, vcc
	v_add_co_u32_e32 v4, vcc, 0xfffff7f8, v34
	s_lshl_b64 s[0:1], s[52:53], 3
	s_nop 0
	v_addc_co_u32_e32 v5, vcc, -1, v1, vcc
	v_add_co_u32_e32 v6, vcc, 0xffffeff8, v34
	s_add_u32 s0, s62, s0
	s_nop 0
	v_addc_co_u32_e32 v7, vcc, -1, v1, vcc
	v_add_co_u32_e32 v8, vcc, 0xffffe7f8, v34
	s_addc_u32 s1, s63, s1
	s_nop 0
	v_addc_co_u32_e32 v9, vcc, -1, v1, vcc
	flat_load_dwordx2 v[10:11], v[2:3]
	flat_load_dwordx2 v[12:13], v[4:5]
	;; [unrolled: 1-line block ×4, first 2 shown]
	v_add_co_u32_e32 v2, vcc, 0xffffdff8, v34
	s_add_u32 s8, s0, -8
	s_nop 0
	v_addc_co_u32_e32 v3, vcc, -1, v1, vcc
	v_add_co_u32_e32 v4, vcc, 0xffffd7f8, v34
	s_addc_u32 s9, s1, -1
	s_nop 0
	v_addc_co_u32_e32 v5, vcc, -1, v1, vcc
	v_add_co_u32_e32 v6, vcc, 0xffffcff8, v34
	s_and_b64 s[0:1], s[50:51], exec
	s_nop 0
	v_addc_co_u32_e32 v7, vcc, -1, v1, vcc
	v_add_co_u32_e32 v8, vcc, 0xffffc7f8, v34
	s_cselect_b32 s0, s66, s8
	s_nop 0
	v_addc_co_u32_e32 v9, vcc, -1, v1, vcc
	flat_load_dwordx2 v[18:19], v[2:3]
	flat_load_dwordx2 v[20:21], v[4:5]
	;; [unrolled: 1-line block ×4, first 2 shown]
	v_add_co_u32_e32 v2, vcc, 0xffffbff8, v34
	s_cselect_b32 s1, s67, s9
	s_nop 0
	v_addc_co_u32_e32 v3, vcc, -1, v1, vcc
	v_add_co_u32_e32 v4, vcc, 0xffffb7f8, v34
	s_cmp_eq_u64 s[52:53], 0
	s_nop 0
	v_addc_co_u32_e32 v5, vcc, -1, v1, vcc
	v_add_co_u32_e32 v6, vcc, 0xffffaff8, v34
	s_cselect_b32 s1, s7, s1
	s_nop 0
	v_addc_co_u32_e32 v7, vcc, -1, v1, vcc
	v_add_co_u32_e32 v8, vcc, 0xffffa7f8, v34
	s_cselect_b32 s0, s6, s0
	s_nop 0
	v_addc_co_u32_e32 v9, vcc, -1, v1, vcc
	flat_load_dwordx2 v[26:27], v[2:3]
	flat_load_dwordx2 v[28:29], v[4:5]
	;; [unrolled: 1-line block ×4, first 2 shown]
	v_add_co_u32_e32 v2, vcc, 0xffff9ff8, v34
	s_movk_i32 s12, 0xf7f8
	s_nop 0
	v_addc_co_u32_e32 v3, vcc, -1, v1, vcc
	v_add_co_u32_e32 v4, vcc, 0xffff97f8, v34
	s_movk_i32 s11, 0xe7f8
	s_nop 0
	v_addc_co_u32_e32 v5, vcc, -1, v1, vcc
	flat_load_dwordx2 v[6:7], v[2:3]
	flat_load_dwordx2 v[8:9], v[4:5]
	v_mov_b32_e32 v2, s0
	v_mov_b32_e32 v3, s1
	s_movk_i32 s10, 0xd7f8
	s_movk_i32 s9, 0xc7f8
	;; [unrolled: 1-line block ×5, first 2 shown]
	s_waitcnt vmcnt(0) lgkmcnt(0)
	ds_write2st64_b64 v40, v[10:11], v[12:13] offset1:4
	ds_write2st64_b64 v40, v[14:15], v[16:17] offset0:8 offset1:12
	ds_write2st64_b64 v40, v[18:19], v[20:21] offset0:16 offset1:20
	;; [unrolled: 1-line block ×6, first 2 shown]
	s_waitcnt lgkmcnt(0)
	s_barrier
	flat_load_dwordx2 v[30:31], v[2:3]
	v_sub_co_u32_e32 v32, vcc, 0, v0
	s_nop 1
	v_subb_co_u32_e64 v33, s[0:1], 0, 0, vcc
	s_movk_i32 s0, 0x68
	s_nop 0
	v_mad_u32_u24 v1, v0, s0, v40
	ds_read_b128 v[14:17], v1
	ds_read_b128 v[2:5], v1 offset:16
	ds_read_b128 v[6:9], v1 offset:32
	;; [unrolled: 1-line block ×6, first 2 shown]
	s_movk_i32 s0, 0xff98
	v_mad_i32_i24 v34, v0, s0, v1
	s_waitcnt lgkmcnt(0)
	ds_write_b64 v34, v[28:29] offset:28672
	s_waitcnt lgkmcnt(0)
	s_barrier
	s_and_saveexec_b64 s[0:1], s[4:5]
	s_cbranch_execz .LBB169_81
; %bb.80:
	s_waitcnt vmcnt(0)
	v_mul_i32_i24_e32 v30, 0xffffff98, v0
	v_add_u32_e32 v30, v1, v30
	ds_read_b64 v[30:31], v30 offset:28664
.LBB169_81:
	s_or_b64 exec, exec, s[0:1]
	v_lshl_add_u64 v[32:33], v[32:33], 3, s[34:35]
	v_add_co_u32_e32 v34, vcc, s12, v32
	s_waitcnt lgkmcnt(0)
	s_nop 0
	v_addc_co_u32_e32 v35, vcc, -1, v33, vcc
	v_add_co_u32_e32 v36, vcc, s11, v32
	s_barrier
	s_nop 0
	v_addc_co_u32_e32 v37, vcc, -1, v33, vcc
	flat_load_dwordx2 v[38:39], v[36:37] offset:2048
	flat_load_dwordx2 v[42:43], v[36:37]
	flat_load_dwordx2 v[44:45], v[34:35] offset:2048
	flat_load_dwordx2 v[46:47], v[34:35]
	v_add_co_u32_e32 v34, vcc, s10, v32
	v_cmp_ne_u64_e64 s[0:1], v[26:27], v[28:29]
	s_nop 0
	v_addc_co_u32_e32 v35, vcc, -1, v33, vcc
	v_add_co_u32_e32 v36, vcc, s9, v32
	s_mov_b64 s[10:11], -1
	s_nop 0
	v_addc_co_u32_e32 v37, vcc, -1, v33, vcc
	flat_load_dwordx2 v[48:49], v[36:37] offset:2048
	flat_load_dwordx2 v[50:51], v[36:37]
	flat_load_dwordx2 v[52:53], v[34:35] offset:2048
	flat_load_dwordx2 v[54:55], v[34:35]
	v_add_co_u32_e32 v34, vcc, s8, v32
                                        ; implicit-def: $sgpr68
                                        ; implicit-def: $sgpr8_sgpr9
                                        ; implicit-def: $vgpr78_vgpr79
	s_nop 1
	v_addc_co_u32_e32 v35, vcc, -1, v33, vcc
	v_add_co_u32_e32 v36, vcc, s7, v32
	s_nop 1
	v_addc_co_u32_e32 v37, vcc, -1, v33, vcc
	v_add_co_u32_e32 v32, vcc, s6, v32
	flat_load_dwordx2 v[56:57], v[36:37] offset:2048
	flat_load_dwordx2 v[58:59], v[36:37]
	flat_load_dwordx2 v[60:61], v[34:35] offset:2048
	flat_load_dwordx2 v[62:63], v[34:35]
	v_addc_co_u32_e32 v33, vcc, -1, v33, vcc
	flat_load_dwordx2 v[34:35], v[32:33] offset:2048
	flat_load_dwordx2 v[36:37], v[32:33]
	v_cmp_ne_u64_e32 vcc, v[24:25], v[26:27]
	s_waitcnt vmcnt(0) lgkmcnt(0)
	ds_write2st64_b64 v40, v[44:45], v[46:47] offset1:4
	ds_write2st64_b64 v40, v[38:39], v[42:43] offset0:8 offset1:12
	ds_write2st64_b64 v40, v[52:53], v[54:55] offset0:16 offset1:20
	;; [unrolled: 1-line block ×6, first 2 shown]
	v_cndmask_b32_e64 v80, 0, 1, vcc
	v_cmp_ne_u64_e32 vcc, v[22:23], v[24:25]
	s_waitcnt lgkmcnt(0)
	s_barrier
	v_cndmask_b32_e64 v91, 0, 1, vcc
	v_cmp_ne_u64_e32 vcc, v[20:21], v[22:23]
	s_waitcnt lgkmcnt(0)
                                        ; implicit-def: $vgpr46_vgpr47
                                        ; implicit-def: $vgpr42_vgpr43
                                        ; implicit-def: $vgpr38_vgpr39
                                        ; implicit-def: $vgpr22_vgpr23
	s_nop 0
	v_cndmask_b32_e64 v90, 0, 1, vcc
	v_cmp_ne_u64_e32 vcc, v[18:19], v[20:21]
	s_nop 1
	v_cndmask_b32_e64 v89, 0, 1, vcc
	v_cmp_ne_u64_e32 vcc, v[12:13], v[18:19]
	;; [unrolled: 3-line block ×8, first 2 shown]
	ds_read_b128 v[2:5], v1
	ds_read_b128 v[6:9], v1 offset:16
	ds_read_b128 v[10:13], v1 offset:32
	;; [unrolled: 1-line block ×6, first 2 shown]
	v_cndmask_b32_e64 v81, 0, 1, vcc
	v_cmp_ne_u64_e32 vcc, v[14:15], v[16:17]
	s_nop 1
	v_cndmask_b32_e64 v82, 0, 1, vcc
	v_cmp_ne_u64_e32 vcc, v[30:31], v[14:15]
                                        ; implicit-def: $vgpr30_vgpr31
                                        ; implicit-def: $vgpr14_vgpr15
	s_nop 1
	v_cndmask_b32_e64 v1, 0, 1, vcc
.LBB169_82:
	v_mov_b64_e32 v[16:17], s[8:9]
	v_mov_b32_e32 v32, s68
	s_and_saveexec_b64 s[6:7], s[10:11]
	s_cbranch_execz .LBB169_84
; %bb.83:
	v_cndmask_b32_e64 v32, 0, 1, s[0:1]
	s_waitcnt lgkmcnt(6)
	v_mov_b64_e32 v[14:15], v[4:5]
	s_waitcnt lgkmcnt(5)
	v_mov_b64_e32 v[22:23], v[8:9]
	;; [unrolled: 2-line block ×7, first 2 shown]
	v_mov_b64_e32 v[16:17], v[52:53]
.LBB169_84:
	s_or_b64 exec, exec, s[6:7]
	s_waitcnt lgkmcnt(6)
	v_or_b32_e32 v4, v32, v80
	s_cmp_lg_u32 s47, 0
	s_waitcnt lgkmcnt(1)
	v_or_b32_e32 v36, v4, v91
	v_mbcnt_lo_u32_b32 v33, -1, 0
	s_waitcnt lgkmcnt(0)
	s_barrier
	s_cbranch_scc0 .LBB169_163
; %bb.85:
	v_mov_b32_e32 v8, 0
	v_cmp_gt_i64_e32 vcc, v[14:15], v[2:3]
	v_cmp_eq_u16_sdwa s[6:7], v82, v8 src0_sel:BYTE_0 src1_sel:DWORD
	v_cmp_eq_u16_sdwa s[8:9], v81, v8 src0_sel:BYTE_0 src1_sel:DWORD
	v_cndmask_b32_e32 v4, v2, v14, vcc
	v_cndmask_b32_e32 v5, v3, v15, vcc
	v_cndmask_b32_e64 v5, v15, v5, s[6:7]
	v_cndmask_b32_e64 v4, v14, v4, s[6:7]
	v_cmp_gt_i64_e32 vcc, v[6:7], v[4:5]
	v_cmp_eq_u16_sdwa s[10:11], v83, v8 src0_sel:BYTE_0 src1_sel:DWORD
	v_cmp_eq_u16_sdwa s[12:13], v84, v8 src0_sel:BYTE_0 src1_sel:DWORD
	v_cndmask_b32_e32 v4, v4, v6, vcc
	v_cndmask_b32_e32 v5, v5, v7, vcc
	v_cndmask_b32_e64 v5, v7, v5, s[8:9]
	v_cndmask_b32_e64 v4, v6, v4, s[8:9]
	;; [unrolled: 7-line block ×6, first 2 shown]
	v_cmp_gt_i64_e32 vcc, v[38:39], v[4:5]
	v_cmp_eq_u16_sdwa s[30:31], v32, v8 src0_sel:BYTE_0 src1_sel:DWORD
	v_and_b32_e32 v12, 0xff, v1
	v_cndmask_b32_e32 v4, v4, v38, vcc
	v_cndmask_b32_e32 v5, v5, v39, vcc
	v_cndmask_b32_e64 v5, v39, v5, s[18:19]
	v_cndmask_b32_e64 v4, v38, v4, s[18:19]
	v_cmp_gt_i64_e32 vcc, v[26:27], v[4:5]
	v_mbcnt_hi_u32_b32 v28, -1, v33
	s_nop 0
	v_cndmask_b32_e32 v4, v4, v26, vcc
	v_cndmask_b32_e32 v5, v5, v27, vcc
	v_cndmask_b32_e64 v5, v27, v5, s[20:21]
	v_cndmask_b32_e64 v4, v26, v4, s[20:21]
	v_cmp_gt_i64_e32 vcc, v[42:43], v[4:5]
	s_nop 1
	v_cndmask_b32_e32 v4, v4, v42, vcc
	v_cndmask_b32_e32 v5, v5, v43, vcc
	v_cndmask_b32_e64 v5, v43, v5, s[22:23]
	v_cndmask_b32_e64 v4, v42, v4, s[22:23]
	v_cmp_gt_i64_e32 vcc, v[34:35], v[4:5]
	;; [unrolled: 6-line block ×5, first 2 shown]
	s_nop 1
	v_cndmask_b32_e32 v4, v4, v16, vcc
	v_cndmask_b32_e64 v8, v16, v4, s[30:31]
	v_or_b32_e32 v4, v36, v90
	v_or_b32_e32 v4, v4, v89
	v_or_b32_e32 v4, v4, v88
	v_or_b32_e32 v4, v4, v87
	v_or_b32_e32 v4, v4, v86
	v_or_b32_e32 v4, v4, v85
	v_or_b32_e32 v4, v4, v84
	v_or_b32_e32 v4, v4, v83
	v_or_b32_e32 v4, v4, v81
	v_or_b32_e32 v4, v4, v82
	v_and_b32_e32 v4, 1, v4
	v_cndmask_b32_e32 v5, v5, v17, vcc
	v_cmp_eq_u32_e32 vcc, 1, v4
	v_cndmask_b32_e64 v9, v17, v5, s[30:31]
	v_mov_b32_dpp v4, v8 row_shr:1 row_mask:0xf bank_mask:0xf
	v_cndmask_b32_e64 v20, v12, 1, vcc
	v_and_b32_e32 v12, 15, v28
	v_mov_b32_dpp v5, v9 row_shr:1 row_mask:0xf bank_mask:0xf
	v_mov_b32_dpp v13, v20 row_shr:1 row_mask:0xf bank_mask:0xf
	v_cmp_ne_u32_e32 vcc, 0, v12
	s_and_saveexec_b64 s[0:1], vcc
; %bb.86:
	v_cmp_gt_i64_e32 vcc, v[8:9], v[4:5]
	s_nop 1
	v_cndmask_b32_e32 v4, v4, v8, vcc
	v_cndmask_b32_e32 v5, v5, v9, vcc
	v_cmp_eq_u32_e32 vcc, 0, v20
	v_and_or_b32 v20, v13, 1, v20
	s_nop 0
	v_cndmask_b32_e32 v9, v9, v5, vcc
	v_cndmask_b32_e32 v8, v8, v4, vcc
; %bb.87:
	s_or_b64 exec, exec, s[0:1]
	s_nop 0
	v_mov_b32_dpp v4, v8 row_shr:2 row_mask:0xf bank_mask:0xf
	v_mov_b32_dpp v5, v9 row_shr:2 row_mask:0xf bank_mask:0xf
	v_mov_b32_dpp v13, v20 row_shr:2 row_mask:0xf bank_mask:0xf
	v_cmp_lt_u32_e32 vcc, 1, v12
	s_and_saveexec_b64 s[0:1], vcc
; %bb.88:
	v_cmp_gt_i64_e32 vcc, v[8:9], v[4:5]
	s_nop 1
	v_cndmask_b32_e32 v4, v4, v8, vcc
	v_cndmask_b32_e32 v5, v5, v9, vcc
	v_cmp_eq_u32_e32 vcc, 0, v20
	s_nop 1
	v_cndmask_b32_e32 v8, v8, v4, vcc
	v_or_b32_e32 v4, v13, v20
	v_cndmask_b32_e32 v9, v9, v5, vcc
	v_and_b32_e32 v20, 1, v4
; %bb.89:
	s_or_b64 exec, exec, s[0:1]
	v_mov_b32_dpp v4, v8 row_shr:4 row_mask:0xf bank_mask:0xf
	v_mov_b32_dpp v5, v9 row_shr:4 row_mask:0xf bank_mask:0xf
	v_mov_b32_dpp v13, v20 row_shr:4 row_mask:0xf bank_mask:0xf
	v_cmp_lt_u32_e32 vcc, 3, v12
	s_and_saveexec_b64 s[0:1], vcc
; %bb.90:
	v_cmp_gt_i64_e32 vcc, v[8:9], v[4:5]
	s_nop 1
	v_cndmask_b32_e32 v4, v4, v8, vcc
	v_cndmask_b32_e32 v5, v5, v9, vcc
	v_cmp_eq_u32_e32 vcc, 0, v20
	s_nop 1
	v_cndmask_b32_e32 v8, v8, v4, vcc
	v_or_b32_e32 v4, v13, v20
	v_cndmask_b32_e32 v9, v9, v5, vcc
	v_and_b32_e32 v20, 1, v4
; %bb.91:
	s_or_b64 exec, exec, s[0:1]
	v_mov_b32_dpp v4, v8 row_shr:8 row_mask:0xf bank_mask:0xf
	v_mov_b32_dpp v5, v9 row_shr:8 row_mask:0xf bank_mask:0xf
	v_mov_b32_dpp v13, v20 row_shr:8 row_mask:0xf bank_mask:0xf
	v_cmp_lt_u32_e32 vcc, 7, v12
	s_and_saveexec_b64 s[0:1], vcc
; %bb.92:
	v_cmp_gt_i64_e32 vcc, v[8:9], v[4:5]
	s_nop 1
	v_cndmask_b32_e32 v4, v4, v8, vcc
	v_cndmask_b32_e32 v5, v5, v9, vcc
	v_cmp_eq_u32_e32 vcc, 0, v20
	s_nop 1
	v_cndmask_b32_e32 v8, v8, v4, vcc
	v_or_b32_e32 v4, v13, v20
	v_cndmask_b32_e32 v9, v9, v5, vcc
	v_and_b32_e32 v20, 1, v4
; %bb.93:
	s_or_b64 exec, exec, s[0:1]
	v_and_b32_e32 v13, 16, v28
	v_mov_b32_dpp v4, v8 row_bcast:15 row_mask:0xf bank_mask:0xf
	v_mov_b32_dpp v5, v9 row_bcast:15 row_mask:0xf bank_mask:0xf
	;; [unrolled: 1-line block ×3, first 2 shown]
	v_cmp_ne_u32_e32 vcc, 0, v13
	s_and_saveexec_b64 s[0:1], vcc
; %bb.94:
	v_cmp_gt_i64_e32 vcc, v[8:9], v[4:5]
	s_nop 1
	v_cndmask_b32_e32 v4, v4, v8, vcc
	v_cndmask_b32_e32 v5, v5, v9, vcc
	v_cmp_eq_u32_e32 vcc, 0, v20
	s_nop 1
	v_cndmask_b32_e32 v8, v8, v4, vcc
	v_or_b32_e32 v4, v12, v20
	v_cndmask_b32_e32 v9, v9, v5, vcc
	v_and_b32_e32 v20, 1, v4
; %bb.95:
	s_or_b64 exec, exec, s[0:1]
	v_mov_b32_dpp v4, v8 row_bcast:31 row_mask:0xf bank_mask:0xf
	v_mov_b32_dpp v5, v9 row_bcast:31 row_mask:0xf bank_mask:0xf
	;; [unrolled: 1-line block ×3, first 2 shown]
	v_cmp_lt_u32_e32 vcc, 31, v28
	v_mov_b32_e32 v12, v20
	s_and_saveexec_b64 s[0:1], vcc
; %bb.96:
	v_cmp_gt_i64_e32 vcc, v[8:9], v[4:5]
	s_nop 1
	v_cndmask_b32_e32 v4, v4, v8, vcc
	v_cndmask_b32_e32 v5, v5, v9, vcc
	v_cmp_eq_u32_e32 vcc, 0, v20
	s_nop 1
	v_cndmask_b32_e32 v8, v8, v4, vcc
	v_or_b32_e32 v4, v13, v20
	v_cndmask_b32_e32 v9, v9, v5, vcc
	v_and_b32_e32 v12, 1, v4
	v_and_b32_e32 v20, 1, v4
; %bb.97:
	s_or_b64 exec, exec, s[0:1]
	v_or_b32_e32 v4, 63, v0
	v_lshrrev_b32_e32 v21, 6, v0
	v_cmp_eq_u32_e32 vcc, v4, v0
	s_and_saveexec_b64 s[0:1], vcc
	s_cbranch_execz .LBB169_99
; %bb.98:
	v_lshlrev_b32_e32 v4, 4, v21
	ds_write_b64 v4, v[8:9]
	ds_write_b8 v4, v12 offset:8
.LBB169_99:
	s_or_b64 exec, exec, s[0:1]
	v_cmp_gt_u32_e32 vcc, 4, v0
	s_waitcnt lgkmcnt(0)
	s_barrier
	s_and_saveexec_b64 s[34:35], vcc
	s_cbranch_execz .LBB169_105
; %bb.100:
	v_lshlrev_b32_e32 v24, 4, v0
	ds_read_b64 v[4:5], v24
	ds_read_b32 v25, v24 offset:8
	v_and_b32_e32 v29, 3, v28
	v_cmp_ne_u32_e32 vcc, 0, v29
	s_waitcnt lgkmcnt(1)
	v_mov_b32_dpp v12, v4 row_shr:1 row_mask:0xf bank_mask:0xf
	v_mov_b32_dpp v13, v5 row_shr:1 row_mask:0xf bank_mask:0xf
	s_waitcnt lgkmcnt(0)
	v_mov_b32_dpp v44, v25 row_shr:1 row_mask:0xf bank_mask:0xf
	v_mov_b32_e32 v41, v25
	v_mov_b32_e32 v37, v25
	s_and_saveexec_b64 s[0:1], vcc
	s_cbranch_execz .LBB169_102
; %bb.101:
	v_mov_b32_e32 v37, 0
	v_cmp_gt_i64_e32 vcc, v[4:5], v[12:13]
	s_movk_i32 s50, 0xff00
	s_nop 0
	v_cndmask_b32_e32 v12, v12, v4, vcc
	v_cndmask_b32_e32 v13, v13, v5, vcc
	v_cmp_eq_u16_sdwa vcc, v25, v37 src0_sel:BYTE_0 src1_sel:DWORD
	s_nop 1
	v_cndmask_b32_e32 v4, v4, v12, vcc
	v_or_b32_e32 v12, v44, v25
	v_and_b32_e32 v37, 1, v12
	v_cndmask_b32_e32 v5, v5, v13, vcc
	v_and_b32_e32 v41, 1, v12
	v_and_or_b32 v25, v25, s50, v37
.LBB169_102:
	s_or_b64 exec, exec, s[0:1]
	v_mov_b32_dpp v12, v4 row_shr:2 row_mask:0xf bank_mask:0xf
	v_mov_b32_dpp v13, v5 row_shr:2 row_mask:0xf bank_mask:0xf
	;; [unrolled: 1-line block ×3, first 2 shown]
	v_cmp_lt_u32_e32 vcc, 1, v29
	s_and_saveexec_b64 s[50:51], vcc
	s_cbranch_execz .LBB169_104
; %bb.103:
	v_mov_b32_e32 v29, 0
	v_cmp_gt_i64_e32 vcc, v[4:5], v[12:13]
	s_nop 1
	v_cndmask_b32_e32 v12, v12, v4, vcc
	v_cndmask_b32_e32 v13, v13, v5, vcc
	v_cmp_eq_u16_sdwa vcc, v37, v29 src0_sel:BYTE_0 src1_sel:DWORD
	s_nop 1
	v_cndmask_b32_e32 v4, v4, v12, vcc
	v_and_b32_e32 v12, 1, v37
	v_cndmask_b32_e32 v5, v5, v13, vcc
	v_cmp_eq_u32_e32 vcc, 1, v12
	v_and_b32_e32 v12, 1, v25
	v_cmp_eq_u32_e64 s[0:1], 1, v12
	s_or_b64 s[0:1], vcc, s[0:1]
	s_nop 0
	v_cndmask_b32_e64 v41, 0, 1, s[0:1]
.LBB169_104:
	s_or_b64 exec, exec, s[50:51]
	ds_write_b64 v24, v[4:5]
	ds_write_b8 v24, v41 offset:8
.LBB169_105:
	s_or_b64 exec, exec, s[34:35]
	v_cmp_gt_u32_e32 vcc, 64, v0
	v_cmp_lt_u32_e64 s[0:1], 63, v0
	v_mov_b32_e32 v37, 0
	v_mov_b64_e32 v[4:5], 0
	s_waitcnt lgkmcnt(0)
	s_barrier
	s_and_saveexec_b64 s[34:35], s[0:1]
	s_cbranch_execz .LBB169_107
; %bb.106:
	v_lshl_add_u32 v12, v21, 4, -16
	ds_read_b64 v[4:5], v12
	ds_read_u8 v37, v12 offset:8
	s_waitcnt lgkmcnt(1)
	v_cmp_gt_i64_e64 s[0:1], v[8:9], v[4:5]
	s_nop 1
	v_cndmask_b32_e64 v12, v4, v8, s[0:1]
	v_cndmask_b32_e64 v13, v5, v9, s[0:1]
	v_cmp_eq_u32_e64 s[0:1], 0, v20
	s_nop 1
	v_cndmask_b32_e64 v8, v8, v12, s[0:1]
	v_and_b32_e32 v12, 1, v20
	v_cndmask_b32_e64 v9, v9, v13, s[0:1]
	v_cmp_eq_u32_e64 s[0:1], 1, v12
	s_waitcnt lgkmcnt(0)
	s_nop 0
	v_cndmask_b32_e64 v20, v37, 1, s[0:1]
.LBB169_107:
	s_or_b64 exec, exec, s[34:35]
	v_add_u32_e32 v12, -1, v28
	v_and_b32_e32 v13, 64, v28
	v_cmp_lt_i32_e64 s[0:1], v12, v13
	v_cmp_eq_u32_e64 s[34:35], 0, v28
	s_nop 0
	v_cndmask_b32_e64 v12, v12, v28, s[0:1]
	v_lshlrev_b32_e32 v12, 2, v12
	ds_bpermute_b32 v41, v12, v8
	ds_bpermute_b32 v44, v12, v9
	;; [unrolled: 1-line block ×3, first 2 shown]
	s_and_saveexec_b64 s[50:51], vcc
	s_cbranch_execz .LBB169_150
; %bb.108:
	v_mov_b32_e32 v13, 0
	ds_read2_b64 v[48:51], v13 offset0:6 offset1:7
	s_and_saveexec_b64 s[0:1], s[34:35]
	s_cbranch_execz .LBB169_110
; %bb.109:
	s_add_i32 s52, s47, 64
	s_mov_b32 s53, 0
	s_lshl_b64 s[56:57], s[52:53], 4
	s_add_u32 s56, s40, s56
	s_addc_u32 s57, s41, s57
	v_mov_b32_e32 v8, s52
	v_mov_b32_e32 v9, 1
	s_waitcnt lgkmcnt(0)
	global_store_dword v13, v48, s[56:57] sc1
	global_store_dword v13, v49, s[56:57] offset:4 sc1
	global_store_dword v13, v50, s[56:57] offset:8 sc1
	;; [unrolled: 1-line block ×3, first 2 shown]
	s_waitcnt vmcnt(0)
	global_store_byte v8, v9, s[44:45] sc1
.LBB169_110:
	s_or_b64 exec, exec, s[0:1]
	v_xad_u32 v8, v28, -1, s47
	v_add_u32_e32 v12, 64, v8
	s_waitcnt lgkmcnt(0)
	global_load_ubyte v51, v12, s[44:45] sc1
	s_waitcnt vmcnt(0)
	v_cmp_eq_u16_e32 vcc, 0, v51
	s_and_saveexec_b64 s[0:1], vcc
	s_cbranch_execz .LBB169_114
; %bb.111:
	v_lshl_add_u64 v[20:21], s[44:45], 0, v[12:13]
	s_mov_b64 s[52:53], 0
.LBB169_112:                            ; =>This Inner Loop Header: Depth=1
	global_load_ubyte v51, v[20:21], off sc1
	s_waitcnt vmcnt(0)
	v_cmp_ne_u16_e32 vcc, 0, v51
	s_or_b64 s[52:53], vcc, s[52:53]
	s_andn2_b64 exec, exec, s[52:53]
	s_cbranch_execnz .LBB169_112
; %bb.113:
	s_or_b64 exec, exec, s[52:53]
.LBB169_114:
	s_or_b64 exec, exec, s[0:1]
	v_mov_b32_e32 v9, s43
	v_mov_b32_e32 v20, s41
	v_cmp_eq_u16_e32 vcc, 1, v51
	s_waitcnt vmcnt(0)
	s_nop 0
	v_cndmask_b32_e32 v21, v9, v20, vcc
	v_mov_b32_e32 v9, s42
	v_mov_b32_e32 v20, s40
	v_cndmask_b32_e32 v20, v9, v20, vcc
	v_lshl_add_u64 v[12:13], v[12:13], 4, v[20:21]
	global_load_dword v24, v[12:13], off sc1
	global_load_dword v25, v[12:13], off offset:4 sc1
	global_load_dword v29, v[12:13], off offset:8 sc1
	;; [unrolled: 1-line block ×3, first 2 shown]
	v_cmp_eq_u16_e32 vcc, 2, v51
	v_lshlrev_b64 v[12:13], v28, -1
	v_and_b32_e32 v52, 63, v28
	s_waitcnt vmcnt(0)
	v_and_b32_e32 v9, vcc_hi, v13
	v_and_b32_e32 v55, vcc_lo, v12
	v_cmp_ne_u32_e32 vcc, 63, v52
	v_or_b32_e32 v9, 0x80000000, v9
	v_ffbl_b32_e32 v9, v9
	v_addc_co_u32_e32 v20, vcc, 0, v28, vcc
	v_lshlrev_b32_e32 v53, 2, v20
	v_add_u32_e32 v9, 32, v9
	v_ffbl_b32_e32 v55, v55
	v_min_u32_e32 v9, v55, v9
	v_cmp_lt_u32_e32 vcc, v52, v9
	ds_bpermute_b32 v20, v53, v24
	ds_bpermute_b32 v21, v53, v25
	v_and_b32_e32 v62, 0xff, v29
	ds_bpermute_b32 v54, v53, v62
	s_and_saveexec_b64 s[0:1], vcc
	s_cbranch_execz .LBB169_116
; %bb.115:
	v_mov_b32_e32 v55, 0
	s_waitcnt lgkmcnt(1)
	v_cmp_gt_i64_e32 vcc, v[24:25], v[20:21]
	s_nop 1
	v_cndmask_b32_e32 v20, v20, v24, vcc
	v_cndmask_b32_e32 v21, v21, v25, vcc
	v_cmp_eq_u16_sdwa vcc, v29, v55 src0_sel:BYTE_0 src1_sel:DWORD
	s_nop 1
	v_cndmask_b32_e32 v24, v24, v20, vcc
	s_waitcnt lgkmcnt(0)
	v_or_b32_e32 v20, v54, v29
	v_cndmask_b32_e32 v25, v25, v21, vcc
	v_and_b32_e32 v29, 1, v20
	v_and_b32_e32 v62, 1, v20
.LBB169_116:
	s_or_b64 exec, exec, s[0:1]
	v_cmp_gt_u32_e32 vcc, 62, v52
	v_add_u32_e32 v55, 2, v52
	s_waitcnt lgkmcnt(2)
	v_cndmask_b32_e64 v20, 0, 1, vcc
	v_lshlrev_b32_e32 v20, 1, v20
	s_waitcnt lgkmcnt(0)
	v_add_lshl_u32 v54, v20, v28, 2
	ds_bpermute_b32 v20, v54, v24
	ds_bpermute_b32 v21, v54, v25
	ds_bpermute_b32 v56, v54, v62
	v_cmp_le_u32_e32 vcc, v55, v9
	s_and_saveexec_b64 s[52:53], vcc
	s_cbranch_execz .LBB169_118
; %bb.117:
	v_mov_b32_e32 v57, 0
	s_waitcnt lgkmcnt(1)
	v_cmp_gt_i64_e32 vcc, v[24:25], v[20:21]
	s_nop 1
	v_cndmask_b32_e32 v20, v20, v24, vcc
	v_cndmask_b32_e32 v21, v21, v25, vcc
	v_cmp_eq_u16_sdwa vcc, v29, v57 src0_sel:BYTE_0 src1_sel:DWORD
	s_nop 1
	v_cndmask_b32_e32 v24, v24, v20, vcc
	v_and_b32_e32 v20, 1, v29
	v_cndmask_b32_e32 v25, v25, v21, vcc
	v_cmp_eq_u32_e32 vcc, 1, v20
	s_waitcnt lgkmcnt(0)
	v_and_b32_e32 v20, 1, v56
	v_cmp_eq_u32_e64 s[0:1], 1, v20
	s_or_b64 s[0:1], vcc, s[0:1]
	s_nop 0
	v_cndmask_b32_e64 v29, 0, 1, s[0:1]
	v_cndmask_b32_e64 v62, 0, 1, s[0:1]
.LBB169_118:
	s_or_b64 exec, exec, s[52:53]
	v_cmp_gt_u32_e32 vcc, 60, v52
	v_add_u32_e32 v57, 4, v52
	s_waitcnt lgkmcnt(2)
	v_cndmask_b32_e64 v20, 0, 1, vcc
	v_lshlrev_b32_e32 v20, 2, v20
	s_waitcnt lgkmcnt(0)
	v_add_lshl_u32 v56, v20, v28, 2
	ds_bpermute_b32 v20, v56, v24
	ds_bpermute_b32 v21, v56, v25
	ds_bpermute_b32 v58, v56, v62
	v_cmp_le_u32_e32 vcc, v57, v9
	s_and_saveexec_b64 s[52:53], vcc
	s_cbranch_execz .LBB169_120
; %bb.119:
	v_mov_b32_e32 v59, 0
	s_waitcnt lgkmcnt(1)
	v_cmp_gt_i64_e32 vcc, v[24:25], v[20:21]
	s_nop 1
	v_cndmask_b32_e32 v20, v20, v24, vcc
	v_cndmask_b32_e32 v21, v21, v25, vcc
	v_cmp_eq_u16_sdwa vcc, v29, v59 src0_sel:BYTE_0 src1_sel:DWORD
	s_nop 1
	v_cndmask_b32_e32 v24, v24, v20, vcc
	v_and_b32_e32 v20, 1, v29
	v_cndmask_b32_e32 v25, v25, v21, vcc
	v_cmp_eq_u32_e32 vcc, 1, v20
	s_waitcnt lgkmcnt(0)
	v_and_b32_e32 v20, 1, v58
	v_cmp_eq_u32_e64 s[0:1], 1, v20
	s_or_b64 s[0:1], vcc, s[0:1]
	s_nop 0
	v_cndmask_b32_e64 v29, 0, 1, s[0:1]
	v_cndmask_b32_e64 v62, 0, 1, s[0:1]
.LBB169_120:
	;; [unrolled: 35-line block ×4, first 2 shown]
	s_or_b64 exec, exec, s[52:53]
	v_cmp_gt_u32_e32 vcc, 32, v52
	v_add_u32_e32 v64, 32, v52
	s_waitcnt lgkmcnt(2)
	v_cndmask_b32_e64 v20, 0, 1, vcc
	v_lshlrev_b32_e32 v20, 5, v20
	s_waitcnt lgkmcnt(0)
	v_add_lshl_u32 v63, v20, v28, 2
	ds_bpermute_b32 v20, v63, v24
	ds_bpermute_b32 v21, v63, v25
	;; [unrolled: 1-line block ×3, first 2 shown]
	v_cmp_le_u32_e32 vcc, v64, v9
	s_and_saveexec_b64 s[52:53], vcc
	s_cbranch_execz .LBB169_126
; %bb.125:
	v_mov_b32_e32 v9, 0
	s_waitcnt lgkmcnt(1)
	v_cmp_gt_i64_e32 vcc, v[24:25], v[20:21]
	s_nop 1
	v_cndmask_b32_e32 v20, v20, v24, vcc
	v_cndmask_b32_e32 v21, v21, v25, vcc
	v_cmp_eq_u16_sdwa vcc, v29, v9 src0_sel:BYTE_0 src1_sel:DWORD
	v_and_b32_e32 v9, 1, v29
	s_nop 0
	v_cndmask_b32_e32 v25, v25, v21, vcc
	v_cndmask_b32_e32 v24, v24, v20, vcc
	v_cmp_eq_u32_e32 vcc, 1, v9
	s_waitcnt lgkmcnt(0)
	v_and_b32_e32 v9, 1, v28
	v_cmp_eq_u32_e64 s[0:1], 1, v9
	s_or_b64 s[0:1], vcc, s[0:1]
	s_nop 0
	v_cndmask_b32_e64 v29, 0, 1, s[0:1]
.LBB169_126:
	s_or_b64 exec, exec, s[52:53]
	v_mov_b32_e32 v9, 0
	v_mov_b32_e32 v65, 2
	s_branch .LBB169_128
.LBB169_127:                            ;   in Loop: Header=BB169_128 Depth=1
	s_or_b64 exec, exec, s[56:57]
	v_cmp_gt_i64_e32 vcc, v[20:21], v[24:25]
	s_waitcnt lgkmcnt(2)
	v_and_b32_e32 v28, 1, v62
	v_subrev_u32_e32 v8, 64, v8
	v_cndmask_b32_e32 v24, v24, v20, vcc
	v_cndmask_b32_e32 v25, v25, v21, vcc
	v_cmp_eq_u16_sdwa vcc, v62, v9 src0_sel:BYTE_0 src1_sel:DWORD
	s_nop 1
	v_cndmask_b32_e32 v25, v21, v25, vcc
	v_cndmask_b32_e32 v24, v20, v24, vcc
	v_cmp_eq_u32_e32 vcc, 1, v28
	s_or_b64 s[0:1], vcc, s[52:53]
	s_waitcnt lgkmcnt(1)
	v_cndmask_b32_e64 v29, 0, 1, s[0:1]
.LBB169_128:                            ; =>This Loop Header: Depth=1
                                        ;     Child Loop BB169_131 Depth 2
	v_cmp_ne_u16_sdwa s[0:1], v51, v65 src0_sel:BYTE_0 src1_sel:DWORD
	v_mov_b32_e32 v62, v29
	s_waitcnt lgkmcnt(2)
	v_cndmask_b32_e64 v20, 0, 1, s[0:1]
	;;#ASMSTART
	;;#ASMEND
	s_nop 0
	v_cmp_ne_u32_e32 vcc, 0, v20
	s_cmp_lg_u64 vcc, exec
	s_waitcnt lgkmcnt(1)
	v_mov_b64_e32 v[20:21], v[24:25]
	s_cbranch_scc1 .LBB169_145
; %bb.129:                              ;   in Loop: Header=BB169_128 Depth=1
	global_load_ubyte v51, v8, s[44:45] sc1
	s_waitcnt vmcnt(0)
	v_cmp_eq_u16_e32 vcc, 0, v51
	s_and_saveexec_b64 s[0:1], vcc
	s_cbranch_execz .LBB169_133
; %bb.130:                              ;   in Loop: Header=BB169_128 Depth=1
	v_lshl_add_u64 v[24:25], s[44:45], 0, v[8:9]
	s_mov_b64 s[52:53], 0
.LBB169_131:                            ;   Parent Loop BB169_128 Depth=1
                                        ; =>  This Inner Loop Header: Depth=2
	global_load_ubyte v51, v[24:25], off sc1
	s_waitcnt vmcnt(0)
	v_cmp_ne_u16_e32 vcc, 0, v51
	s_or_b64 s[52:53], vcc, s[52:53]
	s_andn2_b64 exec, exec, s[52:53]
	s_cbranch_execnz .LBB169_131
; %bb.132:                              ;   in Loop: Header=BB169_128 Depth=1
	s_or_b64 exec, exec, s[52:53]
.LBB169_133:                            ;   in Loop: Header=BB169_128 Depth=1
	s_or_b64 exec, exec, s[0:1]
	v_mov_b32_e32 v24, s43
	v_mov_b32_e32 v25, s41
	v_cmp_eq_u16_e32 vcc, 1, v51
	s_waitcnt lgkmcnt(0)
	v_mov_b32_e32 v28, s40
	s_waitcnt vmcnt(0)
	v_cndmask_b32_e32 v25, v24, v25, vcc
	v_mov_b32_e32 v24, s42
	v_cndmask_b32_e32 v24, v24, v28, vcc
	v_lshl_add_u64 v[28:29], v[8:9], 4, v[24:25]
	global_load_dword v24, v[28:29], off sc1
	global_load_dword v25, v[28:29], off offset:4 sc1
	global_load_dword v66, v[28:29], off offset:8 sc1
	s_nop 0
	global_load_dword v28, v[28:29], off offset:12 sc1
	v_cmp_eq_u16_e32 vcc, 2, v51
	s_waitcnt vmcnt(2)
	ds_bpermute_b32 v29, v53, v25
	s_waitcnt vmcnt(0)
	v_and_b32_e32 v28, vcc_hi, v13
	v_or_b32_e32 v28, 0x80000000, v28
	v_and_b32_e32 v68, 0xff, v66
	v_ffbl_b32_e32 v70, v28
	ds_bpermute_b32 v28, v53, v24
	ds_bpermute_b32 v69, v53, v68
	v_and_b32_e32 v67, vcc_lo, v12
	v_add_u32_e32 v70, 32, v70
	v_ffbl_b32_e32 v67, v67
	v_min_u32_e32 v67, v67, v70
	v_cmp_lt_u32_e32 vcc, v52, v67
	s_and_saveexec_b64 s[0:1], vcc
	s_cbranch_execz .LBB169_135
; %bb.134:                              ;   in Loop: Header=BB169_128 Depth=1
	s_waitcnt lgkmcnt(1)
	v_cmp_gt_i64_e32 vcc, v[24:25], v[28:29]
	s_nop 1
	v_cndmask_b32_e32 v28, v28, v24, vcc
	v_cndmask_b32_e32 v29, v29, v25, vcc
	v_cmp_eq_u16_sdwa vcc, v66, v9 src0_sel:BYTE_0 src1_sel:DWORD
	s_nop 1
	v_cndmask_b32_e32 v24, v24, v28, vcc
	s_waitcnt lgkmcnt(0)
	v_or_b32_e32 v28, v69, v66
	v_cndmask_b32_e32 v25, v25, v29, vcc
	v_and_b32_e32 v66, 1, v28
	v_and_b32_e32 v68, 1, v28
.LBB169_135:                            ;   in Loop: Header=BB169_128 Depth=1
	s_or_b64 exec, exec, s[0:1]
	s_waitcnt lgkmcnt(1)
	ds_bpermute_b32 v28, v54, v24
	ds_bpermute_b32 v29, v54, v25
	s_waitcnt lgkmcnt(2)
	ds_bpermute_b32 v69, v54, v68
	v_and_b32_e32 v70, 1, v66
	v_cmp_le_u32_e32 vcc, v55, v67
	v_cmp_eq_u32_e64 s[52:53], 1, v70
	s_and_saveexec_b64 s[0:1], vcc
	s_cbranch_execz .LBB169_137
; %bb.136:                              ;   in Loop: Header=BB169_128 Depth=1
	s_waitcnt lgkmcnt(1)
	v_cmp_gt_i64_e32 vcc, v[24:25], v[28:29]
	s_nop 1
	v_cndmask_b32_e32 v28, v28, v24, vcc
	v_cndmask_b32_e32 v29, v29, v25, vcc
	v_cmp_eq_u16_sdwa vcc, v66, v9 src0_sel:BYTE_0 src1_sel:DWORD
	s_nop 1
	v_cndmask_b32_e32 v24, v24, v28, vcc
	s_waitcnt lgkmcnt(0)
	v_and_b32_e32 v28, 1, v69
	v_cndmask_b32_e32 v25, v25, v29, vcc
	v_cmp_eq_u32_e32 vcc, 1, v28
	s_or_b64 s[56:57], s[52:53], vcc
	v_cndmask_b32_e64 v66, 0, 1, s[56:57]
	v_cndmask_b32_e64 v68, 0, 1, s[56:57]
	s_andn2_b64 s[52:53], s[52:53], exec
	s_and_b64 s[56:57], s[56:57], exec
	s_or_b64 s[52:53], s[52:53], s[56:57]
.LBB169_137:                            ;   in Loop: Header=BB169_128 Depth=1
	s_or_b64 exec, exec, s[0:1]
	s_waitcnt lgkmcnt(2)
	ds_bpermute_b32 v28, v56, v24
	s_waitcnt lgkmcnt(2)
	ds_bpermute_b32 v29, v56, v25
	s_waitcnt lgkmcnt(2)
	ds_bpermute_b32 v69, v56, v68
	v_cmp_le_u32_e32 vcc, v57, v67
	s_and_saveexec_b64 s[56:57], vcc
	s_cbranch_execz .LBB169_139
; %bb.138:                              ;   in Loop: Header=BB169_128 Depth=1
	s_waitcnt lgkmcnt(1)
	v_cmp_gt_i64_e32 vcc, v[24:25], v[28:29]
	s_andn2_b64 s[52:53], s[52:53], exec
	s_nop 0
	v_cndmask_b32_e32 v28, v28, v24, vcc
	v_cndmask_b32_e32 v29, v29, v25, vcc
	v_cmp_eq_u16_sdwa vcc, v66, v9 src0_sel:BYTE_0 src1_sel:DWORD
	s_nop 1
	v_cndmask_b32_e32 v24, v24, v28, vcc
	v_and_b32_e32 v28, 1, v66
	v_cndmask_b32_e32 v25, v25, v29, vcc
	v_cmp_eq_u32_e32 vcc, 1, v28
	s_waitcnt lgkmcnt(0)
	v_and_b32_e32 v28, 1, v69
	v_cmp_eq_u32_e64 s[0:1], 1, v28
	s_or_b64 s[0:1], vcc, s[0:1]
	s_nop 0
	v_cndmask_b32_e64 v66, 0, 1, s[0:1]
	v_cndmask_b32_e64 v68, 0, 1, s[0:1]
	s_and_b64 s[0:1], s[0:1], exec
	s_or_b64 s[52:53], s[52:53], s[0:1]
.LBB169_139:                            ;   in Loop: Header=BB169_128 Depth=1
	s_or_b64 exec, exec, s[56:57]
	s_waitcnt lgkmcnt(2)
	ds_bpermute_b32 v28, v58, v24
	s_waitcnt lgkmcnt(2)
	ds_bpermute_b32 v29, v58, v25
	s_waitcnt lgkmcnt(2)
	ds_bpermute_b32 v69, v58, v68
	v_cmp_le_u32_e32 vcc, v59, v67
	s_and_saveexec_b64 s[56:57], vcc
	s_cbranch_execz .LBB169_141
; %bb.140:                              ;   in Loop: Header=BB169_128 Depth=1
	s_waitcnt lgkmcnt(1)
	v_cmp_gt_i64_e32 vcc, v[24:25], v[28:29]
	s_andn2_b64 s[52:53], s[52:53], exec
	s_nop 0
	v_cndmask_b32_e32 v28, v28, v24, vcc
	v_cndmask_b32_e32 v29, v29, v25, vcc
	v_cmp_eq_u16_sdwa vcc, v66, v9 src0_sel:BYTE_0 src1_sel:DWORD
	s_nop 1
	v_cndmask_b32_e32 v24, v24, v28, vcc
	v_and_b32_e32 v28, 1, v66
	v_cndmask_b32_e32 v25, v25, v29, vcc
	v_cmp_eq_u32_e32 vcc, 1, v28
	s_waitcnt lgkmcnt(0)
	v_and_b32_e32 v28, 1, v69
	v_cmp_eq_u32_e64 s[0:1], 1, v28
	s_or_b64 s[0:1], vcc, s[0:1]
	s_nop 0
	v_cndmask_b32_e64 v66, 0, 1, s[0:1]
	v_cndmask_b32_e64 v68, 0, 1, s[0:1]
	s_and_b64 s[0:1], s[0:1], exec
	s_or_b64 s[52:53], s[52:53], s[0:1]
.LBB169_141:                            ;   in Loop: Header=BB169_128 Depth=1
	;; [unrolled: 33-line block ×3, first 2 shown]
	s_or_b64 exec, exec, s[56:57]
	s_waitcnt lgkmcnt(2)
	ds_bpermute_b32 v28, v63, v24
	s_waitcnt lgkmcnt(2)
	ds_bpermute_b32 v29, v63, v25
	ds_bpermute_b32 v68, v63, v68
	v_cmp_le_u32_e32 vcc, v64, v67
	s_and_saveexec_b64 s[56:57], vcc
	s_cbranch_execz .LBB169_127
; %bb.144:                              ;   in Loop: Header=BB169_128 Depth=1
	s_waitcnt lgkmcnt(1)
	v_cmp_gt_i64_e32 vcc, v[24:25], v[28:29]
	s_andn2_b64 s[52:53], s[52:53], exec
	s_nop 0
	v_cndmask_b32_e32 v28, v28, v24, vcc
	v_cndmask_b32_e32 v29, v29, v25, vcc
	v_cmp_eq_u16_sdwa vcc, v66, v9 src0_sel:BYTE_0 src1_sel:DWORD
	s_nop 1
	v_cndmask_b32_e32 v24, v24, v28, vcc
	v_and_b32_e32 v28, 1, v66
	v_cndmask_b32_e32 v25, v25, v29, vcc
	v_cmp_eq_u32_e32 vcc, 1, v28
	s_waitcnt lgkmcnt(0)
	v_and_b32_e32 v28, 1, v68
	v_cmp_eq_u32_e64 s[0:1], 1, v28
	s_or_b64 s[0:1], vcc, s[0:1]
	s_and_b64 s[0:1], s[0:1], exec
	s_or_b64 s[52:53], s[52:53], s[0:1]
	s_branch .LBB169_127
.LBB169_145:                            ;   in Loop: Header=BB169_128 Depth=1
                                        ; implicit-def: $vgpr29
                                        ; implicit-def: $vgpr24_vgpr25
                                        ; implicit-def: $vgpr51
	s_cbranch_execz .LBB169_128
; %bb.146:
	s_and_saveexec_b64 s[0:1], s[34:35]
	s_cbranch_execz .LBB169_148
; %bb.147:
	s_mov_b32 s41, 0
	s_add_i32 s40, s47, 64
	v_mov_b32_e32 v8, 0
	v_cmp_gt_i64_e32 vcc, v[48:49], v[20:21]
	s_lshl_b64 s[52:53], s[40:41], 4
	v_and_b32_e32 v13, 1, v50
	v_cndmask_b32_e32 v9, v20, v48, vcc
	v_cndmask_b32_e32 v12, v21, v49, vcc
	v_cmp_eq_u32_sdwa vcc, v50, v8 src0_sel:BYTE_0 src1_sel:DWORD
	s_add_u32 s52, s42, s52
	v_and_b32_e32 v24, 1, v62
	v_cndmask_b32_e32 v12, v49, v12, vcc
	v_cndmask_b32_e32 v9, v48, v9, vcc
	v_cmp_eq_u32_e32 vcc, 1, v13
	s_addc_u32 s53, s43, s53
	s_nop 0
	v_cndmask_b32_e64 v13, v24, 1, vcc
	global_store_dword v8, v9, s[52:53] sc1
	global_store_dword v8, v12, s[52:53] offset:4 sc1
	global_store_dword v8, v13, s[52:53] offset:8 sc1
	;; [unrolled: 1-line block ×3, first 2 shown]
	v_mov_b32_e32 v8, s40
	v_mov_b32_e32 v9, 2
	s_waitcnt vmcnt(0) lgkmcnt(0)
	global_store_byte v8, v9, s[44:45] sc1
.LBB169_148:
	s_or_b64 exec, exec, s[0:1]
	s_and_b64 exec, exec, s[36:37]
	s_cbranch_execz .LBB169_150
; %bb.149:
	v_mov_b32_e32 v8, 0
	ds_write_b64 v8, v[20:21] offset:48
	ds_write_b8 v8, v62 offset:56
.LBB169_150:
	s_or_b64 exec, exec, s[50:51]
	s_waitcnt lgkmcnt(0)
	v_cndmask_b32_e64 v12, v45, v37, s[34:35]
	v_mov_b32_e32 v13, 0
	v_and_b32_e32 v20, 1, v1
	v_and_b32_e32 v12, 1, v12
	v_cndmask_b32_e64 v5, v44, v5, s[34:35]
	v_cndmask_b32_e64 v4, v41, v4, s[34:35]
	s_barrier
	ds_read_b64 v[8:9], v13 offset:48
	v_cmp_eq_u32_e32 vcc, 1, v20
	v_cmp_eq_u32_e64 s[0:1], 1, v12
	s_or_b64 s[0:1], vcc, s[0:1]
	v_cmp_gt_i64_e32 vcc, v[2:3], v[4:5]
	v_cndmask_b32_e64 v12, 0, 1, s[0:1]
	v_cndmask_b32_e64 v12, v12, v1, s[36:37]
	v_cndmask_b32_e32 v5, v5, v3, vcc
	v_cndmask_b32_e32 v4, v4, v2, vcc
	v_cmp_eq_u16_sdwa vcc, v1, v13 src0_sel:BYTE_0 src1_sel:DWORD
	s_nop 1
	v_cndmask_b32_e32 v4, v2, v4, vcc
	v_cndmask_b32_e32 v5, v3, v5, vcc
	v_cndmask_b32_e64 v5, v5, v3, s[36:37]
	v_cndmask_b32_e64 v4, v4, v2, s[36:37]
	s_waitcnt lgkmcnt(0)
	v_cmp_gt_i64_e32 vcc, v[4:5], v[8:9]
	s_nop 1
	v_cndmask_b32_e32 v8, v8, v4, vcc
	v_cndmask_b32_e32 v9, v9, v5, vcc
	v_cmp_eq_u16_sdwa vcc, v12, v13 src0_sel:BYTE_0 src1_sel:DWORD
	s_nop 1
	v_cndmask_b32_e32 v49, v5, v9, vcc
	v_cndmask_b32_e32 v48, v4, v8, vcc
	v_cmp_gt_i64_e32 vcc, v[14:15], v[48:49]
	s_nop 1
	v_cndmask_b32_e32 v4, v48, v14, vcc
	v_cndmask_b32_e32 v5, v49, v15, vcc
	v_cndmask_b32_e64 v51, v15, v5, s[6:7]
	v_cndmask_b32_e64 v50, v14, v4, s[6:7]
	v_cmp_gt_i64_e32 vcc, v[6:7], v[50:51]
	s_nop 1
	v_cndmask_b32_e32 v4, v50, v6, vcc
	v_cndmask_b32_e32 v5, v51, v7, vcc
	v_cndmask_b32_e64 v53, v7, v5, s[8:9]
	v_cndmask_b32_e64 v52, v6, v4, s[8:9]
	;; [unrolled: 6-line block ×13, first 2 shown]
	s_branch .LBB169_193
.LBB169_151:
	s_or_b64 exec, exec, s[0:1]
                                        ; implicit-def: $vgpr6_vgpr7
	s_and_saveexec_b64 s[0:1], s[6:7]
	s_cbranch_execz .LBB169_37
.LBB169_152:
	v_mov_b32_e32 v7, s57
	v_sub_co_u32_e32 v6, vcc, s56, v1
	s_nop 1
	v_subbrev_co_u32_e32 v7, vcc, 0, v7, vcc
	flat_load_dwordx2 v[6:7], v[6:7]
	s_or_b64 exec, exec, s[0:1]
                                        ; implicit-def: $vgpr8_vgpr9
	s_and_saveexec_b64 s[0:1], s[8:9]
	s_cbranch_execnz .LBB169_38
.LBB169_153:
	s_or_b64 exec, exec, s[0:1]
                                        ; implicit-def: $vgpr10_vgpr11
	s_and_saveexec_b64 s[0:1], s[10:11]
	s_cbranch_execz .LBB169_39
.LBB169_154:
	v_mov_b32_e32 v1, s57
	v_sub_co_u32_e32 v10, vcc, s56, v31
	s_nop 1
	v_subbrev_co_u32_e32 v11, vcc, 0, v1, vcc
	flat_load_dwordx2 v[10:11], v[10:11]
	s_or_b64 exec, exec, s[0:1]
                                        ; implicit-def: $vgpr12_vgpr13
	s_and_saveexec_b64 s[0:1], s[12:13]
	s_cbranch_execnz .LBB169_40
.LBB169_155:
	s_or_b64 exec, exec, s[0:1]
                                        ; implicit-def: $vgpr14_vgpr15
	s_and_saveexec_b64 s[0:1], s[14:15]
	s_cbranch_execz .LBB169_41
.LBB169_156:
	v_mov_b32_e32 v1, s57
	v_sub_co_u32_e32 v14, vcc, s56, v33
	s_nop 1
	v_subbrev_co_u32_e32 v15, vcc, 0, v1, vcc
	flat_load_dwordx2 v[14:15], v[14:15]
	s_or_b64 exec, exec, s[0:1]
                                        ; implicit-def: $vgpr16_vgpr17
	s_and_saveexec_b64 s[0:1], s[16:17]
	s_cbranch_execnz .LBB169_42
.LBB169_157:
	s_or_b64 exec, exec, s[0:1]
                                        ; implicit-def: $vgpr18_vgpr19
	s_and_saveexec_b64 s[0:1], s[18:19]
	s_cbranch_execz .LBB169_43
.LBB169_158:
	v_mov_b32_e32 v1, s57
	v_sub_co_u32_e32 v18, vcc, s56, v35
	s_nop 1
	v_subbrev_co_u32_e32 v19, vcc, 0, v1, vcc
	flat_load_dwordx2 v[18:19], v[18:19]
	s_or_b64 exec, exec, s[0:1]
                                        ; implicit-def: $vgpr20_vgpr21
	s_and_saveexec_b64 s[0:1], s[20:21]
	s_cbranch_execnz .LBB169_44
.LBB169_159:
	s_or_b64 exec, exec, s[0:1]
                                        ; implicit-def: $vgpr22_vgpr23
	s_and_saveexec_b64 s[0:1], s[22:23]
	s_cbranch_execz .LBB169_45
.LBB169_160:
	v_mov_b32_e32 v1, s57
	v_sub_co_u32_e32 v22, vcc, s56, v38
	s_nop 1
	v_subbrev_co_u32_e32 v23, vcc, 0, v1, vcc
	flat_load_dwordx2 v[22:23], v[22:23]
	s_or_b64 exec, exec, s[0:1]
                                        ; implicit-def: $vgpr24_vgpr25
	s_and_saveexec_b64 s[0:1], s[24:25]
	s_cbranch_execnz .LBB169_46
.LBB169_161:
	s_or_b64 exec, exec, s[0:1]
                                        ; implicit-def: $vgpr26_vgpr27
	s_and_saveexec_b64 s[0:1], s[26:27]
	s_cbranch_execz .LBB169_47
.LBB169_162:
	v_mov_b32_e32 v1, s57
	v_sub_co_u32_e32 v26, vcc, s56, v40
	s_nop 1
	v_subbrev_co_u32_e32 v27, vcc, 0, v1, vcc
	flat_load_dwordx2 v[26:27], v[26:27]
	s_or_b64 exec, exec, s[0:1]
                                        ; implicit-def: $vgpr28_vgpr29
	s_and_saveexec_b64 s[0:1], s[28:29]
	s_cbranch_execz .LBB169_49
	s_branch .LBB169_48
.LBB169_163:
                                        ; implicit-def: $vgpr74_vgpr75
                                        ; implicit-def: $vgpr70_vgpr71
                                        ; implicit-def: $vgpr66_vgpr67
                                        ; implicit-def: $vgpr62_vgpr63
                                        ; implicit-def: $vgpr58_vgpr59
                                        ; implicit-def: $vgpr54_vgpr55
                                        ; implicit-def: $vgpr50_vgpr51
	s_cbranch_execz .LBB169_193
; %bb.164:
	s_cmp_lg_u64 s[64:65], 0
	s_cselect_b32 s7, s59, 0
	s_cselect_b32 s6, s58, 0
	s_cmp_lg_u64 s[6:7], 0
	s_cselect_b64 s[0:1], -1, 0
	s_and_b64 s[8:9], s[36:37], s[0:1]
	s_and_saveexec_b64 s[0:1], s[8:9]
	s_cbranch_execz .LBB169_166
; %bb.165:
	v_mov_b32_e32 v8, 0
	global_load_dwordx2 v[4:5], v8, s[6:7]
	global_load_ubyte v9, v8, s[6:7] offset:8
	s_waitcnt vmcnt(1)
	v_cmp_gt_i64_e32 vcc, v[2:3], v[4:5]
	s_nop 1
	v_cndmask_b32_e32 v4, v4, v2, vcc
	s_waitcnt vmcnt(0)
	v_or_b32_e32 v9, v1, v9
	v_cndmask_b32_e32 v5, v5, v3, vcc
	v_cmp_eq_u16_sdwa vcc, v1, v8 src0_sel:BYTE_0 src1_sel:DWORD
	v_and_b32_e32 v1, 1, v9
	s_nop 0
	v_cndmask_b32_e32 v3, v3, v5, vcc
	v_cndmask_b32_e32 v2, v2, v4, vcc
.LBB169_166:
	s_or_b64 exec, exec, s[0:1]
	v_mov_b32_e32 v5, 0
	v_cmp_gt_i64_e32 vcc, v[14:15], v[2:3]
	v_cmp_eq_u16_sdwa s[6:7], v81, v5 src0_sel:BYTE_0 src1_sel:DWORD
	v_cmp_eq_u16_sdwa s[8:9], v83, v5 src0_sel:BYTE_0 src1_sel:DWORD
	v_cndmask_b32_e32 v8, v2, v14, vcc
	v_cndmask_b32_e32 v9, v3, v15, vcc
	v_cmp_eq_u16_sdwa vcc, v82, v5 src0_sel:BYTE_0 src1_sel:DWORD
	v_cmp_eq_u16_sdwa s[10:11], v84, v5 src0_sel:BYTE_0 src1_sel:DWORD
	v_cmp_eq_u16_sdwa s[12:13], v85, v5 src0_sel:BYTE_0 src1_sel:DWORD
	v_cndmask_b32_e32 v51, v15, v9, vcc
	v_cndmask_b32_e32 v50, v14, v8, vcc
	v_cmp_gt_i64_e64 s[0:1], v[6:7], v[50:51]
	v_cmp_eq_u16_sdwa s[14:15], v86, v5 src0_sel:BYTE_0 src1_sel:DWORD
	v_cmp_eq_u16_sdwa s[16:17], v87, v5 src0_sel:BYTE_0 src1_sel:DWORD
	v_cndmask_b32_e64 v8, v50, v6, s[0:1]
	v_cndmask_b32_e64 v9, v51, v7, s[0:1]
	v_cndmask_b32_e64 v53, v7, v9, s[6:7]
	v_cndmask_b32_e64 v52, v6, v8, s[6:7]
	v_cmp_gt_i64_e64 s[0:1], v[22:23], v[52:53]
	v_cmp_eq_u16_sdwa s[18:19], v88, v5 src0_sel:BYTE_0 src1_sel:DWORD
	v_cmp_eq_u16_sdwa s[20:21], v89, v5 src0_sel:BYTE_0 src1_sel:DWORD
	v_cndmask_b32_e64 v8, v52, v22, s[0:1]
	v_cndmask_b32_e64 v9, v53, v23, s[0:1]
	v_cndmask_b32_e64 v55, v23, v9, s[8:9]
	v_cndmask_b32_e64 v54, v22, v8, s[8:9]
	;; [unrolled: 7-line block ×4, first 2 shown]
	v_cmp_gt_i64_e64 s[0:1], v[18:19], v[58:59]
	v_or_b32_e32 v5, v36, v90
	v_or_b32_e32 v5, v5, v89
	v_cndmask_b32_e64 v8, v58, v18, s[0:1]
	v_cndmask_b32_e64 v9, v59, v19, s[0:1]
	v_cndmask_b32_e64 v61, v19, v9, s[14:15]
	v_cndmask_b32_e64 v60, v18, v8, s[14:15]
	v_cmp_gt_i64_e64 s[0:1], v[38:39], v[60:61]
	v_or_b32_e32 v5, v5, v88
	v_or_b32_e32 v5, v5, v87
	v_cndmask_b32_e64 v8, v60, v38, s[0:1]
	v_cndmask_b32_e64 v9, v61, v39, s[0:1]
	v_cndmask_b32_e64 v63, v39, v9, s[16:17]
	v_cndmask_b32_e64 v62, v38, v8, s[16:17]
	;; [unrolled: 7-line block ×5, first 2 shown]
	v_cmp_gt_i64_e64 s[0:1], v[46:47], v[68:69]
	v_and_b32_e32 v5, 1, v5
	v_and_b32_e32 v4, 0xff, v1
	v_cndmask_b32_e64 v8, v68, v46, s[0:1]
	v_cndmask_b32_e64 v9, v69, v47, s[0:1]
	;; [unrolled: 1-line block ×4, first 2 shown]
	v_cmp_gt_i64_e64 s[0:1], v[78:79], v[70:71]
	v_mbcnt_hi_u32_b32 v20, -1, v33
	v_and_b32_e32 v24, 15, v20
	v_cndmask_b32_e64 v8, v70, v78, s[0:1]
	v_cndmask_b32_e64 v9, v71, v79, s[0:1]
	;; [unrolled: 1-line block ×4, first 2 shown]
	v_cmp_gt_i64_e64 s[0:1], v[16:17], v[72:73]
	s_nop 1
	v_cndmask_b32_e64 v8, v72, v16, s[0:1]
	v_cndmask_b32_e64 v9, v73, v17, s[0:1]
	v_cmp_eq_u32_e64 s[0:1], 1, v5
	v_cndmask_b32_e64 v75, v17, v9, s[28:29]
	v_cndmask_b32_e64 v74, v16, v8, s[28:29]
	;; [unrolled: 1-line block ×3, first 2 shown]
	v_mov_b32_dpp v13, v75 row_shr:1 row_mask:0xf bank_mask:0xf
	v_mov_b32_dpp v12, v74 row_shr:1 row_mask:0xf bank_mask:0xf
	;; [unrolled: 1-line block ×3, first 2 shown]
	v_cmp_ne_u32_e64 s[0:1], 0, v24
	v_mov_b64_e32 v[4:5], v[74:75]
	v_mov_b32_e32 v9, v75
	v_mov_b32_e32 v8, v74
	s_and_saveexec_b64 s[30:31], s[0:1]
; %bb.167:
	v_cmp_gt_i64_e64 s[0:1], v[74:75], v[12:13]
	s_nop 1
	v_cndmask_b32_e64 v4, v12, v74, s[0:1]
	v_cndmask_b32_e64 v5, v13, v75, s[0:1]
	v_cmp_eq_u32_e64 s[0:1], 0, v21
	v_and_or_b32 v21, v25, 1, v21
	s_nop 0
	v_cndmask_b32_e64 v5, v75, v5, s[0:1]
	v_cndmask_b32_e64 v4, v74, v4, s[0:1]
	v_mov_b32_e32 v9, v5
	v_mov_b32_e32 v8, v4
; %bb.168:
	s_or_b64 exec, exec, s[30:31]
	s_nop 0
	v_mov_b32_dpp v12, v8 row_shr:2 row_mask:0xf bank_mask:0xf
	v_mov_b32_dpp v13, v9 row_shr:2 row_mask:0xf bank_mask:0xf
	v_mov_b32_dpp v25, v21 row_shr:2 row_mask:0xf bank_mask:0xf
	v_cmp_lt_u32_e64 s[0:1], 1, v24
	s_and_saveexec_b64 s[30:31], s[0:1]
; %bb.169:
	v_cmp_gt_i64_e64 s[0:1], v[4:5], v[12:13]
	s_nop 1
	v_cndmask_b32_e64 v8, v12, v4, s[0:1]
	v_cndmask_b32_e64 v9, v13, v5, s[0:1]
	v_cmp_eq_u32_e64 s[0:1], 0, v21
	s_nop 1
	v_cndmask_b32_e64 v9, v5, v9, s[0:1]
	v_cndmask_b32_e64 v8, v4, v8, s[0:1]
	v_or_b32_e32 v4, v25, v21
	v_and_b32_e32 v21, 1, v4
	v_mov_b64_e32 v[4:5], v[8:9]
; %bb.170:
	s_or_b64 exec, exec, s[30:31]
	v_mov_b32_dpp v12, v8 row_shr:4 row_mask:0xf bank_mask:0xf
	v_mov_b32_dpp v13, v9 row_shr:4 row_mask:0xf bank_mask:0xf
	v_mov_b32_dpp v25, v21 row_shr:4 row_mask:0xf bank_mask:0xf
	v_cmp_lt_u32_e64 s[0:1], 3, v24
	s_and_saveexec_b64 s[30:31], s[0:1]
; %bb.171:
	v_cmp_gt_i64_e64 s[0:1], v[4:5], v[12:13]
	s_nop 1
	v_cndmask_b32_e64 v8, v12, v4, s[0:1]
	v_cndmask_b32_e64 v9, v13, v5, s[0:1]
	v_cmp_eq_u32_e64 s[0:1], 0, v21
	s_nop 1
	v_cndmask_b32_e64 v9, v5, v9, s[0:1]
	v_cndmask_b32_e64 v8, v4, v8, s[0:1]
	v_or_b32_e32 v4, v25, v21
	v_and_b32_e32 v21, 1, v4
	v_mov_b64_e32 v[4:5], v[8:9]
; %bb.172:
	s_or_b64 exec, exec, s[30:31]
	;; [unrolled: 19-line block ×3, first 2 shown]
	v_and_b32_e32 v25, 16, v20
	v_mov_b32_dpp v12, v8 row_bcast:15 row_mask:0xf bank_mask:0xf
	v_mov_b32_dpp v13, v9 row_bcast:15 row_mask:0xf bank_mask:0xf
	;; [unrolled: 1-line block ×3, first 2 shown]
	v_cmp_ne_u32_e64 s[0:1], 0, v25
	s_and_saveexec_b64 s[30:31], s[0:1]
; %bb.175:
	v_cmp_gt_i64_e64 s[0:1], v[4:5], v[12:13]
	s_nop 1
	v_cndmask_b32_e64 v8, v12, v4, s[0:1]
	v_cndmask_b32_e64 v9, v13, v5, s[0:1]
	v_cmp_eq_u32_e64 s[0:1], 0, v21
	s_nop 1
	v_cndmask_b32_e64 v5, v5, v9, s[0:1]
	v_cndmask_b32_e64 v4, v4, v8, s[0:1]
	v_or_b32_e32 v8, v24, v21
	v_and_b32_e32 v21, 1, v8
	v_mov_b32_e32 v9, v5
	v_mov_b32_e32 v8, v4
; %bb.176:
	s_or_b64 exec, exec, s[30:31]
	s_nop 0
	v_mov_b32_dpp v8, v8 row_bcast:31 row_mask:0xf bank_mask:0xf
	v_mov_b32_dpp v9, v9 row_bcast:31 row_mask:0xf bank_mask:0xf
	;; [unrolled: 1-line block ×3, first 2 shown]
	v_cmp_lt_u32_e64 s[0:1], 31, v20
	v_mov_b32_e32 v12, v21
	s_and_saveexec_b64 s[30:31], s[0:1]
; %bb.177:
	v_cmp_gt_i64_e64 s[0:1], v[4:5], v[8:9]
	s_nop 1
	v_cndmask_b32_e64 v8, v8, v4, s[0:1]
	v_cndmask_b32_e64 v9, v9, v5, s[0:1]
	v_cmp_eq_u32_e64 s[0:1], 0, v21
	s_nop 1
	v_cndmask_b32_e64 v4, v4, v8, s[0:1]
	v_or_b32_e32 v8, v13, v21
	v_cndmask_b32_e64 v5, v5, v9, s[0:1]
	v_and_b32_e32 v12, 1, v8
	v_and_b32_e32 v21, 1, v8
; %bb.178:
	s_or_b64 exec, exec, s[30:31]
	v_or_b32_e32 v8, 63, v0
	v_lshrrev_b32_e32 v24, 6, v0
	v_cmp_eq_u32_e64 s[0:1], v8, v0
	s_and_saveexec_b64 s[30:31], s[0:1]
	s_cbranch_execz .LBB169_180
; %bb.179:
	v_lshlrev_b32_e32 v8, 4, v24
	ds_write_b64 v8, v[4:5]
	ds_write_b8 v8, v12 offset:8
.LBB169_180:
	s_or_b64 exec, exec, s[30:31]
	v_cmp_gt_u32_e64 s[0:1], 4, v0
	s_waitcnt lgkmcnt(0)
	s_barrier
	s_and_saveexec_b64 s[34:35], s[0:1]
	s_cbranch_execz .LBB169_186
; %bb.181:
	v_lshlrev_b32_e32 v25, 4, v0
	ds_read_b64 v[8:9], v25
	ds_read_b32 v28, v25 offset:8
	v_and_b32_e32 v29, 3, v20
	v_cmp_ne_u32_e64 s[0:1], 0, v29
	s_waitcnt lgkmcnt(1)
	v_mov_b32_dpp v12, v8 row_shr:1 row_mask:0xf bank_mask:0xf
	v_mov_b32_dpp v13, v9 row_shr:1 row_mask:0xf bank_mask:0xf
	s_waitcnt lgkmcnt(0)
	v_mov_b32_dpp v36, v28 row_shr:1 row_mask:0xf bank_mask:0xf
	v_mov_b32_e32 v33, v28
	v_mov_b32_e32 v32, v28
	s_and_saveexec_b64 s[30:31], s[0:1]
	s_cbranch_execz .LBB169_183
; %bb.182:
	v_mov_b32_e32 v32, 0
	v_cmp_gt_i64_e64 s[0:1], v[8:9], v[12:13]
	s_nop 1
	v_cndmask_b32_e64 v12, v12, v8, s[0:1]
	v_cndmask_b32_e64 v13, v13, v9, s[0:1]
	v_cmp_eq_u16_sdwa s[0:1], v28, v32 src0_sel:BYTE_0 src1_sel:DWORD
	s_nop 1
	v_cndmask_b32_e64 v8, v8, v12, s[0:1]
	v_or_b32_e32 v12, v36, v28
	v_cndmask_b32_e64 v9, v9, v13, s[0:1]
	v_and_b32_e32 v32, 1, v12
	s_movk_i32 s0, 0xff00
	v_and_b32_e32 v33, 1, v12
	v_and_or_b32 v28, v28, s0, v32
.LBB169_183:
	s_or_b64 exec, exec, s[30:31]
	v_mov_b32_dpp v12, v8 row_shr:2 row_mask:0xf bank_mask:0xf
	v_mov_b32_dpp v13, v9 row_shr:2 row_mask:0xf bank_mask:0xf
	;; [unrolled: 1-line block ×3, first 2 shown]
	v_cmp_lt_u32_e64 s[0:1], 1, v29
	s_and_saveexec_b64 s[40:41], s[0:1]
	s_cbranch_execz .LBB169_185
; %bb.184:
	v_mov_b32_e32 v29, 0
	v_cmp_gt_i64_e64 s[0:1], v[8:9], v[12:13]
	s_nop 1
	v_cndmask_b32_e64 v12, v12, v8, s[0:1]
	v_cndmask_b32_e64 v13, v13, v9, s[0:1]
	v_cmp_eq_u16_sdwa s[0:1], v32, v29 src0_sel:BYTE_0 src1_sel:DWORD
	s_nop 1
	v_cndmask_b32_e64 v8, v8, v12, s[0:1]
	v_and_b32_e32 v12, 1, v32
	v_cndmask_b32_e64 v9, v9, v13, s[0:1]
	v_cmp_eq_u32_e64 s[0:1], 1, v12
	v_and_b32_e32 v12, 1, v28
	v_cmp_eq_u32_e64 s[30:31], 1, v12
	s_or_b64 s[0:1], s[0:1], s[30:31]
	v_cndmask_b32_e64 v33, 0, 1, s[0:1]
.LBB169_185:
	s_or_b64 exec, exec, s[40:41]
	ds_write_b64 v25, v[8:9]
	ds_write_b8 v25, v33 offset:8
.LBB169_186:
	s_or_b64 exec, exec, s[34:35]
	v_cmp_lt_u32_e64 s[0:1], 63, v0
	v_mov_b64_e32 v[8:9], 0
	s_waitcnt lgkmcnt(0)
	s_barrier
	s_and_saveexec_b64 s[30:31], s[0:1]
	s_cbranch_execz .LBB169_188
; %bb.187:
	v_lshl_add_u32 v8, v24, 4, -16
	ds_read_b64 v[8:9], v8
	s_waitcnt lgkmcnt(0)
	v_cmp_gt_i64_e64 s[0:1], v[4:5], v[8:9]
	s_nop 1
	v_cndmask_b32_e64 v12, v8, v4, s[0:1]
	v_cndmask_b32_e64 v13, v9, v5, s[0:1]
	v_cmp_eq_u32_e64 s[0:1], 0, v21
	s_nop 1
	v_cndmask_b32_e64 v5, v5, v13, s[0:1]
	v_cndmask_b32_e64 v4, v4, v12, s[0:1]
.LBB169_188:
	s_or_b64 exec, exec, s[30:31]
	v_add_u32_e32 v12, -1, v20
	v_and_b32_e32 v13, 64, v20
	v_cmp_lt_i32_e64 s[0:1], v12, v13
	s_nop 1
	v_cndmask_b32_e64 v12, v12, v20, s[0:1]
	v_lshlrev_b32_e32 v12, 2, v12
	ds_bpermute_b32 v4, v12, v4
	ds_bpermute_b32 v5, v12, v5
	s_and_saveexec_b64 s[30:31], s[4:5]
	s_cbranch_execz .LBB169_190
; %bb.189:
	v_cmp_eq_u32_e64 s[0:1], 0, v20
	;;#ASMSTART
	;;#ASMEND
	s_waitcnt lgkmcnt(0)
	s_nop 0
	v_cndmask_b32_e64 v5, v5, v9, s[0:1]
	v_cndmask_b32_e64 v4, v4, v8, s[0:1]
	v_mov_b32_e32 v8, 0
	v_cmp_gt_i64_e64 s[0:1], v[2:3], v[4:5]
	s_nop 1
	v_cndmask_b32_e64 v4, v4, v2, s[0:1]
	v_cndmask_b32_e64 v5, v5, v3, s[0:1]
	v_cmp_eq_u16_sdwa s[0:1], v1, v8 src0_sel:BYTE_0 src1_sel:DWORD
	s_nop 1
	v_cndmask_b32_e64 v3, v3, v5, s[0:1]
	v_cndmask_b32_e64 v2, v2, v4, s[0:1]
	v_cmp_gt_i64_e64 s[0:1], v[14:15], v[2:3]
	s_nop 1
	v_cndmask_b32_e64 v1, v2, v14, s[0:1]
	v_cndmask_b32_e64 v4, v3, v15, s[0:1]
	v_cndmask_b32_e32 v51, v15, v4, vcc
	v_cndmask_b32_e32 v50, v14, v1, vcc
	v_cmp_gt_i64_e32 vcc, v[6:7], v[50:51]
	s_nop 1
	v_cndmask_b32_e32 v1, v50, v6, vcc
	v_cndmask_b32_e32 v4, v51, v7, vcc
	v_cndmask_b32_e64 v53, v7, v4, s[6:7]
	v_cndmask_b32_e64 v52, v6, v1, s[6:7]
	v_cmp_gt_i64_e32 vcc, v[22:23], v[52:53]
	s_nop 1
	v_cndmask_b32_e32 v1, v52, v22, vcc
	v_cndmask_b32_e32 v4, v53, v23, vcc
	v_cndmask_b32_e64 v55, v23, v4, s[8:9]
	v_cndmask_b32_e64 v54, v22, v1, s[8:9]
	;; [unrolled: 6-line block ×12, first 2 shown]
.LBB169_190:
	s_or_b64 exec, exec, s[30:31]
	s_and_saveexec_b64 s[0:1], s[36:37]
	s_cbranch_execz .LBB169_192
; %bb.191:
	v_mov_b32_e32 v1, 0
	s_waitcnt lgkmcnt(0)
	ds_read_b64 v[4:5], v1 offset:48
	ds_read_u8 v6, v1 offset:56
	s_waitcnt lgkmcnt(1)
	global_store_dword v1, v4, s[42:43] offset:1024 sc1
	global_store_dword v1, v5, s[42:43] offset:1028 sc1
	s_waitcnt lgkmcnt(0)
	global_store_dword v1, v6, s[42:43] offset:1032 sc1
	global_store_dword v1, v1, s[42:43] offset:1036 sc1
	v_mov_b32_e32 v4, 2
	s_waitcnt vmcnt(0)
	global_store_byte v1, v4, s[44:45] offset:64 sc1
.LBB169_192:
	s_or_b64 exec, exec, s[0:1]
	v_mov_b64_e32 v[48:49], v[2:3]
.LBB169_193:
	s_lshl_b64 s[0:1], s[38:39], 3
	s_add_u32 s4, s54, s0
	s_addc_u32 s5, s55, s1
	s_lshl_b64 s[0:1], s[48:49], 3
	s_add_u32 s0, s4, s0
	v_mul_u32_u24_e32 v1, 14, v0
	s_addc_u32 s1, s5, s1
	s_and_b64 vcc, exec, s[2:3]
	v_lshlrev_b32_e32 v1, 3, v1
	s_cbranch_vccz .LBB169_221
; %bb.194:
	s_movk_i32 s2, 0xff98
	v_mad_i32_i24 v2, v0, s2, v1
	s_waitcnt lgkmcnt(0)
	s_barrier
	ds_write_b128 v1, v[48:51]
	ds_write_b128 v1, v[52:55] offset:16
	ds_write_b128 v1, v[56:59] offset:32
	;; [unrolled: 1-line block ×6, first 2 shown]
	s_waitcnt lgkmcnt(0)
	s_barrier
	ds_read2st64_b64 v[26:29], v2 offset0:4 offset1:8
	ds_read2st64_b64 v[22:25], v2 offset0:12 offset1:16
	;; [unrolled: 1-line block ×6, first 2 shown]
	ds_read_b64 v[4:5], v2 offset:26624
	v_mov_b32_e32 v2, s1
	v_sub_co_u32_e32 v3, vcc, s0, v40
	s_add_i32 s33, s33, s46
	s_nop 0
	v_subbrev_co_u32_e32 v2, vcc, 0, v2, vcc
	v_cmp_gt_u32_e32 vcc, s33, v0
	s_and_saveexec_b64 s[2:3], vcc
	s_cbranch_execz .LBB169_196
; %bb.195:
	v_mul_i32_i24_e32 v30, 0xffffff98, v0
	v_add_u32_e32 v30, v1, v30
	ds_read_b64 v[30:31], v30
	v_add_co_u32_e32 v32, vcc, -8, v3
	s_nop 1
	v_addc_co_u32_e32 v33, vcc, -1, v2, vcc
	s_waitcnt lgkmcnt(0)
	flat_store_dwordx2 v[32:33], v[30:31]
.LBB169_196:
	s_or_b64 exec, exec, s[2:3]
	v_or_b32_e32 v30, 0x100, v0
	v_cmp_gt_u32_e32 vcc, s33, v30
	s_and_saveexec_b64 s[2:3], vcc
	s_cbranch_execz .LBB169_198
; %bb.197:
	v_add_co_u32_e32 v30, vcc, 0xfffff7f8, v3
	s_nop 1
	v_addc_co_u32_e32 v31, vcc, -1, v2, vcc
	s_waitcnt lgkmcnt(0)
	flat_store_dwordx2 v[30:31], v[26:27]
.LBB169_198:
	s_or_b64 exec, exec, s[2:3]
	s_waitcnt lgkmcnt(0)
	v_or_b32_e32 v26, 0x200, v0
	v_cmp_gt_u32_e32 vcc, s33, v26
	s_and_saveexec_b64 s[2:3], vcc
	s_cbranch_execz .LBB169_200
; %bb.199:
	v_add_co_u32_e32 v26, vcc, 0xffffeff8, v3
	s_nop 1
	v_addc_co_u32_e32 v27, vcc, -1, v2, vcc
	flat_store_dwordx2 v[26:27], v[28:29]
.LBB169_200:
	s_or_b64 exec, exec, s[2:3]
	v_or_b32_e32 v26, 0x300, v0
	v_cmp_gt_u32_e32 vcc, s33, v26
	s_and_saveexec_b64 s[2:3], vcc
	s_cbranch_execz .LBB169_202
; %bb.201:
	v_add_co_u32_e32 v26, vcc, 0xffffe7f8, v3
	s_nop 1
	v_addc_co_u32_e32 v27, vcc, -1, v2, vcc
	flat_store_dwordx2 v[26:27], v[22:23]
.LBB169_202:
	s_or_b64 exec, exec, s[2:3]
	;; [unrolled: 11-line block ×10, first 2 shown]
	v_sub_co_u32_e32 v6, vcc, 0, v0
	v_or_b32_e32 v10, 0xc00, v0
	s_nop 0
	v_subb_co_u32_e64 v7, s[2:3], 0, 0, vcc
	v_cmp_gt_u32_e32 vcc, s33, v10
	s_and_saveexec_b64 s[2:3], vcc
	s_cbranch_execz .LBB169_220
; %bb.219:
	v_add_co_u32_e32 v10, vcc, 0xffff9ff8, v3
	s_nop 1
	v_addc_co_u32_e32 v11, vcc, -1, v2, vcc
	flat_store_dwordx2 v[10:11], v[8:9]
.LBB169_220:
	s_or_b64 exec, exec, s[2:3]
	v_or_b32_e32 v2, 0xd00, v0
	v_cmp_gt_u32_e64 s[2:3], s33, v2
	s_branch .LBB169_223
.LBB169_221:
	s_mov_b64 s[2:3], 0
                                        ; implicit-def: $vgpr4_vgpr5
                                        ; implicit-def: $vgpr6_vgpr7
	s_cbranch_execz .LBB169_223
; %bb.222:
	s_movk_i32 s4, 0xff98
	v_sub_co_u32_e32 v6, vcc, 0, v0
	s_waitcnt lgkmcnt(0)
	s_barrier
	ds_write_b128 v1, v[48:51]
	ds_write_b128 v1, v[52:55] offset:16
	ds_write_b128 v1, v[56:59] offset:32
	;; [unrolled: 1-line block ×6, first 2 shown]
	v_mad_i32_i24 v1, v0, s4, v1
	v_subb_co_u32_e64 v7, s[4:5], 0, 0, vcc
	v_mov_b32_e32 v0, s1
	v_sub_co_u32_e32 v32, vcc, s0, v40
	s_movk_i32 s4, 0xf7f8
	s_nop 0
	v_subbrev_co_u32_e32 v33, vcc, 0, v0, vcc
	v_add_co_u32_e32 v0, vcc, s4, v32
	s_waitcnt lgkmcnt(0)
	s_barrier
	ds_read2st64_b64 v[8:11], v1 offset1:4
	ds_read2st64_b64 v[12:15], v1 offset0:8 offset1:12
	ds_read2st64_b64 v[16:19], v1 offset0:16 offset1:20
	;; [unrolled: 1-line block ×6, first 2 shown]
	v_addc_co_u32_e32 v1, vcc, -1, v33, vcc
	s_movk_i32 s4, 0xe7f8
	s_waitcnt lgkmcnt(0)
	flat_store_dwordx2 v[0:1], v[8:9] offset:2048
	flat_store_dwordx2 v[0:1], v[10:11]
	v_add_co_u32_e32 v0, vcc, s4, v32
	s_movk_i32 s4, 0xd7f8
	s_nop 0
	v_addc_co_u32_e32 v1, vcc, -1, v33, vcc
	flat_store_dwordx2 v[0:1], v[12:13] offset:2048
	flat_store_dwordx2 v[0:1], v[14:15]
	v_add_co_u32_e32 v0, vcc, s4, v32
	s_movk_i32 s4, 0xc7f8
	s_nop 0
	v_addc_co_u32_e32 v1, vcc, -1, v33, vcc
	;; [unrolled: 6-line block ×3, first 2 shown]
	flat_store_dwordx2 v[0:1], v[20:21] offset:2048
	flat_store_dwordx2 v[0:1], v[22:23]
	v_add_co_u32_e32 v0, vcc, s4, v32
	s_or_b64 s[2:3], s[2:3], exec
	s_nop 0
	v_addc_co_u32_e32 v1, vcc, -1, v33, vcc
	flat_store_dwordx2 v[0:1], v[24:25] offset:2048
	flat_store_dwordx2 v[0:1], v[26:27]
	v_add_co_u32_e32 v0, vcc, 0xffffaff8, v32
	s_nop 1
	v_addc_co_u32_e32 v1, vcc, -1, v33, vcc
	flat_store_dwordx2 v[0:1], v[28:29]
	v_add_co_u32_e32 v0, vcc, 0xffffa7f8, v32
	s_nop 1
	v_addc_co_u32_e32 v1, vcc, -1, v33, vcc
	;; [unrolled: 4-line block ×3, first 2 shown]
	flat_store_dwordx2 v[0:1], v[2:3]
.LBB169_223:
	s_and_saveexec_b64 s[4:5], s[2:3]
	s_cbranch_execz .LBB169_225
; %bb.224:
	v_lshl_add_u64 v[0:1], v[6:7], 3, s[0:1]
	v_add_co_u32_e32 v0, vcc, 0xffff97f8, v0
	s_nop 1
	v_addc_co_u32_e32 v1, vcc, -1, v1, vcc
	s_waitcnt lgkmcnt(0)
	flat_store_dwordx2 v[0:1], v[4:5]
	s_endpgm
.LBB169_225:
	s_endpgm
	.section	.rodata,"a",@progbits
	.p2align	6, 0x0
	.amdhsa_kernel _ZN7rocprim17ROCPRIM_400000_NS6detail17trampoline_kernelINS0_14default_configENS1_27scan_by_key_config_selectorIllEEZZNS1_16scan_by_key_implILNS1_25lookback_scan_determinismE0ELb0ES3_N6thrust23THRUST_200600_302600_NS16reverse_iteratorIPKlEESD_NSA_IPlEElN6hipcub16HIPCUB_304000_NS3MaxENSH_8EqualityElEE10hipError_tPvRmT2_T3_T4_T5_mT6_T7_P12ihipStream_tbENKUlT_T0_E_clISt17integral_constantIbLb0EESZ_IbLb1EEEEDaSV_SW_EUlSV_E_NS1_11comp_targetILNS1_3genE5ELNS1_11target_archE942ELNS1_3gpuE9ELNS1_3repE0EEENS1_30default_config_static_selectorELNS0_4arch9wavefront6targetE1EEEvT1_
		.amdhsa_group_segment_fixed_size 32768
		.amdhsa_private_segment_fixed_size 0
		.amdhsa_kernarg_size 136
		.amdhsa_user_sgpr_count 2
		.amdhsa_user_sgpr_dispatch_ptr 0
		.amdhsa_user_sgpr_queue_ptr 0
		.amdhsa_user_sgpr_kernarg_segment_ptr 1
		.amdhsa_user_sgpr_dispatch_id 0
		.amdhsa_user_sgpr_kernarg_preload_length 0
		.amdhsa_user_sgpr_kernarg_preload_offset 0
		.amdhsa_user_sgpr_private_segment_size 0
		.amdhsa_uses_dynamic_stack 0
		.amdhsa_enable_private_segment 0
		.amdhsa_system_sgpr_workgroup_id_x 1
		.amdhsa_system_sgpr_workgroup_id_y 0
		.amdhsa_system_sgpr_workgroup_id_z 0
		.amdhsa_system_sgpr_workgroup_info 0
		.amdhsa_system_vgpr_workitem_id 0
		.amdhsa_next_free_vgpr 92
		.amdhsa_next_free_sgpr 70
		.amdhsa_accum_offset 92
		.amdhsa_reserve_vcc 1
		.amdhsa_float_round_mode_32 0
		.amdhsa_float_round_mode_16_64 0
		.amdhsa_float_denorm_mode_32 3
		.amdhsa_float_denorm_mode_16_64 3
		.amdhsa_dx10_clamp 1
		.amdhsa_ieee_mode 1
		.amdhsa_fp16_overflow 0
		.amdhsa_tg_split 0
		.amdhsa_exception_fp_ieee_invalid_op 0
		.amdhsa_exception_fp_denorm_src 0
		.amdhsa_exception_fp_ieee_div_zero 0
		.amdhsa_exception_fp_ieee_overflow 0
		.amdhsa_exception_fp_ieee_underflow 0
		.amdhsa_exception_fp_ieee_inexact 0
		.amdhsa_exception_int_div_zero 0
	.end_amdhsa_kernel
	.section	.text._ZN7rocprim17ROCPRIM_400000_NS6detail17trampoline_kernelINS0_14default_configENS1_27scan_by_key_config_selectorIllEEZZNS1_16scan_by_key_implILNS1_25lookback_scan_determinismE0ELb0ES3_N6thrust23THRUST_200600_302600_NS16reverse_iteratorIPKlEESD_NSA_IPlEElN6hipcub16HIPCUB_304000_NS3MaxENSH_8EqualityElEE10hipError_tPvRmT2_T3_T4_T5_mT6_T7_P12ihipStream_tbENKUlT_T0_E_clISt17integral_constantIbLb0EESZ_IbLb1EEEEDaSV_SW_EUlSV_E_NS1_11comp_targetILNS1_3genE5ELNS1_11target_archE942ELNS1_3gpuE9ELNS1_3repE0EEENS1_30default_config_static_selectorELNS0_4arch9wavefront6targetE1EEEvT1_,"axG",@progbits,_ZN7rocprim17ROCPRIM_400000_NS6detail17trampoline_kernelINS0_14default_configENS1_27scan_by_key_config_selectorIllEEZZNS1_16scan_by_key_implILNS1_25lookback_scan_determinismE0ELb0ES3_N6thrust23THRUST_200600_302600_NS16reverse_iteratorIPKlEESD_NSA_IPlEElN6hipcub16HIPCUB_304000_NS3MaxENSH_8EqualityElEE10hipError_tPvRmT2_T3_T4_T5_mT6_T7_P12ihipStream_tbENKUlT_T0_E_clISt17integral_constantIbLb0EESZ_IbLb1EEEEDaSV_SW_EUlSV_E_NS1_11comp_targetILNS1_3genE5ELNS1_11target_archE942ELNS1_3gpuE9ELNS1_3repE0EEENS1_30default_config_static_selectorELNS0_4arch9wavefront6targetE1EEEvT1_,comdat
.Lfunc_end169:
	.size	_ZN7rocprim17ROCPRIM_400000_NS6detail17trampoline_kernelINS0_14default_configENS1_27scan_by_key_config_selectorIllEEZZNS1_16scan_by_key_implILNS1_25lookback_scan_determinismE0ELb0ES3_N6thrust23THRUST_200600_302600_NS16reverse_iteratorIPKlEESD_NSA_IPlEElN6hipcub16HIPCUB_304000_NS3MaxENSH_8EqualityElEE10hipError_tPvRmT2_T3_T4_T5_mT6_T7_P12ihipStream_tbENKUlT_T0_E_clISt17integral_constantIbLb0EESZ_IbLb1EEEEDaSV_SW_EUlSV_E_NS1_11comp_targetILNS1_3genE5ELNS1_11target_archE942ELNS1_3gpuE9ELNS1_3repE0EEENS1_30default_config_static_selectorELNS0_4arch9wavefront6targetE1EEEvT1_, .Lfunc_end169-_ZN7rocprim17ROCPRIM_400000_NS6detail17trampoline_kernelINS0_14default_configENS1_27scan_by_key_config_selectorIllEEZZNS1_16scan_by_key_implILNS1_25lookback_scan_determinismE0ELb0ES3_N6thrust23THRUST_200600_302600_NS16reverse_iteratorIPKlEESD_NSA_IPlEElN6hipcub16HIPCUB_304000_NS3MaxENSH_8EqualityElEE10hipError_tPvRmT2_T3_T4_T5_mT6_T7_P12ihipStream_tbENKUlT_T0_E_clISt17integral_constantIbLb0EESZ_IbLb1EEEEDaSV_SW_EUlSV_E_NS1_11comp_targetILNS1_3genE5ELNS1_11target_archE942ELNS1_3gpuE9ELNS1_3repE0EEENS1_30default_config_static_selectorELNS0_4arch9wavefront6targetE1EEEvT1_
                                        ; -- End function
	.section	.AMDGPU.csdata,"",@progbits
; Kernel info:
; codeLenInByte = 14000
; NumSgprs: 76
; NumVgprs: 92
; NumAgprs: 0
; TotalNumVgprs: 92
; ScratchSize: 0
; MemoryBound: 0
; FloatMode: 240
; IeeeMode: 1
; LDSByteSize: 32768 bytes/workgroup (compile time only)
; SGPRBlocks: 9
; VGPRBlocks: 11
; NumSGPRsForWavesPerEU: 76
; NumVGPRsForWavesPerEU: 92
; AccumOffset: 92
; Occupancy: 2
; WaveLimiterHint : 1
; COMPUTE_PGM_RSRC2:SCRATCH_EN: 0
; COMPUTE_PGM_RSRC2:USER_SGPR: 2
; COMPUTE_PGM_RSRC2:TRAP_HANDLER: 0
; COMPUTE_PGM_RSRC2:TGID_X_EN: 1
; COMPUTE_PGM_RSRC2:TGID_Y_EN: 0
; COMPUTE_PGM_RSRC2:TGID_Z_EN: 0
; COMPUTE_PGM_RSRC2:TIDIG_COMP_CNT: 0
; COMPUTE_PGM_RSRC3_GFX90A:ACCUM_OFFSET: 22
; COMPUTE_PGM_RSRC3_GFX90A:TG_SPLIT: 0
	.section	.text._ZN7rocprim17ROCPRIM_400000_NS6detail17trampoline_kernelINS0_14default_configENS1_27scan_by_key_config_selectorIllEEZZNS1_16scan_by_key_implILNS1_25lookback_scan_determinismE0ELb0ES3_N6thrust23THRUST_200600_302600_NS16reverse_iteratorIPKlEESD_NSA_IPlEElN6hipcub16HIPCUB_304000_NS3MaxENSH_8EqualityElEE10hipError_tPvRmT2_T3_T4_T5_mT6_T7_P12ihipStream_tbENKUlT_T0_E_clISt17integral_constantIbLb0EESZ_IbLb1EEEEDaSV_SW_EUlSV_E_NS1_11comp_targetILNS1_3genE4ELNS1_11target_archE910ELNS1_3gpuE8ELNS1_3repE0EEENS1_30default_config_static_selectorELNS0_4arch9wavefront6targetE1EEEvT1_,"axG",@progbits,_ZN7rocprim17ROCPRIM_400000_NS6detail17trampoline_kernelINS0_14default_configENS1_27scan_by_key_config_selectorIllEEZZNS1_16scan_by_key_implILNS1_25lookback_scan_determinismE0ELb0ES3_N6thrust23THRUST_200600_302600_NS16reverse_iteratorIPKlEESD_NSA_IPlEElN6hipcub16HIPCUB_304000_NS3MaxENSH_8EqualityElEE10hipError_tPvRmT2_T3_T4_T5_mT6_T7_P12ihipStream_tbENKUlT_T0_E_clISt17integral_constantIbLb0EESZ_IbLb1EEEEDaSV_SW_EUlSV_E_NS1_11comp_targetILNS1_3genE4ELNS1_11target_archE910ELNS1_3gpuE8ELNS1_3repE0EEENS1_30default_config_static_selectorELNS0_4arch9wavefront6targetE1EEEvT1_,comdat
	.protected	_ZN7rocprim17ROCPRIM_400000_NS6detail17trampoline_kernelINS0_14default_configENS1_27scan_by_key_config_selectorIllEEZZNS1_16scan_by_key_implILNS1_25lookback_scan_determinismE0ELb0ES3_N6thrust23THRUST_200600_302600_NS16reverse_iteratorIPKlEESD_NSA_IPlEElN6hipcub16HIPCUB_304000_NS3MaxENSH_8EqualityElEE10hipError_tPvRmT2_T3_T4_T5_mT6_T7_P12ihipStream_tbENKUlT_T0_E_clISt17integral_constantIbLb0EESZ_IbLb1EEEEDaSV_SW_EUlSV_E_NS1_11comp_targetILNS1_3genE4ELNS1_11target_archE910ELNS1_3gpuE8ELNS1_3repE0EEENS1_30default_config_static_selectorELNS0_4arch9wavefront6targetE1EEEvT1_ ; -- Begin function _ZN7rocprim17ROCPRIM_400000_NS6detail17trampoline_kernelINS0_14default_configENS1_27scan_by_key_config_selectorIllEEZZNS1_16scan_by_key_implILNS1_25lookback_scan_determinismE0ELb0ES3_N6thrust23THRUST_200600_302600_NS16reverse_iteratorIPKlEESD_NSA_IPlEElN6hipcub16HIPCUB_304000_NS3MaxENSH_8EqualityElEE10hipError_tPvRmT2_T3_T4_T5_mT6_T7_P12ihipStream_tbENKUlT_T0_E_clISt17integral_constantIbLb0EESZ_IbLb1EEEEDaSV_SW_EUlSV_E_NS1_11comp_targetILNS1_3genE4ELNS1_11target_archE910ELNS1_3gpuE8ELNS1_3repE0EEENS1_30default_config_static_selectorELNS0_4arch9wavefront6targetE1EEEvT1_
	.globl	_ZN7rocprim17ROCPRIM_400000_NS6detail17trampoline_kernelINS0_14default_configENS1_27scan_by_key_config_selectorIllEEZZNS1_16scan_by_key_implILNS1_25lookback_scan_determinismE0ELb0ES3_N6thrust23THRUST_200600_302600_NS16reverse_iteratorIPKlEESD_NSA_IPlEElN6hipcub16HIPCUB_304000_NS3MaxENSH_8EqualityElEE10hipError_tPvRmT2_T3_T4_T5_mT6_T7_P12ihipStream_tbENKUlT_T0_E_clISt17integral_constantIbLb0EESZ_IbLb1EEEEDaSV_SW_EUlSV_E_NS1_11comp_targetILNS1_3genE4ELNS1_11target_archE910ELNS1_3gpuE8ELNS1_3repE0EEENS1_30default_config_static_selectorELNS0_4arch9wavefront6targetE1EEEvT1_
	.p2align	8
	.type	_ZN7rocprim17ROCPRIM_400000_NS6detail17trampoline_kernelINS0_14default_configENS1_27scan_by_key_config_selectorIllEEZZNS1_16scan_by_key_implILNS1_25lookback_scan_determinismE0ELb0ES3_N6thrust23THRUST_200600_302600_NS16reverse_iteratorIPKlEESD_NSA_IPlEElN6hipcub16HIPCUB_304000_NS3MaxENSH_8EqualityElEE10hipError_tPvRmT2_T3_T4_T5_mT6_T7_P12ihipStream_tbENKUlT_T0_E_clISt17integral_constantIbLb0EESZ_IbLb1EEEEDaSV_SW_EUlSV_E_NS1_11comp_targetILNS1_3genE4ELNS1_11target_archE910ELNS1_3gpuE8ELNS1_3repE0EEENS1_30default_config_static_selectorELNS0_4arch9wavefront6targetE1EEEvT1_,@function
_ZN7rocprim17ROCPRIM_400000_NS6detail17trampoline_kernelINS0_14default_configENS1_27scan_by_key_config_selectorIllEEZZNS1_16scan_by_key_implILNS1_25lookback_scan_determinismE0ELb0ES3_N6thrust23THRUST_200600_302600_NS16reverse_iteratorIPKlEESD_NSA_IPlEElN6hipcub16HIPCUB_304000_NS3MaxENSH_8EqualityElEE10hipError_tPvRmT2_T3_T4_T5_mT6_T7_P12ihipStream_tbENKUlT_T0_E_clISt17integral_constantIbLb0EESZ_IbLb1EEEEDaSV_SW_EUlSV_E_NS1_11comp_targetILNS1_3genE4ELNS1_11target_archE910ELNS1_3gpuE8ELNS1_3repE0EEENS1_30default_config_static_selectorELNS0_4arch9wavefront6targetE1EEEvT1_: ; @_ZN7rocprim17ROCPRIM_400000_NS6detail17trampoline_kernelINS0_14default_configENS1_27scan_by_key_config_selectorIllEEZZNS1_16scan_by_key_implILNS1_25lookback_scan_determinismE0ELb0ES3_N6thrust23THRUST_200600_302600_NS16reverse_iteratorIPKlEESD_NSA_IPlEElN6hipcub16HIPCUB_304000_NS3MaxENSH_8EqualityElEE10hipError_tPvRmT2_T3_T4_T5_mT6_T7_P12ihipStream_tbENKUlT_T0_E_clISt17integral_constantIbLb0EESZ_IbLb1EEEEDaSV_SW_EUlSV_E_NS1_11comp_targetILNS1_3genE4ELNS1_11target_archE910ELNS1_3gpuE8ELNS1_3repE0EEENS1_30default_config_static_selectorELNS0_4arch9wavefront6targetE1EEEvT1_
; %bb.0:
	.section	.rodata,"a",@progbits
	.p2align	6, 0x0
	.amdhsa_kernel _ZN7rocprim17ROCPRIM_400000_NS6detail17trampoline_kernelINS0_14default_configENS1_27scan_by_key_config_selectorIllEEZZNS1_16scan_by_key_implILNS1_25lookback_scan_determinismE0ELb0ES3_N6thrust23THRUST_200600_302600_NS16reverse_iteratorIPKlEESD_NSA_IPlEElN6hipcub16HIPCUB_304000_NS3MaxENSH_8EqualityElEE10hipError_tPvRmT2_T3_T4_T5_mT6_T7_P12ihipStream_tbENKUlT_T0_E_clISt17integral_constantIbLb0EESZ_IbLb1EEEEDaSV_SW_EUlSV_E_NS1_11comp_targetILNS1_3genE4ELNS1_11target_archE910ELNS1_3gpuE8ELNS1_3repE0EEENS1_30default_config_static_selectorELNS0_4arch9wavefront6targetE1EEEvT1_
		.amdhsa_group_segment_fixed_size 0
		.amdhsa_private_segment_fixed_size 0
		.amdhsa_kernarg_size 136
		.amdhsa_user_sgpr_count 2
		.amdhsa_user_sgpr_dispatch_ptr 0
		.amdhsa_user_sgpr_queue_ptr 0
		.amdhsa_user_sgpr_kernarg_segment_ptr 1
		.amdhsa_user_sgpr_dispatch_id 0
		.amdhsa_user_sgpr_kernarg_preload_length 0
		.amdhsa_user_sgpr_kernarg_preload_offset 0
		.amdhsa_user_sgpr_private_segment_size 0
		.amdhsa_uses_dynamic_stack 0
		.amdhsa_enable_private_segment 0
		.amdhsa_system_sgpr_workgroup_id_x 1
		.amdhsa_system_sgpr_workgroup_id_y 0
		.amdhsa_system_sgpr_workgroup_id_z 0
		.amdhsa_system_sgpr_workgroup_info 0
		.amdhsa_system_vgpr_workitem_id 0
		.amdhsa_next_free_vgpr 1
		.amdhsa_next_free_sgpr 0
		.amdhsa_accum_offset 4
		.amdhsa_reserve_vcc 0
		.amdhsa_float_round_mode_32 0
		.amdhsa_float_round_mode_16_64 0
		.amdhsa_float_denorm_mode_32 3
		.amdhsa_float_denorm_mode_16_64 3
		.amdhsa_dx10_clamp 1
		.amdhsa_ieee_mode 1
		.amdhsa_fp16_overflow 0
		.amdhsa_tg_split 0
		.amdhsa_exception_fp_ieee_invalid_op 0
		.amdhsa_exception_fp_denorm_src 0
		.amdhsa_exception_fp_ieee_div_zero 0
		.amdhsa_exception_fp_ieee_overflow 0
		.amdhsa_exception_fp_ieee_underflow 0
		.amdhsa_exception_fp_ieee_inexact 0
		.amdhsa_exception_int_div_zero 0
	.end_amdhsa_kernel
	.section	.text._ZN7rocprim17ROCPRIM_400000_NS6detail17trampoline_kernelINS0_14default_configENS1_27scan_by_key_config_selectorIllEEZZNS1_16scan_by_key_implILNS1_25lookback_scan_determinismE0ELb0ES3_N6thrust23THRUST_200600_302600_NS16reverse_iteratorIPKlEESD_NSA_IPlEElN6hipcub16HIPCUB_304000_NS3MaxENSH_8EqualityElEE10hipError_tPvRmT2_T3_T4_T5_mT6_T7_P12ihipStream_tbENKUlT_T0_E_clISt17integral_constantIbLb0EESZ_IbLb1EEEEDaSV_SW_EUlSV_E_NS1_11comp_targetILNS1_3genE4ELNS1_11target_archE910ELNS1_3gpuE8ELNS1_3repE0EEENS1_30default_config_static_selectorELNS0_4arch9wavefront6targetE1EEEvT1_,"axG",@progbits,_ZN7rocprim17ROCPRIM_400000_NS6detail17trampoline_kernelINS0_14default_configENS1_27scan_by_key_config_selectorIllEEZZNS1_16scan_by_key_implILNS1_25lookback_scan_determinismE0ELb0ES3_N6thrust23THRUST_200600_302600_NS16reverse_iteratorIPKlEESD_NSA_IPlEElN6hipcub16HIPCUB_304000_NS3MaxENSH_8EqualityElEE10hipError_tPvRmT2_T3_T4_T5_mT6_T7_P12ihipStream_tbENKUlT_T0_E_clISt17integral_constantIbLb0EESZ_IbLb1EEEEDaSV_SW_EUlSV_E_NS1_11comp_targetILNS1_3genE4ELNS1_11target_archE910ELNS1_3gpuE8ELNS1_3repE0EEENS1_30default_config_static_selectorELNS0_4arch9wavefront6targetE1EEEvT1_,comdat
.Lfunc_end170:
	.size	_ZN7rocprim17ROCPRIM_400000_NS6detail17trampoline_kernelINS0_14default_configENS1_27scan_by_key_config_selectorIllEEZZNS1_16scan_by_key_implILNS1_25lookback_scan_determinismE0ELb0ES3_N6thrust23THRUST_200600_302600_NS16reverse_iteratorIPKlEESD_NSA_IPlEElN6hipcub16HIPCUB_304000_NS3MaxENSH_8EqualityElEE10hipError_tPvRmT2_T3_T4_T5_mT6_T7_P12ihipStream_tbENKUlT_T0_E_clISt17integral_constantIbLb0EESZ_IbLb1EEEEDaSV_SW_EUlSV_E_NS1_11comp_targetILNS1_3genE4ELNS1_11target_archE910ELNS1_3gpuE8ELNS1_3repE0EEENS1_30default_config_static_selectorELNS0_4arch9wavefront6targetE1EEEvT1_, .Lfunc_end170-_ZN7rocprim17ROCPRIM_400000_NS6detail17trampoline_kernelINS0_14default_configENS1_27scan_by_key_config_selectorIllEEZZNS1_16scan_by_key_implILNS1_25lookback_scan_determinismE0ELb0ES3_N6thrust23THRUST_200600_302600_NS16reverse_iteratorIPKlEESD_NSA_IPlEElN6hipcub16HIPCUB_304000_NS3MaxENSH_8EqualityElEE10hipError_tPvRmT2_T3_T4_T5_mT6_T7_P12ihipStream_tbENKUlT_T0_E_clISt17integral_constantIbLb0EESZ_IbLb1EEEEDaSV_SW_EUlSV_E_NS1_11comp_targetILNS1_3genE4ELNS1_11target_archE910ELNS1_3gpuE8ELNS1_3repE0EEENS1_30default_config_static_selectorELNS0_4arch9wavefront6targetE1EEEvT1_
                                        ; -- End function
	.section	.AMDGPU.csdata,"",@progbits
; Kernel info:
; codeLenInByte = 0
; NumSgprs: 6
; NumVgprs: 0
; NumAgprs: 0
; TotalNumVgprs: 0
; ScratchSize: 0
; MemoryBound: 0
; FloatMode: 240
; IeeeMode: 1
; LDSByteSize: 0 bytes/workgroup (compile time only)
; SGPRBlocks: 0
; VGPRBlocks: 0
; NumSGPRsForWavesPerEU: 6
; NumVGPRsForWavesPerEU: 1
; AccumOffset: 4
; Occupancy: 8
; WaveLimiterHint : 0
; COMPUTE_PGM_RSRC2:SCRATCH_EN: 0
; COMPUTE_PGM_RSRC2:USER_SGPR: 2
; COMPUTE_PGM_RSRC2:TRAP_HANDLER: 0
; COMPUTE_PGM_RSRC2:TGID_X_EN: 1
; COMPUTE_PGM_RSRC2:TGID_Y_EN: 0
; COMPUTE_PGM_RSRC2:TGID_Z_EN: 0
; COMPUTE_PGM_RSRC2:TIDIG_COMP_CNT: 0
; COMPUTE_PGM_RSRC3_GFX90A:ACCUM_OFFSET: 0
; COMPUTE_PGM_RSRC3_GFX90A:TG_SPLIT: 0
	.section	.text._ZN7rocprim17ROCPRIM_400000_NS6detail17trampoline_kernelINS0_14default_configENS1_27scan_by_key_config_selectorIllEEZZNS1_16scan_by_key_implILNS1_25lookback_scan_determinismE0ELb0ES3_N6thrust23THRUST_200600_302600_NS16reverse_iteratorIPKlEESD_NSA_IPlEElN6hipcub16HIPCUB_304000_NS3MaxENSH_8EqualityElEE10hipError_tPvRmT2_T3_T4_T5_mT6_T7_P12ihipStream_tbENKUlT_T0_E_clISt17integral_constantIbLb0EESZ_IbLb1EEEEDaSV_SW_EUlSV_E_NS1_11comp_targetILNS1_3genE3ELNS1_11target_archE908ELNS1_3gpuE7ELNS1_3repE0EEENS1_30default_config_static_selectorELNS0_4arch9wavefront6targetE1EEEvT1_,"axG",@progbits,_ZN7rocprim17ROCPRIM_400000_NS6detail17trampoline_kernelINS0_14default_configENS1_27scan_by_key_config_selectorIllEEZZNS1_16scan_by_key_implILNS1_25lookback_scan_determinismE0ELb0ES3_N6thrust23THRUST_200600_302600_NS16reverse_iteratorIPKlEESD_NSA_IPlEElN6hipcub16HIPCUB_304000_NS3MaxENSH_8EqualityElEE10hipError_tPvRmT2_T3_T4_T5_mT6_T7_P12ihipStream_tbENKUlT_T0_E_clISt17integral_constantIbLb0EESZ_IbLb1EEEEDaSV_SW_EUlSV_E_NS1_11comp_targetILNS1_3genE3ELNS1_11target_archE908ELNS1_3gpuE7ELNS1_3repE0EEENS1_30default_config_static_selectorELNS0_4arch9wavefront6targetE1EEEvT1_,comdat
	.protected	_ZN7rocprim17ROCPRIM_400000_NS6detail17trampoline_kernelINS0_14default_configENS1_27scan_by_key_config_selectorIllEEZZNS1_16scan_by_key_implILNS1_25lookback_scan_determinismE0ELb0ES3_N6thrust23THRUST_200600_302600_NS16reverse_iteratorIPKlEESD_NSA_IPlEElN6hipcub16HIPCUB_304000_NS3MaxENSH_8EqualityElEE10hipError_tPvRmT2_T3_T4_T5_mT6_T7_P12ihipStream_tbENKUlT_T0_E_clISt17integral_constantIbLb0EESZ_IbLb1EEEEDaSV_SW_EUlSV_E_NS1_11comp_targetILNS1_3genE3ELNS1_11target_archE908ELNS1_3gpuE7ELNS1_3repE0EEENS1_30default_config_static_selectorELNS0_4arch9wavefront6targetE1EEEvT1_ ; -- Begin function _ZN7rocprim17ROCPRIM_400000_NS6detail17trampoline_kernelINS0_14default_configENS1_27scan_by_key_config_selectorIllEEZZNS1_16scan_by_key_implILNS1_25lookback_scan_determinismE0ELb0ES3_N6thrust23THRUST_200600_302600_NS16reverse_iteratorIPKlEESD_NSA_IPlEElN6hipcub16HIPCUB_304000_NS3MaxENSH_8EqualityElEE10hipError_tPvRmT2_T3_T4_T5_mT6_T7_P12ihipStream_tbENKUlT_T0_E_clISt17integral_constantIbLb0EESZ_IbLb1EEEEDaSV_SW_EUlSV_E_NS1_11comp_targetILNS1_3genE3ELNS1_11target_archE908ELNS1_3gpuE7ELNS1_3repE0EEENS1_30default_config_static_selectorELNS0_4arch9wavefront6targetE1EEEvT1_
	.globl	_ZN7rocprim17ROCPRIM_400000_NS6detail17trampoline_kernelINS0_14default_configENS1_27scan_by_key_config_selectorIllEEZZNS1_16scan_by_key_implILNS1_25lookback_scan_determinismE0ELb0ES3_N6thrust23THRUST_200600_302600_NS16reverse_iteratorIPKlEESD_NSA_IPlEElN6hipcub16HIPCUB_304000_NS3MaxENSH_8EqualityElEE10hipError_tPvRmT2_T3_T4_T5_mT6_T7_P12ihipStream_tbENKUlT_T0_E_clISt17integral_constantIbLb0EESZ_IbLb1EEEEDaSV_SW_EUlSV_E_NS1_11comp_targetILNS1_3genE3ELNS1_11target_archE908ELNS1_3gpuE7ELNS1_3repE0EEENS1_30default_config_static_selectorELNS0_4arch9wavefront6targetE1EEEvT1_
	.p2align	8
	.type	_ZN7rocprim17ROCPRIM_400000_NS6detail17trampoline_kernelINS0_14default_configENS1_27scan_by_key_config_selectorIllEEZZNS1_16scan_by_key_implILNS1_25lookback_scan_determinismE0ELb0ES3_N6thrust23THRUST_200600_302600_NS16reverse_iteratorIPKlEESD_NSA_IPlEElN6hipcub16HIPCUB_304000_NS3MaxENSH_8EqualityElEE10hipError_tPvRmT2_T3_T4_T5_mT6_T7_P12ihipStream_tbENKUlT_T0_E_clISt17integral_constantIbLb0EESZ_IbLb1EEEEDaSV_SW_EUlSV_E_NS1_11comp_targetILNS1_3genE3ELNS1_11target_archE908ELNS1_3gpuE7ELNS1_3repE0EEENS1_30default_config_static_selectorELNS0_4arch9wavefront6targetE1EEEvT1_,@function
_ZN7rocprim17ROCPRIM_400000_NS6detail17trampoline_kernelINS0_14default_configENS1_27scan_by_key_config_selectorIllEEZZNS1_16scan_by_key_implILNS1_25lookback_scan_determinismE0ELb0ES3_N6thrust23THRUST_200600_302600_NS16reverse_iteratorIPKlEESD_NSA_IPlEElN6hipcub16HIPCUB_304000_NS3MaxENSH_8EqualityElEE10hipError_tPvRmT2_T3_T4_T5_mT6_T7_P12ihipStream_tbENKUlT_T0_E_clISt17integral_constantIbLb0EESZ_IbLb1EEEEDaSV_SW_EUlSV_E_NS1_11comp_targetILNS1_3genE3ELNS1_11target_archE908ELNS1_3gpuE7ELNS1_3repE0EEENS1_30default_config_static_selectorELNS0_4arch9wavefront6targetE1EEEvT1_: ; @_ZN7rocprim17ROCPRIM_400000_NS6detail17trampoline_kernelINS0_14default_configENS1_27scan_by_key_config_selectorIllEEZZNS1_16scan_by_key_implILNS1_25lookback_scan_determinismE0ELb0ES3_N6thrust23THRUST_200600_302600_NS16reverse_iteratorIPKlEESD_NSA_IPlEElN6hipcub16HIPCUB_304000_NS3MaxENSH_8EqualityElEE10hipError_tPvRmT2_T3_T4_T5_mT6_T7_P12ihipStream_tbENKUlT_T0_E_clISt17integral_constantIbLb0EESZ_IbLb1EEEEDaSV_SW_EUlSV_E_NS1_11comp_targetILNS1_3genE3ELNS1_11target_archE908ELNS1_3gpuE7ELNS1_3repE0EEENS1_30default_config_static_selectorELNS0_4arch9wavefront6targetE1EEEvT1_
; %bb.0:
	.section	.rodata,"a",@progbits
	.p2align	6, 0x0
	.amdhsa_kernel _ZN7rocprim17ROCPRIM_400000_NS6detail17trampoline_kernelINS0_14default_configENS1_27scan_by_key_config_selectorIllEEZZNS1_16scan_by_key_implILNS1_25lookback_scan_determinismE0ELb0ES3_N6thrust23THRUST_200600_302600_NS16reverse_iteratorIPKlEESD_NSA_IPlEElN6hipcub16HIPCUB_304000_NS3MaxENSH_8EqualityElEE10hipError_tPvRmT2_T3_T4_T5_mT6_T7_P12ihipStream_tbENKUlT_T0_E_clISt17integral_constantIbLb0EESZ_IbLb1EEEEDaSV_SW_EUlSV_E_NS1_11comp_targetILNS1_3genE3ELNS1_11target_archE908ELNS1_3gpuE7ELNS1_3repE0EEENS1_30default_config_static_selectorELNS0_4arch9wavefront6targetE1EEEvT1_
		.amdhsa_group_segment_fixed_size 0
		.amdhsa_private_segment_fixed_size 0
		.amdhsa_kernarg_size 136
		.amdhsa_user_sgpr_count 2
		.amdhsa_user_sgpr_dispatch_ptr 0
		.amdhsa_user_sgpr_queue_ptr 0
		.amdhsa_user_sgpr_kernarg_segment_ptr 1
		.amdhsa_user_sgpr_dispatch_id 0
		.amdhsa_user_sgpr_kernarg_preload_length 0
		.amdhsa_user_sgpr_kernarg_preload_offset 0
		.amdhsa_user_sgpr_private_segment_size 0
		.amdhsa_uses_dynamic_stack 0
		.amdhsa_enable_private_segment 0
		.amdhsa_system_sgpr_workgroup_id_x 1
		.amdhsa_system_sgpr_workgroup_id_y 0
		.amdhsa_system_sgpr_workgroup_id_z 0
		.amdhsa_system_sgpr_workgroup_info 0
		.amdhsa_system_vgpr_workitem_id 0
		.amdhsa_next_free_vgpr 1
		.amdhsa_next_free_sgpr 0
		.amdhsa_accum_offset 4
		.amdhsa_reserve_vcc 0
		.amdhsa_float_round_mode_32 0
		.amdhsa_float_round_mode_16_64 0
		.amdhsa_float_denorm_mode_32 3
		.amdhsa_float_denorm_mode_16_64 3
		.amdhsa_dx10_clamp 1
		.amdhsa_ieee_mode 1
		.amdhsa_fp16_overflow 0
		.amdhsa_tg_split 0
		.amdhsa_exception_fp_ieee_invalid_op 0
		.amdhsa_exception_fp_denorm_src 0
		.amdhsa_exception_fp_ieee_div_zero 0
		.amdhsa_exception_fp_ieee_overflow 0
		.amdhsa_exception_fp_ieee_underflow 0
		.amdhsa_exception_fp_ieee_inexact 0
		.amdhsa_exception_int_div_zero 0
	.end_amdhsa_kernel
	.section	.text._ZN7rocprim17ROCPRIM_400000_NS6detail17trampoline_kernelINS0_14default_configENS1_27scan_by_key_config_selectorIllEEZZNS1_16scan_by_key_implILNS1_25lookback_scan_determinismE0ELb0ES3_N6thrust23THRUST_200600_302600_NS16reverse_iteratorIPKlEESD_NSA_IPlEElN6hipcub16HIPCUB_304000_NS3MaxENSH_8EqualityElEE10hipError_tPvRmT2_T3_T4_T5_mT6_T7_P12ihipStream_tbENKUlT_T0_E_clISt17integral_constantIbLb0EESZ_IbLb1EEEEDaSV_SW_EUlSV_E_NS1_11comp_targetILNS1_3genE3ELNS1_11target_archE908ELNS1_3gpuE7ELNS1_3repE0EEENS1_30default_config_static_selectorELNS0_4arch9wavefront6targetE1EEEvT1_,"axG",@progbits,_ZN7rocprim17ROCPRIM_400000_NS6detail17trampoline_kernelINS0_14default_configENS1_27scan_by_key_config_selectorIllEEZZNS1_16scan_by_key_implILNS1_25lookback_scan_determinismE0ELb0ES3_N6thrust23THRUST_200600_302600_NS16reverse_iteratorIPKlEESD_NSA_IPlEElN6hipcub16HIPCUB_304000_NS3MaxENSH_8EqualityElEE10hipError_tPvRmT2_T3_T4_T5_mT6_T7_P12ihipStream_tbENKUlT_T0_E_clISt17integral_constantIbLb0EESZ_IbLb1EEEEDaSV_SW_EUlSV_E_NS1_11comp_targetILNS1_3genE3ELNS1_11target_archE908ELNS1_3gpuE7ELNS1_3repE0EEENS1_30default_config_static_selectorELNS0_4arch9wavefront6targetE1EEEvT1_,comdat
.Lfunc_end171:
	.size	_ZN7rocprim17ROCPRIM_400000_NS6detail17trampoline_kernelINS0_14default_configENS1_27scan_by_key_config_selectorIllEEZZNS1_16scan_by_key_implILNS1_25lookback_scan_determinismE0ELb0ES3_N6thrust23THRUST_200600_302600_NS16reverse_iteratorIPKlEESD_NSA_IPlEElN6hipcub16HIPCUB_304000_NS3MaxENSH_8EqualityElEE10hipError_tPvRmT2_T3_T4_T5_mT6_T7_P12ihipStream_tbENKUlT_T0_E_clISt17integral_constantIbLb0EESZ_IbLb1EEEEDaSV_SW_EUlSV_E_NS1_11comp_targetILNS1_3genE3ELNS1_11target_archE908ELNS1_3gpuE7ELNS1_3repE0EEENS1_30default_config_static_selectorELNS0_4arch9wavefront6targetE1EEEvT1_, .Lfunc_end171-_ZN7rocprim17ROCPRIM_400000_NS6detail17trampoline_kernelINS0_14default_configENS1_27scan_by_key_config_selectorIllEEZZNS1_16scan_by_key_implILNS1_25lookback_scan_determinismE0ELb0ES3_N6thrust23THRUST_200600_302600_NS16reverse_iteratorIPKlEESD_NSA_IPlEElN6hipcub16HIPCUB_304000_NS3MaxENSH_8EqualityElEE10hipError_tPvRmT2_T3_T4_T5_mT6_T7_P12ihipStream_tbENKUlT_T0_E_clISt17integral_constantIbLb0EESZ_IbLb1EEEEDaSV_SW_EUlSV_E_NS1_11comp_targetILNS1_3genE3ELNS1_11target_archE908ELNS1_3gpuE7ELNS1_3repE0EEENS1_30default_config_static_selectorELNS0_4arch9wavefront6targetE1EEEvT1_
                                        ; -- End function
	.section	.AMDGPU.csdata,"",@progbits
; Kernel info:
; codeLenInByte = 0
; NumSgprs: 6
; NumVgprs: 0
; NumAgprs: 0
; TotalNumVgprs: 0
; ScratchSize: 0
; MemoryBound: 0
; FloatMode: 240
; IeeeMode: 1
; LDSByteSize: 0 bytes/workgroup (compile time only)
; SGPRBlocks: 0
; VGPRBlocks: 0
; NumSGPRsForWavesPerEU: 6
; NumVGPRsForWavesPerEU: 1
; AccumOffset: 4
; Occupancy: 8
; WaveLimiterHint : 0
; COMPUTE_PGM_RSRC2:SCRATCH_EN: 0
; COMPUTE_PGM_RSRC2:USER_SGPR: 2
; COMPUTE_PGM_RSRC2:TRAP_HANDLER: 0
; COMPUTE_PGM_RSRC2:TGID_X_EN: 1
; COMPUTE_PGM_RSRC2:TGID_Y_EN: 0
; COMPUTE_PGM_RSRC2:TGID_Z_EN: 0
; COMPUTE_PGM_RSRC2:TIDIG_COMP_CNT: 0
; COMPUTE_PGM_RSRC3_GFX90A:ACCUM_OFFSET: 0
; COMPUTE_PGM_RSRC3_GFX90A:TG_SPLIT: 0
	.section	.text._ZN7rocprim17ROCPRIM_400000_NS6detail17trampoline_kernelINS0_14default_configENS1_27scan_by_key_config_selectorIllEEZZNS1_16scan_by_key_implILNS1_25lookback_scan_determinismE0ELb0ES3_N6thrust23THRUST_200600_302600_NS16reverse_iteratorIPKlEESD_NSA_IPlEElN6hipcub16HIPCUB_304000_NS3MaxENSH_8EqualityElEE10hipError_tPvRmT2_T3_T4_T5_mT6_T7_P12ihipStream_tbENKUlT_T0_E_clISt17integral_constantIbLb0EESZ_IbLb1EEEEDaSV_SW_EUlSV_E_NS1_11comp_targetILNS1_3genE2ELNS1_11target_archE906ELNS1_3gpuE6ELNS1_3repE0EEENS1_30default_config_static_selectorELNS0_4arch9wavefront6targetE1EEEvT1_,"axG",@progbits,_ZN7rocprim17ROCPRIM_400000_NS6detail17trampoline_kernelINS0_14default_configENS1_27scan_by_key_config_selectorIllEEZZNS1_16scan_by_key_implILNS1_25lookback_scan_determinismE0ELb0ES3_N6thrust23THRUST_200600_302600_NS16reverse_iteratorIPKlEESD_NSA_IPlEElN6hipcub16HIPCUB_304000_NS3MaxENSH_8EqualityElEE10hipError_tPvRmT2_T3_T4_T5_mT6_T7_P12ihipStream_tbENKUlT_T0_E_clISt17integral_constantIbLb0EESZ_IbLb1EEEEDaSV_SW_EUlSV_E_NS1_11comp_targetILNS1_3genE2ELNS1_11target_archE906ELNS1_3gpuE6ELNS1_3repE0EEENS1_30default_config_static_selectorELNS0_4arch9wavefront6targetE1EEEvT1_,comdat
	.protected	_ZN7rocprim17ROCPRIM_400000_NS6detail17trampoline_kernelINS0_14default_configENS1_27scan_by_key_config_selectorIllEEZZNS1_16scan_by_key_implILNS1_25lookback_scan_determinismE0ELb0ES3_N6thrust23THRUST_200600_302600_NS16reverse_iteratorIPKlEESD_NSA_IPlEElN6hipcub16HIPCUB_304000_NS3MaxENSH_8EqualityElEE10hipError_tPvRmT2_T3_T4_T5_mT6_T7_P12ihipStream_tbENKUlT_T0_E_clISt17integral_constantIbLb0EESZ_IbLb1EEEEDaSV_SW_EUlSV_E_NS1_11comp_targetILNS1_3genE2ELNS1_11target_archE906ELNS1_3gpuE6ELNS1_3repE0EEENS1_30default_config_static_selectorELNS0_4arch9wavefront6targetE1EEEvT1_ ; -- Begin function _ZN7rocprim17ROCPRIM_400000_NS6detail17trampoline_kernelINS0_14default_configENS1_27scan_by_key_config_selectorIllEEZZNS1_16scan_by_key_implILNS1_25lookback_scan_determinismE0ELb0ES3_N6thrust23THRUST_200600_302600_NS16reverse_iteratorIPKlEESD_NSA_IPlEElN6hipcub16HIPCUB_304000_NS3MaxENSH_8EqualityElEE10hipError_tPvRmT2_T3_T4_T5_mT6_T7_P12ihipStream_tbENKUlT_T0_E_clISt17integral_constantIbLb0EESZ_IbLb1EEEEDaSV_SW_EUlSV_E_NS1_11comp_targetILNS1_3genE2ELNS1_11target_archE906ELNS1_3gpuE6ELNS1_3repE0EEENS1_30default_config_static_selectorELNS0_4arch9wavefront6targetE1EEEvT1_
	.globl	_ZN7rocprim17ROCPRIM_400000_NS6detail17trampoline_kernelINS0_14default_configENS1_27scan_by_key_config_selectorIllEEZZNS1_16scan_by_key_implILNS1_25lookback_scan_determinismE0ELb0ES3_N6thrust23THRUST_200600_302600_NS16reverse_iteratorIPKlEESD_NSA_IPlEElN6hipcub16HIPCUB_304000_NS3MaxENSH_8EqualityElEE10hipError_tPvRmT2_T3_T4_T5_mT6_T7_P12ihipStream_tbENKUlT_T0_E_clISt17integral_constantIbLb0EESZ_IbLb1EEEEDaSV_SW_EUlSV_E_NS1_11comp_targetILNS1_3genE2ELNS1_11target_archE906ELNS1_3gpuE6ELNS1_3repE0EEENS1_30default_config_static_selectorELNS0_4arch9wavefront6targetE1EEEvT1_
	.p2align	8
	.type	_ZN7rocprim17ROCPRIM_400000_NS6detail17trampoline_kernelINS0_14default_configENS1_27scan_by_key_config_selectorIllEEZZNS1_16scan_by_key_implILNS1_25lookback_scan_determinismE0ELb0ES3_N6thrust23THRUST_200600_302600_NS16reverse_iteratorIPKlEESD_NSA_IPlEElN6hipcub16HIPCUB_304000_NS3MaxENSH_8EqualityElEE10hipError_tPvRmT2_T3_T4_T5_mT6_T7_P12ihipStream_tbENKUlT_T0_E_clISt17integral_constantIbLb0EESZ_IbLb1EEEEDaSV_SW_EUlSV_E_NS1_11comp_targetILNS1_3genE2ELNS1_11target_archE906ELNS1_3gpuE6ELNS1_3repE0EEENS1_30default_config_static_selectorELNS0_4arch9wavefront6targetE1EEEvT1_,@function
_ZN7rocprim17ROCPRIM_400000_NS6detail17trampoline_kernelINS0_14default_configENS1_27scan_by_key_config_selectorIllEEZZNS1_16scan_by_key_implILNS1_25lookback_scan_determinismE0ELb0ES3_N6thrust23THRUST_200600_302600_NS16reverse_iteratorIPKlEESD_NSA_IPlEElN6hipcub16HIPCUB_304000_NS3MaxENSH_8EqualityElEE10hipError_tPvRmT2_T3_T4_T5_mT6_T7_P12ihipStream_tbENKUlT_T0_E_clISt17integral_constantIbLb0EESZ_IbLb1EEEEDaSV_SW_EUlSV_E_NS1_11comp_targetILNS1_3genE2ELNS1_11target_archE906ELNS1_3gpuE6ELNS1_3repE0EEENS1_30default_config_static_selectorELNS0_4arch9wavefront6targetE1EEEvT1_: ; @_ZN7rocprim17ROCPRIM_400000_NS6detail17trampoline_kernelINS0_14default_configENS1_27scan_by_key_config_selectorIllEEZZNS1_16scan_by_key_implILNS1_25lookback_scan_determinismE0ELb0ES3_N6thrust23THRUST_200600_302600_NS16reverse_iteratorIPKlEESD_NSA_IPlEElN6hipcub16HIPCUB_304000_NS3MaxENSH_8EqualityElEE10hipError_tPvRmT2_T3_T4_T5_mT6_T7_P12ihipStream_tbENKUlT_T0_E_clISt17integral_constantIbLb0EESZ_IbLb1EEEEDaSV_SW_EUlSV_E_NS1_11comp_targetILNS1_3genE2ELNS1_11target_archE906ELNS1_3gpuE6ELNS1_3repE0EEENS1_30default_config_static_selectorELNS0_4arch9wavefront6targetE1EEEvT1_
; %bb.0:
	.section	.rodata,"a",@progbits
	.p2align	6, 0x0
	.amdhsa_kernel _ZN7rocprim17ROCPRIM_400000_NS6detail17trampoline_kernelINS0_14default_configENS1_27scan_by_key_config_selectorIllEEZZNS1_16scan_by_key_implILNS1_25lookback_scan_determinismE0ELb0ES3_N6thrust23THRUST_200600_302600_NS16reverse_iteratorIPKlEESD_NSA_IPlEElN6hipcub16HIPCUB_304000_NS3MaxENSH_8EqualityElEE10hipError_tPvRmT2_T3_T4_T5_mT6_T7_P12ihipStream_tbENKUlT_T0_E_clISt17integral_constantIbLb0EESZ_IbLb1EEEEDaSV_SW_EUlSV_E_NS1_11comp_targetILNS1_3genE2ELNS1_11target_archE906ELNS1_3gpuE6ELNS1_3repE0EEENS1_30default_config_static_selectorELNS0_4arch9wavefront6targetE1EEEvT1_
		.amdhsa_group_segment_fixed_size 0
		.amdhsa_private_segment_fixed_size 0
		.amdhsa_kernarg_size 136
		.amdhsa_user_sgpr_count 2
		.amdhsa_user_sgpr_dispatch_ptr 0
		.amdhsa_user_sgpr_queue_ptr 0
		.amdhsa_user_sgpr_kernarg_segment_ptr 1
		.amdhsa_user_sgpr_dispatch_id 0
		.amdhsa_user_sgpr_kernarg_preload_length 0
		.amdhsa_user_sgpr_kernarg_preload_offset 0
		.amdhsa_user_sgpr_private_segment_size 0
		.amdhsa_uses_dynamic_stack 0
		.amdhsa_enable_private_segment 0
		.amdhsa_system_sgpr_workgroup_id_x 1
		.amdhsa_system_sgpr_workgroup_id_y 0
		.amdhsa_system_sgpr_workgroup_id_z 0
		.amdhsa_system_sgpr_workgroup_info 0
		.amdhsa_system_vgpr_workitem_id 0
		.amdhsa_next_free_vgpr 1
		.amdhsa_next_free_sgpr 0
		.amdhsa_accum_offset 4
		.amdhsa_reserve_vcc 0
		.amdhsa_float_round_mode_32 0
		.amdhsa_float_round_mode_16_64 0
		.amdhsa_float_denorm_mode_32 3
		.amdhsa_float_denorm_mode_16_64 3
		.amdhsa_dx10_clamp 1
		.amdhsa_ieee_mode 1
		.amdhsa_fp16_overflow 0
		.amdhsa_tg_split 0
		.amdhsa_exception_fp_ieee_invalid_op 0
		.amdhsa_exception_fp_denorm_src 0
		.amdhsa_exception_fp_ieee_div_zero 0
		.amdhsa_exception_fp_ieee_overflow 0
		.amdhsa_exception_fp_ieee_underflow 0
		.amdhsa_exception_fp_ieee_inexact 0
		.amdhsa_exception_int_div_zero 0
	.end_amdhsa_kernel
	.section	.text._ZN7rocprim17ROCPRIM_400000_NS6detail17trampoline_kernelINS0_14default_configENS1_27scan_by_key_config_selectorIllEEZZNS1_16scan_by_key_implILNS1_25lookback_scan_determinismE0ELb0ES3_N6thrust23THRUST_200600_302600_NS16reverse_iteratorIPKlEESD_NSA_IPlEElN6hipcub16HIPCUB_304000_NS3MaxENSH_8EqualityElEE10hipError_tPvRmT2_T3_T4_T5_mT6_T7_P12ihipStream_tbENKUlT_T0_E_clISt17integral_constantIbLb0EESZ_IbLb1EEEEDaSV_SW_EUlSV_E_NS1_11comp_targetILNS1_3genE2ELNS1_11target_archE906ELNS1_3gpuE6ELNS1_3repE0EEENS1_30default_config_static_selectorELNS0_4arch9wavefront6targetE1EEEvT1_,"axG",@progbits,_ZN7rocprim17ROCPRIM_400000_NS6detail17trampoline_kernelINS0_14default_configENS1_27scan_by_key_config_selectorIllEEZZNS1_16scan_by_key_implILNS1_25lookback_scan_determinismE0ELb0ES3_N6thrust23THRUST_200600_302600_NS16reverse_iteratorIPKlEESD_NSA_IPlEElN6hipcub16HIPCUB_304000_NS3MaxENSH_8EqualityElEE10hipError_tPvRmT2_T3_T4_T5_mT6_T7_P12ihipStream_tbENKUlT_T0_E_clISt17integral_constantIbLb0EESZ_IbLb1EEEEDaSV_SW_EUlSV_E_NS1_11comp_targetILNS1_3genE2ELNS1_11target_archE906ELNS1_3gpuE6ELNS1_3repE0EEENS1_30default_config_static_selectorELNS0_4arch9wavefront6targetE1EEEvT1_,comdat
.Lfunc_end172:
	.size	_ZN7rocprim17ROCPRIM_400000_NS6detail17trampoline_kernelINS0_14default_configENS1_27scan_by_key_config_selectorIllEEZZNS1_16scan_by_key_implILNS1_25lookback_scan_determinismE0ELb0ES3_N6thrust23THRUST_200600_302600_NS16reverse_iteratorIPKlEESD_NSA_IPlEElN6hipcub16HIPCUB_304000_NS3MaxENSH_8EqualityElEE10hipError_tPvRmT2_T3_T4_T5_mT6_T7_P12ihipStream_tbENKUlT_T0_E_clISt17integral_constantIbLb0EESZ_IbLb1EEEEDaSV_SW_EUlSV_E_NS1_11comp_targetILNS1_3genE2ELNS1_11target_archE906ELNS1_3gpuE6ELNS1_3repE0EEENS1_30default_config_static_selectorELNS0_4arch9wavefront6targetE1EEEvT1_, .Lfunc_end172-_ZN7rocprim17ROCPRIM_400000_NS6detail17trampoline_kernelINS0_14default_configENS1_27scan_by_key_config_selectorIllEEZZNS1_16scan_by_key_implILNS1_25lookback_scan_determinismE0ELb0ES3_N6thrust23THRUST_200600_302600_NS16reverse_iteratorIPKlEESD_NSA_IPlEElN6hipcub16HIPCUB_304000_NS3MaxENSH_8EqualityElEE10hipError_tPvRmT2_T3_T4_T5_mT6_T7_P12ihipStream_tbENKUlT_T0_E_clISt17integral_constantIbLb0EESZ_IbLb1EEEEDaSV_SW_EUlSV_E_NS1_11comp_targetILNS1_3genE2ELNS1_11target_archE906ELNS1_3gpuE6ELNS1_3repE0EEENS1_30default_config_static_selectorELNS0_4arch9wavefront6targetE1EEEvT1_
                                        ; -- End function
	.section	.AMDGPU.csdata,"",@progbits
; Kernel info:
; codeLenInByte = 0
; NumSgprs: 6
; NumVgprs: 0
; NumAgprs: 0
; TotalNumVgprs: 0
; ScratchSize: 0
; MemoryBound: 0
; FloatMode: 240
; IeeeMode: 1
; LDSByteSize: 0 bytes/workgroup (compile time only)
; SGPRBlocks: 0
; VGPRBlocks: 0
; NumSGPRsForWavesPerEU: 6
; NumVGPRsForWavesPerEU: 1
; AccumOffset: 4
; Occupancy: 8
; WaveLimiterHint : 0
; COMPUTE_PGM_RSRC2:SCRATCH_EN: 0
; COMPUTE_PGM_RSRC2:USER_SGPR: 2
; COMPUTE_PGM_RSRC2:TRAP_HANDLER: 0
; COMPUTE_PGM_RSRC2:TGID_X_EN: 1
; COMPUTE_PGM_RSRC2:TGID_Y_EN: 0
; COMPUTE_PGM_RSRC2:TGID_Z_EN: 0
; COMPUTE_PGM_RSRC2:TIDIG_COMP_CNT: 0
; COMPUTE_PGM_RSRC3_GFX90A:ACCUM_OFFSET: 0
; COMPUTE_PGM_RSRC3_GFX90A:TG_SPLIT: 0
	.section	.text._ZN7rocprim17ROCPRIM_400000_NS6detail17trampoline_kernelINS0_14default_configENS1_27scan_by_key_config_selectorIllEEZZNS1_16scan_by_key_implILNS1_25lookback_scan_determinismE0ELb0ES3_N6thrust23THRUST_200600_302600_NS16reverse_iteratorIPKlEESD_NSA_IPlEElN6hipcub16HIPCUB_304000_NS3MaxENSH_8EqualityElEE10hipError_tPvRmT2_T3_T4_T5_mT6_T7_P12ihipStream_tbENKUlT_T0_E_clISt17integral_constantIbLb0EESZ_IbLb1EEEEDaSV_SW_EUlSV_E_NS1_11comp_targetILNS1_3genE10ELNS1_11target_archE1200ELNS1_3gpuE4ELNS1_3repE0EEENS1_30default_config_static_selectorELNS0_4arch9wavefront6targetE1EEEvT1_,"axG",@progbits,_ZN7rocprim17ROCPRIM_400000_NS6detail17trampoline_kernelINS0_14default_configENS1_27scan_by_key_config_selectorIllEEZZNS1_16scan_by_key_implILNS1_25lookback_scan_determinismE0ELb0ES3_N6thrust23THRUST_200600_302600_NS16reverse_iteratorIPKlEESD_NSA_IPlEElN6hipcub16HIPCUB_304000_NS3MaxENSH_8EqualityElEE10hipError_tPvRmT2_T3_T4_T5_mT6_T7_P12ihipStream_tbENKUlT_T0_E_clISt17integral_constantIbLb0EESZ_IbLb1EEEEDaSV_SW_EUlSV_E_NS1_11comp_targetILNS1_3genE10ELNS1_11target_archE1200ELNS1_3gpuE4ELNS1_3repE0EEENS1_30default_config_static_selectorELNS0_4arch9wavefront6targetE1EEEvT1_,comdat
	.protected	_ZN7rocprim17ROCPRIM_400000_NS6detail17trampoline_kernelINS0_14default_configENS1_27scan_by_key_config_selectorIllEEZZNS1_16scan_by_key_implILNS1_25lookback_scan_determinismE0ELb0ES3_N6thrust23THRUST_200600_302600_NS16reverse_iteratorIPKlEESD_NSA_IPlEElN6hipcub16HIPCUB_304000_NS3MaxENSH_8EqualityElEE10hipError_tPvRmT2_T3_T4_T5_mT6_T7_P12ihipStream_tbENKUlT_T0_E_clISt17integral_constantIbLb0EESZ_IbLb1EEEEDaSV_SW_EUlSV_E_NS1_11comp_targetILNS1_3genE10ELNS1_11target_archE1200ELNS1_3gpuE4ELNS1_3repE0EEENS1_30default_config_static_selectorELNS0_4arch9wavefront6targetE1EEEvT1_ ; -- Begin function _ZN7rocprim17ROCPRIM_400000_NS6detail17trampoline_kernelINS0_14default_configENS1_27scan_by_key_config_selectorIllEEZZNS1_16scan_by_key_implILNS1_25lookback_scan_determinismE0ELb0ES3_N6thrust23THRUST_200600_302600_NS16reverse_iteratorIPKlEESD_NSA_IPlEElN6hipcub16HIPCUB_304000_NS3MaxENSH_8EqualityElEE10hipError_tPvRmT2_T3_T4_T5_mT6_T7_P12ihipStream_tbENKUlT_T0_E_clISt17integral_constantIbLb0EESZ_IbLb1EEEEDaSV_SW_EUlSV_E_NS1_11comp_targetILNS1_3genE10ELNS1_11target_archE1200ELNS1_3gpuE4ELNS1_3repE0EEENS1_30default_config_static_selectorELNS0_4arch9wavefront6targetE1EEEvT1_
	.globl	_ZN7rocprim17ROCPRIM_400000_NS6detail17trampoline_kernelINS0_14default_configENS1_27scan_by_key_config_selectorIllEEZZNS1_16scan_by_key_implILNS1_25lookback_scan_determinismE0ELb0ES3_N6thrust23THRUST_200600_302600_NS16reverse_iteratorIPKlEESD_NSA_IPlEElN6hipcub16HIPCUB_304000_NS3MaxENSH_8EqualityElEE10hipError_tPvRmT2_T3_T4_T5_mT6_T7_P12ihipStream_tbENKUlT_T0_E_clISt17integral_constantIbLb0EESZ_IbLb1EEEEDaSV_SW_EUlSV_E_NS1_11comp_targetILNS1_3genE10ELNS1_11target_archE1200ELNS1_3gpuE4ELNS1_3repE0EEENS1_30default_config_static_selectorELNS0_4arch9wavefront6targetE1EEEvT1_
	.p2align	8
	.type	_ZN7rocprim17ROCPRIM_400000_NS6detail17trampoline_kernelINS0_14default_configENS1_27scan_by_key_config_selectorIllEEZZNS1_16scan_by_key_implILNS1_25lookback_scan_determinismE0ELb0ES3_N6thrust23THRUST_200600_302600_NS16reverse_iteratorIPKlEESD_NSA_IPlEElN6hipcub16HIPCUB_304000_NS3MaxENSH_8EqualityElEE10hipError_tPvRmT2_T3_T4_T5_mT6_T7_P12ihipStream_tbENKUlT_T0_E_clISt17integral_constantIbLb0EESZ_IbLb1EEEEDaSV_SW_EUlSV_E_NS1_11comp_targetILNS1_3genE10ELNS1_11target_archE1200ELNS1_3gpuE4ELNS1_3repE0EEENS1_30default_config_static_selectorELNS0_4arch9wavefront6targetE1EEEvT1_,@function
_ZN7rocprim17ROCPRIM_400000_NS6detail17trampoline_kernelINS0_14default_configENS1_27scan_by_key_config_selectorIllEEZZNS1_16scan_by_key_implILNS1_25lookback_scan_determinismE0ELb0ES3_N6thrust23THRUST_200600_302600_NS16reverse_iteratorIPKlEESD_NSA_IPlEElN6hipcub16HIPCUB_304000_NS3MaxENSH_8EqualityElEE10hipError_tPvRmT2_T3_T4_T5_mT6_T7_P12ihipStream_tbENKUlT_T0_E_clISt17integral_constantIbLb0EESZ_IbLb1EEEEDaSV_SW_EUlSV_E_NS1_11comp_targetILNS1_3genE10ELNS1_11target_archE1200ELNS1_3gpuE4ELNS1_3repE0EEENS1_30default_config_static_selectorELNS0_4arch9wavefront6targetE1EEEvT1_: ; @_ZN7rocprim17ROCPRIM_400000_NS6detail17trampoline_kernelINS0_14default_configENS1_27scan_by_key_config_selectorIllEEZZNS1_16scan_by_key_implILNS1_25lookback_scan_determinismE0ELb0ES3_N6thrust23THRUST_200600_302600_NS16reverse_iteratorIPKlEESD_NSA_IPlEElN6hipcub16HIPCUB_304000_NS3MaxENSH_8EqualityElEE10hipError_tPvRmT2_T3_T4_T5_mT6_T7_P12ihipStream_tbENKUlT_T0_E_clISt17integral_constantIbLb0EESZ_IbLb1EEEEDaSV_SW_EUlSV_E_NS1_11comp_targetILNS1_3genE10ELNS1_11target_archE1200ELNS1_3gpuE4ELNS1_3repE0EEENS1_30default_config_static_selectorELNS0_4arch9wavefront6targetE1EEEvT1_
; %bb.0:
	.section	.rodata,"a",@progbits
	.p2align	6, 0x0
	.amdhsa_kernel _ZN7rocprim17ROCPRIM_400000_NS6detail17trampoline_kernelINS0_14default_configENS1_27scan_by_key_config_selectorIllEEZZNS1_16scan_by_key_implILNS1_25lookback_scan_determinismE0ELb0ES3_N6thrust23THRUST_200600_302600_NS16reverse_iteratorIPKlEESD_NSA_IPlEElN6hipcub16HIPCUB_304000_NS3MaxENSH_8EqualityElEE10hipError_tPvRmT2_T3_T4_T5_mT6_T7_P12ihipStream_tbENKUlT_T0_E_clISt17integral_constantIbLb0EESZ_IbLb1EEEEDaSV_SW_EUlSV_E_NS1_11comp_targetILNS1_3genE10ELNS1_11target_archE1200ELNS1_3gpuE4ELNS1_3repE0EEENS1_30default_config_static_selectorELNS0_4arch9wavefront6targetE1EEEvT1_
		.amdhsa_group_segment_fixed_size 0
		.amdhsa_private_segment_fixed_size 0
		.amdhsa_kernarg_size 136
		.amdhsa_user_sgpr_count 2
		.amdhsa_user_sgpr_dispatch_ptr 0
		.amdhsa_user_sgpr_queue_ptr 0
		.amdhsa_user_sgpr_kernarg_segment_ptr 1
		.amdhsa_user_sgpr_dispatch_id 0
		.amdhsa_user_sgpr_kernarg_preload_length 0
		.amdhsa_user_sgpr_kernarg_preload_offset 0
		.amdhsa_user_sgpr_private_segment_size 0
		.amdhsa_uses_dynamic_stack 0
		.amdhsa_enable_private_segment 0
		.amdhsa_system_sgpr_workgroup_id_x 1
		.amdhsa_system_sgpr_workgroup_id_y 0
		.amdhsa_system_sgpr_workgroup_id_z 0
		.amdhsa_system_sgpr_workgroup_info 0
		.amdhsa_system_vgpr_workitem_id 0
		.amdhsa_next_free_vgpr 1
		.amdhsa_next_free_sgpr 0
		.amdhsa_accum_offset 4
		.amdhsa_reserve_vcc 0
		.amdhsa_float_round_mode_32 0
		.amdhsa_float_round_mode_16_64 0
		.amdhsa_float_denorm_mode_32 3
		.amdhsa_float_denorm_mode_16_64 3
		.amdhsa_dx10_clamp 1
		.amdhsa_ieee_mode 1
		.amdhsa_fp16_overflow 0
		.amdhsa_tg_split 0
		.amdhsa_exception_fp_ieee_invalid_op 0
		.amdhsa_exception_fp_denorm_src 0
		.amdhsa_exception_fp_ieee_div_zero 0
		.amdhsa_exception_fp_ieee_overflow 0
		.amdhsa_exception_fp_ieee_underflow 0
		.amdhsa_exception_fp_ieee_inexact 0
		.amdhsa_exception_int_div_zero 0
	.end_amdhsa_kernel
	.section	.text._ZN7rocprim17ROCPRIM_400000_NS6detail17trampoline_kernelINS0_14default_configENS1_27scan_by_key_config_selectorIllEEZZNS1_16scan_by_key_implILNS1_25lookback_scan_determinismE0ELb0ES3_N6thrust23THRUST_200600_302600_NS16reverse_iteratorIPKlEESD_NSA_IPlEElN6hipcub16HIPCUB_304000_NS3MaxENSH_8EqualityElEE10hipError_tPvRmT2_T3_T4_T5_mT6_T7_P12ihipStream_tbENKUlT_T0_E_clISt17integral_constantIbLb0EESZ_IbLb1EEEEDaSV_SW_EUlSV_E_NS1_11comp_targetILNS1_3genE10ELNS1_11target_archE1200ELNS1_3gpuE4ELNS1_3repE0EEENS1_30default_config_static_selectorELNS0_4arch9wavefront6targetE1EEEvT1_,"axG",@progbits,_ZN7rocprim17ROCPRIM_400000_NS6detail17trampoline_kernelINS0_14default_configENS1_27scan_by_key_config_selectorIllEEZZNS1_16scan_by_key_implILNS1_25lookback_scan_determinismE0ELb0ES3_N6thrust23THRUST_200600_302600_NS16reverse_iteratorIPKlEESD_NSA_IPlEElN6hipcub16HIPCUB_304000_NS3MaxENSH_8EqualityElEE10hipError_tPvRmT2_T3_T4_T5_mT6_T7_P12ihipStream_tbENKUlT_T0_E_clISt17integral_constantIbLb0EESZ_IbLb1EEEEDaSV_SW_EUlSV_E_NS1_11comp_targetILNS1_3genE10ELNS1_11target_archE1200ELNS1_3gpuE4ELNS1_3repE0EEENS1_30default_config_static_selectorELNS0_4arch9wavefront6targetE1EEEvT1_,comdat
.Lfunc_end173:
	.size	_ZN7rocprim17ROCPRIM_400000_NS6detail17trampoline_kernelINS0_14default_configENS1_27scan_by_key_config_selectorIllEEZZNS1_16scan_by_key_implILNS1_25lookback_scan_determinismE0ELb0ES3_N6thrust23THRUST_200600_302600_NS16reverse_iteratorIPKlEESD_NSA_IPlEElN6hipcub16HIPCUB_304000_NS3MaxENSH_8EqualityElEE10hipError_tPvRmT2_T3_T4_T5_mT6_T7_P12ihipStream_tbENKUlT_T0_E_clISt17integral_constantIbLb0EESZ_IbLb1EEEEDaSV_SW_EUlSV_E_NS1_11comp_targetILNS1_3genE10ELNS1_11target_archE1200ELNS1_3gpuE4ELNS1_3repE0EEENS1_30default_config_static_selectorELNS0_4arch9wavefront6targetE1EEEvT1_, .Lfunc_end173-_ZN7rocprim17ROCPRIM_400000_NS6detail17trampoline_kernelINS0_14default_configENS1_27scan_by_key_config_selectorIllEEZZNS1_16scan_by_key_implILNS1_25lookback_scan_determinismE0ELb0ES3_N6thrust23THRUST_200600_302600_NS16reverse_iteratorIPKlEESD_NSA_IPlEElN6hipcub16HIPCUB_304000_NS3MaxENSH_8EqualityElEE10hipError_tPvRmT2_T3_T4_T5_mT6_T7_P12ihipStream_tbENKUlT_T0_E_clISt17integral_constantIbLb0EESZ_IbLb1EEEEDaSV_SW_EUlSV_E_NS1_11comp_targetILNS1_3genE10ELNS1_11target_archE1200ELNS1_3gpuE4ELNS1_3repE0EEENS1_30default_config_static_selectorELNS0_4arch9wavefront6targetE1EEEvT1_
                                        ; -- End function
	.section	.AMDGPU.csdata,"",@progbits
; Kernel info:
; codeLenInByte = 0
; NumSgprs: 6
; NumVgprs: 0
; NumAgprs: 0
; TotalNumVgprs: 0
; ScratchSize: 0
; MemoryBound: 0
; FloatMode: 240
; IeeeMode: 1
; LDSByteSize: 0 bytes/workgroup (compile time only)
; SGPRBlocks: 0
; VGPRBlocks: 0
; NumSGPRsForWavesPerEU: 6
; NumVGPRsForWavesPerEU: 1
; AccumOffset: 4
; Occupancy: 8
; WaveLimiterHint : 0
; COMPUTE_PGM_RSRC2:SCRATCH_EN: 0
; COMPUTE_PGM_RSRC2:USER_SGPR: 2
; COMPUTE_PGM_RSRC2:TRAP_HANDLER: 0
; COMPUTE_PGM_RSRC2:TGID_X_EN: 1
; COMPUTE_PGM_RSRC2:TGID_Y_EN: 0
; COMPUTE_PGM_RSRC2:TGID_Z_EN: 0
; COMPUTE_PGM_RSRC2:TIDIG_COMP_CNT: 0
; COMPUTE_PGM_RSRC3_GFX90A:ACCUM_OFFSET: 0
; COMPUTE_PGM_RSRC3_GFX90A:TG_SPLIT: 0
	.section	.text._ZN7rocprim17ROCPRIM_400000_NS6detail17trampoline_kernelINS0_14default_configENS1_27scan_by_key_config_selectorIllEEZZNS1_16scan_by_key_implILNS1_25lookback_scan_determinismE0ELb0ES3_N6thrust23THRUST_200600_302600_NS16reverse_iteratorIPKlEESD_NSA_IPlEElN6hipcub16HIPCUB_304000_NS3MaxENSH_8EqualityElEE10hipError_tPvRmT2_T3_T4_T5_mT6_T7_P12ihipStream_tbENKUlT_T0_E_clISt17integral_constantIbLb0EESZ_IbLb1EEEEDaSV_SW_EUlSV_E_NS1_11comp_targetILNS1_3genE9ELNS1_11target_archE1100ELNS1_3gpuE3ELNS1_3repE0EEENS1_30default_config_static_selectorELNS0_4arch9wavefront6targetE1EEEvT1_,"axG",@progbits,_ZN7rocprim17ROCPRIM_400000_NS6detail17trampoline_kernelINS0_14default_configENS1_27scan_by_key_config_selectorIllEEZZNS1_16scan_by_key_implILNS1_25lookback_scan_determinismE0ELb0ES3_N6thrust23THRUST_200600_302600_NS16reverse_iteratorIPKlEESD_NSA_IPlEElN6hipcub16HIPCUB_304000_NS3MaxENSH_8EqualityElEE10hipError_tPvRmT2_T3_T4_T5_mT6_T7_P12ihipStream_tbENKUlT_T0_E_clISt17integral_constantIbLb0EESZ_IbLb1EEEEDaSV_SW_EUlSV_E_NS1_11comp_targetILNS1_3genE9ELNS1_11target_archE1100ELNS1_3gpuE3ELNS1_3repE0EEENS1_30default_config_static_selectorELNS0_4arch9wavefront6targetE1EEEvT1_,comdat
	.protected	_ZN7rocprim17ROCPRIM_400000_NS6detail17trampoline_kernelINS0_14default_configENS1_27scan_by_key_config_selectorIllEEZZNS1_16scan_by_key_implILNS1_25lookback_scan_determinismE0ELb0ES3_N6thrust23THRUST_200600_302600_NS16reverse_iteratorIPKlEESD_NSA_IPlEElN6hipcub16HIPCUB_304000_NS3MaxENSH_8EqualityElEE10hipError_tPvRmT2_T3_T4_T5_mT6_T7_P12ihipStream_tbENKUlT_T0_E_clISt17integral_constantIbLb0EESZ_IbLb1EEEEDaSV_SW_EUlSV_E_NS1_11comp_targetILNS1_3genE9ELNS1_11target_archE1100ELNS1_3gpuE3ELNS1_3repE0EEENS1_30default_config_static_selectorELNS0_4arch9wavefront6targetE1EEEvT1_ ; -- Begin function _ZN7rocprim17ROCPRIM_400000_NS6detail17trampoline_kernelINS0_14default_configENS1_27scan_by_key_config_selectorIllEEZZNS1_16scan_by_key_implILNS1_25lookback_scan_determinismE0ELb0ES3_N6thrust23THRUST_200600_302600_NS16reverse_iteratorIPKlEESD_NSA_IPlEElN6hipcub16HIPCUB_304000_NS3MaxENSH_8EqualityElEE10hipError_tPvRmT2_T3_T4_T5_mT6_T7_P12ihipStream_tbENKUlT_T0_E_clISt17integral_constantIbLb0EESZ_IbLb1EEEEDaSV_SW_EUlSV_E_NS1_11comp_targetILNS1_3genE9ELNS1_11target_archE1100ELNS1_3gpuE3ELNS1_3repE0EEENS1_30default_config_static_selectorELNS0_4arch9wavefront6targetE1EEEvT1_
	.globl	_ZN7rocprim17ROCPRIM_400000_NS6detail17trampoline_kernelINS0_14default_configENS1_27scan_by_key_config_selectorIllEEZZNS1_16scan_by_key_implILNS1_25lookback_scan_determinismE0ELb0ES3_N6thrust23THRUST_200600_302600_NS16reverse_iteratorIPKlEESD_NSA_IPlEElN6hipcub16HIPCUB_304000_NS3MaxENSH_8EqualityElEE10hipError_tPvRmT2_T3_T4_T5_mT6_T7_P12ihipStream_tbENKUlT_T0_E_clISt17integral_constantIbLb0EESZ_IbLb1EEEEDaSV_SW_EUlSV_E_NS1_11comp_targetILNS1_3genE9ELNS1_11target_archE1100ELNS1_3gpuE3ELNS1_3repE0EEENS1_30default_config_static_selectorELNS0_4arch9wavefront6targetE1EEEvT1_
	.p2align	8
	.type	_ZN7rocprim17ROCPRIM_400000_NS6detail17trampoline_kernelINS0_14default_configENS1_27scan_by_key_config_selectorIllEEZZNS1_16scan_by_key_implILNS1_25lookback_scan_determinismE0ELb0ES3_N6thrust23THRUST_200600_302600_NS16reverse_iteratorIPKlEESD_NSA_IPlEElN6hipcub16HIPCUB_304000_NS3MaxENSH_8EqualityElEE10hipError_tPvRmT2_T3_T4_T5_mT6_T7_P12ihipStream_tbENKUlT_T0_E_clISt17integral_constantIbLb0EESZ_IbLb1EEEEDaSV_SW_EUlSV_E_NS1_11comp_targetILNS1_3genE9ELNS1_11target_archE1100ELNS1_3gpuE3ELNS1_3repE0EEENS1_30default_config_static_selectorELNS0_4arch9wavefront6targetE1EEEvT1_,@function
_ZN7rocprim17ROCPRIM_400000_NS6detail17trampoline_kernelINS0_14default_configENS1_27scan_by_key_config_selectorIllEEZZNS1_16scan_by_key_implILNS1_25lookback_scan_determinismE0ELb0ES3_N6thrust23THRUST_200600_302600_NS16reverse_iteratorIPKlEESD_NSA_IPlEElN6hipcub16HIPCUB_304000_NS3MaxENSH_8EqualityElEE10hipError_tPvRmT2_T3_T4_T5_mT6_T7_P12ihipStream_tbENKUlT_T0_E_clISt17integral_constantIbLb0EESZ_IbLb1EEEEDaSV_SW_EUlSV_E_NS1_11comp_targetILNS1_3genE9ELNS1_11target_archE1100ELNS1_3gpuE3ELNS1_3repE0EEENS1_30default_config_static_selectorELNS0_4arch9wavefront6targetE1EEEvT1_: ; @_ZN7rocprim17ROCPRIM_400000_NS6detail17trampoline_kernelINS0_14default_configENS1_27scan_by_key_config_selectorIllEEZZNS1_16scan_by_key_implILNS1_25lookback_scan_determinismE0ELb0ES3_N6thrust23THRUST_200600_302600_NS16reverse_iteratorIPKlEESD_NSA_IPlEElN6hipcub16HIPCUB_304000_NS3MaxENSH_8EqualityElEE10hipError_tPvRmT2_T3_T4_T5_mT6_T7_P12ihipStream_tbENKUlT_T0_E_clISt17integral_constantIbLb0EESZ_IbLb1EEEEDaSV_SW_EUlSV_E_NS1_11comp_targetILNS1_3genE9ELNS1_11target_archE1100ELNS1_3gpuE3ELNS1_3repE0EEENS1_30default_config_static_selectorELNS0_4arch9wavefront6targetE1EEEvT1_
; %bb.0:
	.section	.rodata,"a",@progbits
	.p2align	6, 0x0
	.amdhsa_kernel _ZN7rocprim17ROCPRIM_400000_NS6detail17trampoline_kernelINS0_14default_configENS1_27scan_by_key_config_selectorIllEEZZNS1_16scan_by_key_implILNS1_25lookback_scan_determinismE0ELb0ES3_N6thrust23THRUST_200600_302600_NS16reverse_iteratorIPKlEESD_NSA_IPlEElN6hipcub16HIPCUB_304000_NS3MaxENSH_8EqualityElEE10hipError_tPvRmT2_T3_T4_T5_mT6_T7_P12ihipStream_tbENKUlT_T0_E_clISt17integral_constantIbLb0EESZ_IbLb1EEEEDaSV_SW_EUlSV_E_NS1_11comp_targetILNS1_3genE9ELNS1_11target_archE1100ELNS1_3gpuE3ELNS1_3repE0EEENS1_30default_config_static_selectorELNS0_4arch9wavefront6targetE1EEEvT1_
		.amdhsa_group_segment_fixed_size 0
		.amdhsa_private_segment_fixed_size 0
		.amdhsa_kernarg_size 136
		.amdhsa_user_sgpr_count 2
		.amdhsa_user_sgpr_dispatch_ptr 0
		.amdhsa_user_sgpr_queue_ptr 0
		.amdhsa_user_sgpr_kernarg_segment_ptr 1
		.amdhsa_user_sgpr_dispatch_id 0
		.amdhsa_user_sgpr_kernarg_preload_length 0
		.amdhsa_user_sgpr_kernarg_preload_offset 0
		.amdhsa_user_sgpr_private_segment_size 0
		.amdhsa_uses_dynamic_stack 0
		.amdhsa_enable_private_segment 0
		.amdhsa_system_sgpr_workgroup_id_x 1
		.amdhsa_system_sgpr_workgroup_id_y 0
		.amdhsa_system_sgpr_workgroup_id_z 0
		.amdhsa_system_sgpr_workgroup_info 0
		.amdhsa_system_vgpr_workitem_id 0
		.amdhsa_next_free_vgpr 1
		.amdhsa_next_free_sgpr 0
		.amdhsa_accum_offset 4
		.amdhsa_reserve_vcc 0
		.amdhsa_float_round_mode_32 0
		.amdhsa_float_round_mode_16_64 0
		.amdhsa_float_denorm_mode_32 3
		.amdhsa_float_denorm_mode_16_64 3
		.amdhsa_dx10_clamp 1
		.amdhsa_ieee_mode 1
		.amdhsa_fp16_overflow 0
		.amdhsa_tg_split 0
		.amdhsa_exception_fp_ieee_invalid_op 0
		.amdhsa_exception_fp_denorm_src 0
		.amdhsa_exception_fp_ieee_div_zero 0
		.amdhsa_exception_fp_ieee_overflow 0
		.amdhsa_exception_fp_ieee_underflow 0
		.amdhsa_exception_fp_ieee_inexact 0
		.amdhsa_exception_int_div_zero 0
	.end_amdhsa_kernel
	.section	.text._ZN7rocprim17ROCPRIM_400000_NS6detail17trampoline_kernelINS0_14default_configENS1_27scan_by_key_config_selectorIllEEZZNS1_16scan_by_key_implILNS1_25lookback_scan_determinismE0ELb0ES3_N6thrust23THRUST_200600_302600_NS16reverse_iteratorIPKlEESD_NSA_IPlEElN6hipcub16HIPCUB_304000_NS3MaxENSH_8EqualityElEE10hipError_tPvRmT2_T3_T4_T5_mT6_T7_P12ihipStream_tbENKUlT_T0_E_clISt17integral_constantIbLb0EESZ_IbLb1EEEEDaSV_SW_EUlSV_E_NS1_11comp_targetILNS1_3genE9ELNS1_11target_archE1100ELNS1_3gpuE3ELNS1_3repE0EEENS1_30default_config_static_selectorELNS0_4arch9wavefront6targetE1EEEvT1_,"axG",@progbits,_ZN7rocprim17ROCPRIM_400000_NS6detail17trampoline_kernelINS0_14default_configENS1_27scan_by_key_config_selectorIllEEZZNS1_16scan_by_key_implILNS1_25lookback_scan_determinismE0ELb0ES3_N6thrust23THRUST_200600_302600_NS16reverse_iteratorIPKlEESD_NSA_IPlEElN6hipcub16HIPCUB_304000_NS3MaxENSH_8EqualityElEE10hipError_tPvRmT2_T3_T4_T5_mT6_T7_P12ihipStream_tbENKUlT_T0_E_clISt17integral_constantIbLb0EESZ_IbLb1EEEEDaSV_SW_EUlSV_E_NS1_11comp_targetILNS1_3genE9ELNS1_11target_archE1100ELNS1_3gpuE3ELNS1_3repE0EEENS1_30default_config_static_selectorELNS0_4arch9wavefront6targetE1EEEvT1_,comdat
.Lfunc_end174:
	.size	_ZN7rocprim17ROCPRIM_400000_NS6detail17trampoline_kernelINS0_14default_configENS1_27scan_by_key_config_selectorIllEEZZNS1_16scan_by_key_implILNS1_25lookback_scan_determinismE0ELb0ES3_N6thrust23THRUST_200600_302600_NS16reverse_iteratorIPKlEESD_NSA_IPlEElN6hipcub16HIPCUB_304000_NS3MaxENSH_8EqualityElEE10hipError_tPvRmT2_T3_T4_T5_mT6_T7_P12ihipStream_tbENKUlT_T0_E_clISt17integral_constantIbLb0EESZ_IbLb1EEEEDaSV_SW_EUlSV_E_NS1_11comp_targetILNS1_3genE9ELNS1_11target_archE1100ELNS1_3gpuE3ELNS1_3repE0EEENS1_30default_config_static_selectorELNS0_4arch9wavefront6targetE1EEEvT1_, .Lfunc_end174-_ZN7rocprim17ROCPRIM_400000_NS6detail17trampoline_kernelINS0_14default_configENS1_27scan_by_key_config_selectorIllEEZZNS1_16scan_by_key_implILNS1_25lookback_scan_determinismE0ELb0ES3_N6thrust23THRUST_200600_302600_NS16reverse_iteratorIPKlEESD_NSA_IPlEElN6hipcub16HIPCUB_304000_NS3MaxENSH_8EqualityElEE10hipError_tPvRmT2_T3_T4_T5_mT6_T7_P12ihipStream_tbENKUlT_T0_E_clISt17integral_constantIbLb0EESZ_IbLb1EEEEDaSV_SW_EUlSV_E_NS1_11comp_targetILNS1_3genE9ELNS1_11target_archE1100ELNS1_3gpuE3ELNS1_3repE0EEENS1_30default_config_static_selectorELNS0_4arch9wavefront6targetE1EEEvT1_
                                        ; -- End function
	.section	.AMDGPU.csdata,"",@progbits
; Kernel info:
; codeLenInByte = 0
; NumSgprs: 6
; NumVgprs: 0
; NumAgprs: 0
; TotalNumVgprs: 0
; ScratchSize: 0
; MemoryBound: 0
; FloatMode: 240
; IeeeMode: 1
; LDSByteSize: 0 bytes/workgroup (compile time only)
; SGPRBlocks: 0
; VGPRBlocks: 0
; NumSGPRsForWavesPerEU: 6
; NumVGPRsForWavesPerEU: 1
; AccumOffset: 4
; Occupancy: 8
; WaveLimiterHint : 0
; COMPUTE_PGM_RSRC2:SCRATCH_EN: 0
; COMPUTE_PGM_RSRC2:USER_SGPR: 2
; COMPUTE_PGM_RSRC2:TRAP_HANDLER: 0
; COMPUTE_PGM_RSRC2:TGID_X_EN: 1
; COMPUTE_PGM_RSRC2:TGID_Y_EN: 0
; COMPUTE_PGM_RSRC2:TGID_Z_EN: 0
; COMPUTE_PGM_RSRC2:TIDIG_COMP_CNT: 0
; COMPUTE_PGM_RSRC3_GFX90A:ACCUM_OFFSET: 0
; COMPUTE_PGM_RSRC3_GFX90A:TG_SPLIT: 0
	.section	.text._ZN7rocprim17ROCPRIM_400000_NS6detail17trampoline_kernelINS0_14default_configENS1_27scan_by_key_config_selectorIllEEZZNS1_16scan_by_key_implILNS1_25lookback_scan_determinismE0ELb0ES3_N6thrust23THRUST_200600_302600_NS16reverse_iteratorIPKlEESD_NSA_IPlEElN6hipcub16HIPCUB_304000_NS3MaxENSH_8EqualityElEE10hipError_tPvRmT2_T3_T4_T5_mT6_T7_P12ihipStream_tbENKUlT_T0_E_clISt17integral_constantIbLb0EESZ_IbLb1EEEEDaSV_SW_EUlSV_E_NS1_11comp_targetILNS1_3genE8ELNS1_11target_archE1030ELNS1_3gpuE2ELNS1_3repE0EEENS1_30default_config_static_selectorELNS0_4arch9wavefront6targetE1EEEvT1_,"axG",@progbits,_ZN7rocprim17ROCPRIM_400000_NS6detail17trampoline_kernelINS0_14default_configENS1_27scan_by_key_config_selectorIllEEZZNS1_16scan_by_key_implILNS1_25lookback_scan_determinismE0ELb0ES3_N6thrust23THRUST_200600_302600_NS16reverse_iteratorIPKlEESD_NSA_IPlEElN6hipcub16HIPCUB_304000_NS3MaxENSH_8EqualityElEE10hipError_tPvRmT2_T3_T4_T5_mT6_T7_P12ihipStream_tbENKUlT_T0_E_clISt17integral_constantIbLb0EESZ_IbLb1EEEEDaSV_SW_EUlSV_E_NS1_11comp_targetILNS1_3genE8ELNS1_11target_archE1030ELNS1_3gpuE2ELNS1_3repE0EEENS1_30default_config_static_selectorELNS0_4arch9wavefront6targetE1EEEvT1_,comdat
	.protected	_ZN7rocprim17ROCPRIM_400000_NS6detail17trampoline_kernelINS0_14default_configENS1_27scan_by_key_config_selectorIllEEZZNS1_16scan_by_key_implILNS1_25lookback_scan_determinismE0ELb0ES3_N6thrust23THRUST_200600_302600_NS16reverse_iteratorIPKlEESD_NSA_IPlEElN6hipcub16HIPCUB_304000_NS3MaxENSH_8EqualityElEE10hipError_tPvRmT2_T3_T4_T5_mT6_T7_P12ihipStream_tbENKUlT_T0_E_clISt17integral_constantIbLb0EESZ_IbLb1EEEEDaSV_SW_EUlSV_E_NS1_11comp_targetILNS1_3genE8ELNS1_11target_archE1030ELNS1_3gpuE2ELNS1_3repE0EEENS1_30default_config_static_selectorELNS0_4arch9wavefront6targetE1EEEvT1_ ; -- Begin function _ZN7rocprim17ROCPRIM_400000_NS6detail17trampoline_kernelINS0_14default_configENS1_27scan_by_key_config_selectorIllEEZZNS1_16scan_by_key_implILNS1_25lookback_scan_determinismE0ELb0ES3_N6thrust23THRUST_200600_302600_NS16reverse_iteratorIPKlEESD_NSA_IPlEElN6hipcub16HIPCUB_304000_NS3MaxENSH_8EqualityElEE10hipError_tPvRmT2_T3_T4_T5_mT6_T7_P12ihipStream_tbENKUlT_T0_E_clISt17integral_constantIbLb0EESZ_IbLb1EEEEDaSV_SW_EUlSV_E_NS1_11comp_targetILNS1_3genE8ELNS1_11target_archE1030ELNS1_3gpuE2ELNS1_3repE0EEENS1_30default_config_static_selectorELNS0_4arch9wavefront6targetE1EEEvT1_
	.globl	_ZN7rocprim17ROCPRIM_400000_NS6detail17trampoline_kernelINS0_14default_configENS1_27scan_by_key_config_selectorIllEEZZNS1_16scan_by_key_implILNS1_25lookback_scan_determinismE0ELb0ES3_N6thrust23THRUST_200600_302600_NS16reverse_iteratorIPKlEESD_NSA_IPlEElN6hipcub16HIPCUB_304000_NS3MaxENSH_8EqualityElEE10hipError_tPvRmT2_T3_T4_T5_mT6_T7_P12ihipStream_tbENKUlT_T0_E_clISt17integral_constantIbLb0EESZ_IbLb1EEEEDaSV_SW_EUlSV_E_NS1_11comp_targetILNS1_3genE8ELNS1_11target_archE1030ELNS1_3gpuE2ELNS1_3repE0EEENS1_30default_config_static_selectorELNS0_4arch9wavefront6targetE1EEEvT1_
	.p2align	8
	.type	_ZN7rocprim17ROCPRIM_400000_NS6detail17trampoline_kernelINS0_14default_configENS1_27scan_by_key_config_selectorIllEEZZNS1_16scan_by_key_implILNS1_25lookback_scan_determinismE0ELb0ES3_N6thrust23THRUST_200600_302600_NS16reverse_iteratorIPKlEESD_NSA_IPlEElN6hipcub16HIPCUB_304000_NS3MaxENSH_8EqualityElEE10hipError_tPvRmT2_T3_T4_T5_mT6_T7_P12ihipStream_tbENKUlT_T0_E_clISt17integral_constantIbLb0EESZ_IbLb1EEEEDaSV_SW_EUlSV_E_NS1_11comp_targetILNS1_3genE8ELNS1_11target_archE1030ELNS1_3gpuE2ELNS1_3repE0EEENS1_30default_config_static_selectorELNS0_4arch9wavefront6targetE1EEEvT1_,@function
_ZN7rocprim17ROCPRIM_400000_NS6detail17trampoline_kernelINS0_14default_configENS1_27scan_by_key_config_selectorIllEEZZNS1_16scan_by_key_implILNS1_25lookback_scan_determinismE0ELb0ES3_N6thrust23THRUST_200600_302600_NS16reverse_iteratorIPKlEESD_NSA_IPlEElN6hipcub16HIPCUB_304000_NS3MaxENSH_8EqualityElEE10hipError_tPvRmT2_T3_T4_T5_mT6_T7_P12ihipStream_tbENKUlT_T0_E_clISt17integral_constantIbLb0EESZ_IbLb1EEEEDaSV_SW_EUlSV_E_NS1_11comp_targetILNS1_3genE8ELNS1_11target_archE1030ELNS1_3gpuE2ELNS1_3repE0EEENS1_30default_config_static_selectorELNS0_4arch9wavefront6targetE1EEEvT1_: ; @_ZN7rocprim17ROCPRIM_400000_NS6detail17trampoline_kernelINS0_14default_configENS1_27scan_by_key_config_selectorIllEEZZNS1_16scan_by_key_implILNS1_25lookback_scan_determinismE0ELb0ES3_N6thrust23THRUST_200600_302600_NS16reverse_iteratorIPKlEESD_NSA_IPlEElN6hipcub16HIPCUB_304000_NS3MaxENSH_8EqualityElEE10hipError_tPvRmT2_T3_T4_T5_mT6_T7_P12ihipStream_tbENKUlT_T0_E_clISt17integral_constantIbLb0EESZ_IbLb1EEEEDaSV_SW_EUlSV_E_NS1_11comp_targetILNS1_3genE8ELNS1_11target_archE1030ELNS1_3gpuE2ELNS1_3repE0EEENS1_30default_config_static_selectorELNS0_4arch9wavefront6targetE1EEEvT1_
; %bb.0:
	.section	.rodata,"a",@progbits
	.p2align	6, 0x0
	.amdhsa_kernel _ZN7rocprim17ROCPRIM_400000_NS6detail17trampoline_kernelINS0_14default_configENS1_27scan_by_key_config_selectorIllEEZZNS1_16scan_by_key_implILNS1_25lookback_scan_determinismE0ELb0ES3_N6thrust23THRUST_200600_302600_NS16reverse_iteratorIPKlEESD_NSA_IPlEElN6hipcub16HIPCUB_304000_NS3MaxENSH_8EqualityElEE10hipError_tPvRmT2_T3_T4_T5_mT6_T7_P12ihipStream_tbENKUlT_T0_E_clISt17integral_constantIbLb0EESZ_IbLb1EEEEDaSV_SW_EUlSV_E_NS1_11comp_targetILNS1_3genE8ELNS1_11target_archE1030ELNS1_3gpuE2ELNS1_3repE0EEENS1_30default_config_static_selectorELNS0_4arch9wavefront6targetE1EEEvT1_
		.amdhsa_group_segment_fixed_size 0
		.amdhsa_private_segment_fixed_size 0
		.amdhsa_kernarg_size 136
		.amdhsa_user_sgpr_count 2
		.amdhsa_user_sgpr_dispatch_ptr 0
		.amdhsa_user_sgpr_queue_ptr 0
		.amdhsa_user_sgpr_kernarg_segment_ptr 1
		.amdhsa_user_sgpr_dispatch_id 0
		.amdhsa_user_sgpr_kernarg_preload_length 0
		.amdhsa_user_sgpr_kernarg_preload_offset 0
		.amdhsa_user_sgpr_private_segment_size 0
		.amdhsa_uses_dynamic_stack 0
		.amdhsa_enable_private_segment 0
		.amdhsa_system_sgpr_workgroup_id_x 1
		.amdhsa_system_sgpr_workgroup_id_y 0
		.amdhsa_system_sgpr_workgroup_id_z 0
		.amdhsa_system_sgpr_workgroup_info 0
		.amdhsa_system_vgpr_workitem_id 0
		.amdhsa_next_free_vgpr 1
		.amdhsa_next_free_sgpr 0
		.amdhsa_accum_offset 4
		.amdhsa_reserve_vcc 0
		.amdhsa_float_round_mode_32 0
		.amdhsa_float_round_mode_16_64 0
		.amdhsa_float_denorm_mode_32 3
		.amdhsa_float_denorm_mode_16_64 3
		.amdhsa_dx10_clamp 1
		.amdhsa_ieee_mode 1
		.amdhsa_fp16_overflow 0
		.amdhsa_tg_split 0
		.amdhsa_exception_fp_ieee_invalid_op 0
		.amdhsa_exception_fp_denorm_src 0
		.amdhsa_exception_fp_ieee_div_zero 0
		.amdhsa_exception_fp_ieee_overflow 0
		.amdhsa_exception_fp_ieee_underflow 0
		.amdhsa_exception_fp_ieee_inexact 0
		.amdhsa_exception_int_div_zero 0
	.end_amdhsa_kernel
	.section	.text._ZN7rocprim17ROCPRIM_400000_NS6detail17trampoline_kernelINS0_14default_configENS1_27scan_by_key_config_selectorIllEEZZNS1_16scan_by_key_implILNS1_25lookback_scan_determinismE0ELb0ES3_N6thrust23THRUST_200600_302600_NS16reverse_iteratorIPKlEESD_NSA_IPlEElN6hipcub16HIPCUB_304000_NS3MaxENSH_8EqualityElEE10hipError_tPvRmT2_T3_T4_T5_mT6_T7_P12ihipStream_tbENKUlT_T0_E_clISt17integral_constantIbLb0EESZ_IbLb1EEEEDaSV_SW_EUlSV_E_NS1_11comp_targetILNS1_3genE8ELNS1_11target_archE1030ELNS1_3gpuE2ELNS1_3repE0EEENS1_30default_config_static_selectorELNS0_4arch9wavefront6targetE1EEEvT1_,"axG",@progbits,_ZN7rocprim17ROCPRIM_400000_NS6detail17trampoline_kernelINS0_14default_configENS1_27scan_by_key_config_selectorIllEEZZNS1_16scan_by_key_implILNS1_25lookback_scan_determinismE0ELb0ES3_N6thrust23THRUST_200600_302600_NS16reverse_iteratorIPKlEESD_NSA_IPlEElN6hipcub16HIPCUB_304000_NS3MaxENSH_8EqualityElEE10hipError_tPvRmT2_T3_T4_T5_mT6_T7_P12ihipStream_tbENKUlT_T0_E_clISt17integral_constantIbLb0EESZ_IbLb1EEEEDaSV_SW_EUlSV_E_NS1_11comp_targetILNS1_3genE8ELNS1_11target_archE1030ELNS1_3gpuE2ELNS1_3repE0EEENS1_30default_config_static_selectorELNS0_4arch9wavefront6targetE1EEEvT1_,comdat
.Lfunc_end175:
	.size	_ZN7rocprim17ROCPRIM_400000_NS6detail17trampoline_kernelINS0_14default_configENS1_27scan_by_key_config_selectorIllEEZZNS1_16scan_by_key_implILNS1_25lookback_scan_determinismE0ELb0ES3_N6thrust23THRUST_200600_302600_NS16reverse_iteratorIPKlEESD_NSA_IPlEElN6hipcub16HIPCUB_304000_NS3MaxENSH_8EqualityElEE10hipError_tPvRmT2_T3_T4_T5_mT6_T7_P12ihipStream_tbENKUlT_T0_E_clISt17integral_constantIbLb0EESZ_IbLb1EEEEDaSV_SW_EUlSV_E_NS1_11comp_targetILNS1_3genE8ELNS1_11target_archE1030ELNS1_3gpuE2ELNS1_3repE0EEENS1_30default_config_static_selectorELNS0_4arch9wavefront6targetE1EEEvT1_, .Lfunc_end175-_ZN7rocprim17ROCPRIM_400000_NS6detail17trampoline_kernelINS0_14default_configENS1_27scan_by_key_config_selectorIllEEZZNS1_16scan_by_key_implILNS1_25lookback_scan_determinismE0ELb0ES3_N6thrust23THRUST_200600_302600_NS16reverse_iteratorIPKlEESD_NSA_IPlEElN6hipcub16HIPCUB_304000_NS3MaxENSH_8EqualityElEE10hipError_tPvRmT2_T3_T4_T5_mT6_T7_P12ihipStream_tbENKUlT_T0_E_clISt17integral_constantIbLb0EESZ_IbLb1EEEEDaSV_SW_EUlSV_E_NS1_11comp_targetILNS1_3genE8ELNS1_11target_archE1030ELNS1_3gpuE2ELNS1_3repE0EEENS1_30default_config_static_selectorELNS0_4arch9wavefront6targetE1EEEvT1_
                                        ; -- End function
	.section	.AMDGPU.csdata,"",@progbits
; Kernel info:
; codeLenInByte = 0
; NumSgprs: 6
; NumVgprs: 0
; NumAgprs: 0
; TotalNumVgprs: 0
; ScratchSize: 0
; MemoryBound: 0
; FloatMode: 240
; IeeeMode: 1
; LDSByteSize: 0 bytes/workgroup (compile time only)
; SGPRBlocks: 0
; VGPRBlocks: 0
; NumSGPRsForWavesPerEU: 6
; NumVGPRsForWavesPerEU: 1
; AccumOffset: 4
; Occupancy: 8
; WaveLimiterHint : 0
; COMPUTE_PGM_RSRC2:SCRATCH_EN: 0
; COMPUTE_PGM_RSRC2:USER_SGPR: 2
; COMPUTE_PGM_RSRC2:TRAP_HANDLER: 0
; COMPUTE_PGM_RSRC2:TGID_X_EN: 1
; COMPUTE_PGM_RSRC2:TGID_Y_EN: 0
; COMPUTE_PGM_RSRC2:TGID_Z_EN: 0
; COMPUTE_PGM_RSRC2:TIDIG_COMP_CNT: 0
; COMPUTE_PGM_RSRC3_GFX90A:ACCUM_OFFSET: 0
; COMPUTE_PGM_RSRC3_GFX90A:TG_SPLIT: 0
	.section	.text._ZN2at6native12_GLOBAL__N_136embedding_renorm_wrap_indices_kernelIiEEvPKT_PS3_ll,"axG",@progbits,_ZN2at6native12_GLOBAL__N_136embedding_renorm_wrap_indices_kernelIiEEvPKT_PS3_ll,comdat
	.globl	_ZN2at6native12_GLOBAL__N_136embedding_renorm_wrap_indices_kernelIiEEvPKT_PS3_ll ; -- Begin function _ZN2at6native12_GLOBAL__N_136embedding_renorm_wrap_indices_kernelIiEEvPKT_PS3_ll
	.p2align	8
	.type	_ZN2at6native12_GLOBAL__N_136embedding_renorm_wrap_indices_kernelIiEEvPKT_PS3_ll,@function
_ZN2at6native12_GLOBAL__N_136embedding_renorm_wrap_indices_kernelIiEEvPKT_PS3_ll: ; @_ZN2at6native12_GLOBAL__N_136embedding_renorm_wrap_indices_kernelIiEEvPKT_PS3_ll
; %bb.0:
	s_load_dword s3, s[0:1], 0x2c
	s_load_dwordx8 s[4:11], s[0:1], 0x0
	v_mov_b32_e32 v1, 0
	v_mov_b32_e32 v2, s2
	s_waitcnt lgkmcnt(0)
	s_and_b32 s0, s3, 0xffff
	v_mad_u64_u32 v[0:1], s[0:1], s0, v2, v[0:1]
	v_cmp_gt_i64_e32 vcc, s[8:9], v[0:1]
	s_and_saveexec_b64 s[0:1], vcc
	s_cbranch_execz .LBB176_6
; %bb.1:
	v_mov_b32_e32 v2, s4
	v_mov_b32_e32 v3, s5
	v_lshl_add_u64 v[2:3], v[0:1], 2, v[2:3]
	global_load_dword v2, v[2:3], off
	s_sub_u32 s0, 0, s10
	s_subb_u32 s1, 0, s11
	s_mov_b64 s[2:3], -1
	s_waitcnt vmcnt(0)
	v_ashrrev_i32_e32 v3, 31, v2
	v_cmp_le_i64_e32 vcc, s[0:1], v[2:3]
	s_and_saveexec_b64 s[0:1], vcc
	s_cbranch_execz .LBB176_5
; %bb.2:
	s_getpc_b64 s[2:3]
	s_add_u32 s2, s2, .str.2@rel32@lo+4
	s_addc_u32 s3, s3, .str.2@rel32@hi+12
	s_cmp_eq_u64 s[2:3], 0
	v_cmp_le_i64_e32 vcc, s[10:11], v[2:3]
	s_cselect_b64 s[2:3], -1, 0
	s_or_b64 s[2:3], s[2:3], vcc
	s_xor_b64 s[8:9], s[2:3], -1
	s_and_saveexec_b64 s[4:5], s[8:9]
	s_cbranch_execz .LBB176_4
; %bb.3:
	v_ashrrev_i32_e32 v3, 31, v2
	v_mov_b32_e32 v4, s6
	v_mov_b32_e32 v5, s7
	v_and_b32_e32 v3, s10, v3
	v_add_u32_e32 v2, v3, v2
	v_lshl_add_u64 v[0:1], v[0:1], 2, v[4:5]
	global_store_dword v[0:1], v2, off
.LBB176_4:
	s_or_b64 exec, exec, s[4:5]
	s_orn2_b64 s[2:3], s[2:3], exec
.LBB176_5:
	s_or_b64 exec, exec, s[0:1]
	s_and_b64 exec, exec, s[2:3]
	s_cbranch_execnz .LBB176_7
.LBB176_6:
	s_endpgm
.LBB176_7:
	s_trap 2
	; divergent unreachable
	s_endpgm
	.section	.rodata,"a",@progbits
	.p2align	6, 0x0
	.amdhsa_kernel _ZN2at6native12_GLOBAL__N_136embedding_renorm_wrap_indices_kernelIiEEvPKT_PS3_ll
		.amdhsa_group_segment_fixed_size 0
		.amdhsa_private_segment_fixed_size 0
		.amdhsa_kernarg_size 288
		.amdhsa_user_sgpr_count 2
		.amdhsa_user_sgpr_dispatch_ptr 0
		.amdhsa_user_sgpr_queue_ptr 0
		.amdhsa_user_sgpr_kernarg_segment_ptr 1
		.amdhsa_user_sgpr_dispatch_id 0
		.amdhsa_user_sgpr_kernarg_preload_length 0
		.amdhsa_user_sgpr_kernarg_preload_offset 0
		.amdhsa_user_sgpr_private_segment_size 0
		.amdhsa_uses_dynamic_stack 0
		.amdhsa_enable_private_segment 0
		.amdhsa_system_sgpr_workgroup_id_x 1
		.amdhsa_system_sgpr_workgroup_id_y 0
		.amdhsa_system_sgpr_workgroup_id_z 0
		.amdhsa_system_sgpr_workgroup_info 0
		.amdhsa_system_vgpr_workitem_id 0
		.amdhsa_next_free_vgpr 6
		.amdhsa_next_free_sgpr 12
		.amdhsa_accum_offset 8
		.amdhsa_reserve_vcc 1
		.amdhsa_float_round_mode_32 0
		.amdhsa_float_round_mode_16_64 0
		.amdhsa_float_denorm_mode_32 3
		.amdhsa_float_denorm_mode_16_64 3
		.amdhsa_dx10_clamp 1
		.amdhsa_ieee_mode 1
		.amdhsa_fp16_overflow 0
		.amdhsa_tg_split 0
		.amdhsa_exception_fp_ieee_invalid_op 0
		.amdhsa_exception_fp_denorm_src 0
		.amdhsa_exception_fp_ieee_div_zero 0
		.amdhsa_exception_fp_ieee_overflow 0
		.amdhsa_exception_fp_ieee_underflow 0
		.amdhsa_exception_fp_ieee_inexact 0
		.amdhsa_exception_int_div_zero 0
	.end_amdhsa_kernel
	.section	.text._ZN2at6native12_GLOBAL__N_136embedding_renorm_wrap_indices_kernelIiEEvPKT_PS3_ll,"axG",@progbits,_ZN2at6native12_GLOBAL__N_136embedding_renorm_wrap_indices_kernelIiEEvPKT_PS3_ll,comdat
.Lfunc_end176:
	.size	_ZN2at6native12_GLOBAL__N_136embedding_renorm_wrap_indices_kernelIiEEvPKT_PS3_ll, .Lfunc_end176-_ZN2at6native12_GLOBAL__N_136embedding_renorm_wrap_indices_kernelIiEEvPKT_PS3_ll
                                        ; -- End function
	.section	.AMDGPU.csdata,"",@progbits
; Kernel info:
; codeLenInByte = 228
; NumSgprs: 18
; NumVgprs: 6
; NumAgprs: 0
; TotalNumVgprs: 6
; ScratchSize: 0
; MemoryBound: 0
; FloatMode: 240
; IeeeMode: 1
; LDSByteSize: 0 bytes/workgroup (compile time only)
; SGPRBlocks: 2
; VGPRBlocks: 0
; NumSGPRsForWavesPerEU: 18
; NumVGPRsForWavesPerEU: 6
; AccumOffset: 8
; Occupancy: 8
; WaveLimiterHint : 0
; COMPUTE_PGM_RSRC2:SCRATCH_EN: 0
; COMPUTE_PGM_RSRC2:USER_SGPR: 2
; COMPUTE_PGM_RSRC2:TRAP_HANDLER: 0
; COMPUTE_PGM_RSRC2:TGID_X_EN: 1
; COMPUTE_PGM_RSRC2:TGID_Y_EN: 0
; COMPUTE_PGM_RSRC2:TGID_Z_EN: 0
; COMPUTE_PGM_RSRC2:TIDIG_COMP_CNT: 0
; COMPUTE_PGM_RSRC3_GFX90A:ACCUM_OFFSET: 1
; COMPUTE_PGM_RSRC3_GFX90A:TG_SPLIT: 0
	.section	.text._ZN7rocprim17ROCPRIM_400000_NS6detail31init_lookback_scan_state_kernelINS1_19lookback_scan_stateIjLb0ELb1EEENS1_16block_id_wrapperIjLb0EEEEEvT_jT0_jPNS7_10value_typeE,"axG",@progbits,_ZN7rocprim17ROCPRIM_400000_NS6detail31init_lookback_scan_state_kernelINS1_19lookback_scan_stateIjLb0ELb1EEENS1_16block_id_wrapperIjLb0EEEEEvT_jT0_jPNS7_10value_typeE,comdat
	.protected	_ZN7rocprim17ROCPRIM_400000_NS6detail31init_lookback_scan_state_kernelINS1_19lookback_scan_stateIjLb0ELb1EEENS1_16block_id_wrapperIjLb0EEEEEvT_jT0_jPNS7_10value_typeE ; -- Begin function _ZN7rocprim17ROCPRIM_400000_NS6detail31init_lookback_scan_state_kernelINS1_19lookback_scan_stateIjLb0ELb1EEENS1_16block_id_wrapperIjLb0EEEEEvT_jT0_jPNS7_10value_typeE
	.globl	_ZN7rocprim17ROCPRIM_400000_NS6detail31init_lookback_scan_state_kernelINS1_19lookback_scan_stateIjLb0ELb1EEENS1_16block_id_wrapperIjLb0EEEEEvT_jT0_jPNS7_10value_typeE
	.p2align	8
	.type	_ZN7rocprim17ROCPRIM_400000_NS6detail31init_lookback_scan_state_kernelINS1_19lookback_scan_stateIjLb0ELb1EEENS1_16block_id_wrapperIjLb0EEEEEvT_jT0_jPNS7_10value_typeE,@function
_ZN7rocprim17ROCPRIM_400000_NS6detail31init_lookback_scan_state_kernelINS1_19lookback_scan_stateIjLb0ELb1EEENS1_16block_id_wrapperIjLb0EEEEEvT_jT0_jPNS7_10value_typeE: ; @_ZN7rocprim17ROCPRIM_400000_NS6detail31init_lookback_scan_state_kernelINS1_19lookback_scan_stateIjLb0ELb1EEENS1_16block_id_wrapperIjLb0EEEEEvT_jT0_jPNS7_10value_typeE
; %bb.0:
	s_load_dword s3, s[0:1], 0x2c
	s_load_dwordx2 s[6:7], s[0:1], 0x18
	s_load_dwordx2 s[4:5], s[0:1], 0x0
	s_load_dword s8, s[0:1], 0x8
	s_waitcnt lgkmcnt(0)
	s_and_b32 s3, s3, 0xffff
	s_mul_i32 s2, s2, s3
	s_cmp_eq_u64 s[6:7], 0
	v_add_u32_e32 v0, s2, v0
	s_cbranch_scc1 .LBB177_6
; %bb.1:
	s_load_dword s2, s[0:1], 0x10
	s_mov_b32 s3, 0
	s_waitcnt lgkmcnt(0)
	s_cmp_lt_u32 s2, s8
	s_cselect_b32 s0, s2, 0
	v_cmp_eq_u32_e32 vcc, s0, v0
	s_and_saveexec_b64 s[0:1], vcc
	s_cbranch_execz .LBB177_5
; %bb.2:
	s_add_i32 s2, s2, 64
	s_lshl_b64 s[2:3], s[2:3], 3
	s_add_u32 s2, s4, s2
	s_addc_u32 s3, s5, s3
	v_mov_b32_e32 v4, 0
	global_load_dwordx2 v[2:3], v4, s[2:3] sc1
	s_waitcnt vmcnt(0)
	v_and_b32_e32 v5, 0xff, v3
	v_cmp_ne_u64_e32 vcc, 0, v[4:5]
	s_cbranch_vccnz .LBB177_4
.LBB177_3:                              ; =>This Inner Loop Header: Depth=1
	global_load_dwordx2 v[2:3], v4, s[2:3] sc1
	s_waitcnt vmcnt(0)
	v_and_b32_e32 v5, 0xff, v3
	v_cmp_eq_u64_e32 vcc, 0, v[4:5]
	s_cbranch_vccnz .LBB177_3
.LBB177_4:
	v_mov_b32_e32 v1, 0
	global_store_dword v1, v2, s[6:7]
.LBB177_5:
	s_or_b64 exec, exec, s[0:1]
.LBB177_6:
	v_cmp_gt_u32_e32 vcc, s8, v0
	s_and_saveexec_b64 s[0:1], vcc
	s_cbranch_execnz .LBB177_9
; %bb.7:
	s_or_b64 exec, exec, s[0:1]
	v_cmp_gt_u32_e32 vcc, 64, v0
	s_and_saveexec_b64 s[0:1], vcc
	s_cbranch_execnz .LBB177_10
.LBB177_8:
	s_endpgm
.LBB177_9:
	v_add_u32_e32 v2, 64, v0
	v_mov_b32_e32 v3, 0
	v_lshl_add_u64 v[4:5], v[2:3], 3, s[4:5]
	v_mov_b32_e32 v2, v3
	global_store_dwordx2 v[4:5], v[2:3], off
	s_or_b64 exec, exec, s[0:1]
	v_cmp_gt_u32_e32 vcc, 64, v0
	s_and_saveexec_b64 s[0:1], vcc
	s_cbranch_execz .LBB177_8
.LBB177_10:
	v_mov_b32_e32 v1, 0
	v_lshl_add_u64 v[2:3], v[0:1], 3, s[4:5]
	v_mov_b32_e32 v5, 0xff
	v_mov_b32_e32 v4, v1
	global_store_dwordx2 v[2:3], v[4:5], off
	s_endpgm
	.section	.rodata,"a",@progbits
	.p2align	6, 0x0
	.amdhsa_kernel _ZN7rocprim17ROCPRIM_400000_NS6detail31init_lookback_scan_state_kernelINS1_19lookback_scan_stateIjLb0ELb1EEENS1_16block_id_wrapperIjLb0EEEEEvT_jT0_jPNS7_10value_typeE
		.amdhsa_group_segment_fixed_size 0
		.amdhsa_private_segment_fixed_size 0
		.amdhsa_kernarg_size 288
		.amdhsa_user_sgpr_count 2
		.amdhsa_user_sgpr_dispatch_ptr 0
		.amdhsa_user_sgpr_queue_ptr 0
		.amdhsa_user_sgpr_kernarg_segment_ptr 1
		.amdhsa_user_sgpr_dispatch_id 0
		.amdhsa_user_sgpr_kernarg_preload_length 0
		.amdhsa_user_sgpr_kernarg_preload_offset 0
		.amdhsa_user_sgpr_private_segment_size 0
		.amdhsa_uses_dynamic_stack 0
		.amdhsa_enable_private_segment 0
		.amdhsa_system_sgpr_workgroup_id_x 1
		.amdhsa_system_sgpr_workgroup_id_y 0
		.amdhsa_system_sgpr_workgroup_id_z 0
		.amdhsa_system_sgpr_workgroup_info 0
		.amdhsa_system_vgpr_workitem_id 0
		.amdhsa_next_free_vgpr 6
		.amdhsa_next_free_sgpr 9
		.amdhsa_accum_offset 8
		.amdhsa_reserve_vcc 1
		.amdhsa_float_round_mode_32 0
		.amdhsa_float_round_mode_16_64 0
		.amdhsa_float_denorm_mode_32 3
		.amdhsa_float_denorm_mode_16_64 3
		.amdhsa_dx10_clamp 1
		.amdhsa_ieee_mode 1
		.amdhsa_fp16_overflow 0
		.amdhsa_tg_split 0
		.amdhsa_exception_fp_ieee_invalid_op 0
		.amdhsa_exception_fp_denorm_src 0
		.amdhsa_exception_fp_ieee_div_zero 0
		.amdhsa_exception_fp_ieee_overflow 0
		.amdhsa_exception_fp_ieee_underflow 0
		.amdhsa_exception_fp_ieee_inexact 0
		.amdhsa_exception_int_div_zero 0
	.end_amdhsa_kernel
	.section	.text._ZN7rocprim17ROCPRIM_400000_NS6detail31init_lookback_scan_state_kernelINS1_19lookback_scan_stateIjLb0ELb1EEENS1_16block_id_wrapperIjLb0EEEEEvT_jT0_jPNS7_10value_typeE,"axG",@progbits,_ZN7rocprim17ROCPRIM_400000_NS6detail31init_lookback_scan_state_kernelINS1_19lookback_scan_stateIjLb0ELb1EEENS1_16block_id_wrapperIjLb0EEEEEvT_jT0_jPNS7_10value_typeE,comdat
.Lfunc_end177:
	.size	_ZN7rocprim17ROCPRIM_400000_NS6detail31init_lookback_scan_state_kernelINS1_19lookback_scan_stateIjLb0ELb1EEENS1_16block_id_wrapperIjLb0EEEEEvT_jT0_jPNS7_10value_typeE, .Lfunc_end177-_ZN7rocprim17ROCPRIM_400000_NS6detail31init_lookback_scan_state_kernelINS1_19lookback_scan_stateIjLb0ELb1EEENS1_16block_id_wrapperIjLb0EEEEEvT_jT0_jPNS7_10value_typeE
                                        ; -- End function
	.section	.AMDGPU.csdata,"",@progbits
; Kernel info:
; codeLenInByte = 300
; NumSgprs: 15
; NumVgprs: 6
; NumAgprs: 0
; TotalNumVgprs: 6
; ScratchSize: 0
; MemoryBound: 0
; FloatMode: 240
; IeeeMode: 1
; LDSByteSize: 0 bytes/workgroup (compile time only)
; SGPRBlocks: 1
; VGPRBlocks: 0
; NumSGPRsForWavesPerEU: 15
; NumVGPRsForWavesPerEU: 6
; AccumOffset: 8
; Occupancy: 8
; WaveLimiterHint : 0
; COMPUTE_PGM_RSRC2:SCRATCH_EN: 0
; COMPUTE_PGM_RSRC2:USER_SGPR: 2
; COMPUTE_PGM_RSRC2:TRAP_HANDLER: 0
; COMPUTE_PGM_RSRC2:TGID_X_EN: 1
; COMPUTE_PGM_RSRC2:TGID_Y_EN: 0
; COMPUTE_PGM_RSRC2:TGID_Z_EN: 0
; COMPUTE_PGM_RSRC2:TIDIG_COMP_CNT: 0
; COMPUTE_PGM_RSRC3_GFX90A:ACCUM_OFFSET: 1
; COMPUTE_PGM_RSRC3_GFX90A:TG_SPLIT: 0
	.section	.text._ZN7rocprim17ROCPRIM_400000_NS6detail17trampoline_kernelINS0_14default_configENS1_25partition_config_selectorILNS1_17partition_subalgoE8EiNS0_10empty_typeEbEEZZNS1_14partition_implILS5_8ELb0ES3_jPKiPS6_PKS6_NS0_5tupleIJPiS6_EEENSE_IJSB_SB_EEENS0_18inequality_wrapperIN6hipcub16HIPCUB_304000_NS8EqualityEEEPlJS6_EEE10hipError_tPvRmT3_T4_T5_T6_T7_T9_mT8_P12ihipStream_tbDpT10_ENKUlT_T0_E_clISt17integral_constantIbLb0EES17_EEDaS12_S13_EUlS12_E_NS1_11comp_targetILNS1_3genE0ELNS1_11target_archE4294967295ELNS1_3gpuE0ELNS1_3repE0EEENS1_30default_config_static_selectorELNS0_4arch9wavefront6targetE1EEEvT1_,"axG",@progbits,_ZN7rocprim17ROCPRIM_400000_NS6detail17trampoline_kernelINS0_14default_configENS1_25partition_config_selectorILNS1_17partition_subalgoE8EiNS0_10empty_typeEbEEZZNS1_14partition_implILS5_8ELb0ES3_jPKiPS6_PKS6_NS0_5tupleIJPiS6_EEENSE_IJSB_SB_EEENS0_18inequality_wrapperIN6hipcub16HIPCUB_304000_NS8EqualityEEEPlJS6_EEE10hipError_tPvRmT3_T4_T5_T6_T7_T9_mT8_P12ihipStream_tbDpT10_ENKUlT_T0_E_clISt17integral_constantIbLb0EES17_EEDaS12_S13_EUlS12_E_NS1_11comp_targetILNS1_3genE0ELNS1_11target_archE4294967295ELNS1_3gpuE0ELNS1_3repE0EEENS1_30default_config_static_selectorELNS0_4arch9wavefront6targetE1EEEvT1_,comdat
	.protected	_ZN7rocprim17ROCPRIM_400000_NS6detail17trampoline_kernelINS0_14default_configENS1_25partition_config_selectorILNS1_17partition_subalgoE8EiNS0_10empty_typeEbEEZZNS1_14partition_implILS5_8ELb0ES3_jPKiPS6_PKS6_NS0_5tupleIJPiS6_EEENSE_IJSB_SB_EEENS0_18inequality_wrapperIN6hipcub16HIPCUB_304000_NS8EqualityEEEPlJS6_EEE10hipError_tPvRmT3_T4_T5_T6_T7_T9_mT8_P12ihipStream_tbDpT10_ENKUlT_T0_E_clISt17integral_constantIbLb0EES17_EEDaS12_S13_EUlS12_E_NS1_11comp_targetILNS1_3genE0ELNS1_11target_archE4294967295ELNS1_3gpuE0ELNS1_3repE0EEENS1_30default_config_static_selectorELNS0_4arch9wavefront6targetE1EEEvT1_ ; -- Begin function _ZN7rocprim17ROCPRIM_400000_NS6detail17trampoline_kernelINS0_14default_configENS1_25partition_config_selectorILNS1_17partition_subalgoE8EiNS0_10empty_typeEbEEZZNS1_14partition_implILS5_8ELb0ES3_jPKiPS6_PKS6_NS0_5tupleIJPiS6_EEENSE_IJSB_SB_EEENS0_18inequality_wrapperIN6hipcub16HIPCUB_304000_NS8EqualityEEEPlJS6_EEE10hipError_tPvRmT3_T4_T5_T6_T7_T9_mT8_P12ihipStream_tbDpT10_ENKUlT_T0_E_clISt17integral_constantIbLb0EES17_EEDaS12_S13_EUlS12_E_NS1_11comp_targetILNS1_3genE0ELNS1_11target_archE4294967295ELNS1_3gpuE0ELNS1_3repE0EEENS1_30default_config_static_selectorELNS0_4arch9wavefront6targetE1EEEvT1_
	.globl	_ZN7rocprim17ROCPRIM_400000_NS6detail17trampoline_kernelINS0_14default_configENS1_25partition_config_selectorILNS1_17partition_subalgoE8EiNS0_10empty_typeEbEEZZNS1_14partition_implILS5_8ELb0ES3_jPKiPS6_PKS6_NS0_5tupleIJPiS6_EEENSE_IJSB_SB_EEENS0_18inequality_wrapperIN6hipcub16HIPCUB_304000_NS8EqualityEEEPlJS6_EEE10hipError_tPvRmT3_T4_T5_T6_T7_T9_mT8_P12ihipStream_tbDpT10_ENKUlT_T0_E_clISt17integral_constantIbLb0EES17_EEDaS12_S13_EUlS12_E_NS1_11comp_targetILNS1_3genE0ELNS1_11target_archE4294967295ELNS1_3gpuE0ELNS1_3repE0EEENS1_30default_config_static_selectorELNS0_4arch9wavefront6targetE1EEEvT1_
	.p2align	8
	.type	_ZN7rocprim17ROCPRIM_400000_NS6detail17trampoline_kernelINS0_14default_configENS1_25partition_config_selectorILNS1_17partition_subalgoE8EiNS0_10empty_typeEbEEZZNS1_14partition_implILS5_8ELb0ES3_jPKiPS6_PKS6_NS0_5tupleIJPiS6_EEENSE_IJSB_SB_EEENS0_18inequality_wrapperIN6hipcub16HIPCUB_304000_NS8EqualityEEEPlJS6_EEE10hipError_tPvRmT3_T4_T5_T6_T7_T9_mT8_P12ihipStream_tbDpT10_ENKUlT_T0_E_clISt17integral_constantIbLb0EES17_EEDaS12_S13_EUlS12_E_NS1_11comp_targetILNS1_3genE0ELNS1_11target_archE4294967295ELNS1_3gpuE0ELNS1_3repE0EEENS1_30default_config_static_selectorELNS0_4arch9wavefront6targetE1EEEvT1_,@function
_ZN7rocprim17ROCPRIM_400000_NS6detail17trampoline_kernelINS0_14default_configENS1_25partition_config_selectorILNS1_17partition_subalgoE8EiNS0_10empty_typeEbEEZZNS1_14partition_implILS5_8ELb0ES3_jPKiPS6_PKS6_NS0_5tupleIJPiS6_EEENSE_IJSB_SB_EEENS0_18inequality_wrapperIN6hipcub16HIPCUB_304000_NS8EqualityEEEPlJS6_EEE10hipError_tPvRmT3_T4_T5_T6_T7_T9_mT8_P12ihipStream_tbDpT10_ENKUlT_T0_E_clISt17integral_constantIbLb0EES17_EEDaS12_S13_EUlS12_E_NS1_11comp_targetILNS1_3genE0ELNS1_11target_archE4294967295ELNS1_3gpuE0ELNS1_3repE0EEENS1_30default_config_static_selectorELNS0_4arch9wavefront6targetE1EEEvT1_: ; @_ZN7rocprim17ROCPRIM_400000_NS6detail17trampoline_kernelINS0_14default_configENS1_25partition_config_selectorILNS1_17partition_subalgoE8EiNS0_10empty_typeEbEEZZNS1_14partition_implILS5_8ELb0ES3_jPKiPS6_PKS6_NS0_5tupleIJPiS6_EEENSE_IJSB_SB_EEENS0_18inequality_wrapperIN6hipcub16HIPCUB_304000_NS8EqualityEEEPlJS6_EEE10hipError_tPvRmT3_T4_T5_T6_T7_T9_mT8_P12ihipStream_tbDpT10_ENKUlT_T0_E_clISt17integral_constantIbLb0EES17_EEDaS12_S13_EUlS12_E_NS1_11comp_targetILNS1_3genE0ELNS1_11target_archE4294967295ELNS1_3gpuE0ELNS1_3repE0EEENS1_30default_config_static_selectorELNS0_4arch9wavefront6targetE1EEEvT1_
; %bb.0:
	.section	.rodata,"a",@progbits
	.p2align	6, 0x0
	.amdhsa_kernel _ZN7rocprim17ROCPRIM_400000_NS6detail17trampoline_kernelINS0_14default_configENS1_25partition_config_selectorILNS1_17partition_subalgoE8EiNS0_10empty_typeEbEEZZNS1_14partition_implILS5_8ELb0ES3_jPKiPS6_PKS6_NS0_5tupleIJPiS6_EEENSE_IJSB_SB_EEENS0_18inequality_wrapperIN6hipcub16HIPCUB_304000_NS8EqualityEEEPlJS6_EEE10hipError_tPvRmT3_T4_T5_T6_T7_T9_mT8_P12ihipStream_tbDpT10_ENKUlT_T0_E_clISt17integral_constantIbLb0EES17_EEDaS12_S13_EUlS12_E_NS1_11comp_targetILNS1_3genE0ELNS1_11target_archE4294967295ELNS1_3gpuE0ELNS1_3repE0EEENS1_30default_config_static_selectorELNS0_4arch9wavefront6targetE1EEEvT1_
		.amdhsa_group_segment_fixed_size 0
		.amdhsa_private_segment_fixed_size 0
		.amdhsa_kernarg_size 112
		.amdhsa_user_sgpr_count 2
		.amdhsa_user_sgpr_dispatch_ptr 0
		.amdhsa_user_sgpr_queue_ptr 0
		.amdhsa_user_sgpr_kernarg_segment_ptr 1
		.amdhsa_user_sgpr_dispatch_id 0
		.amdhsa_user_sgpr_kernarg_preload_length 0
		.amdhsa_user_sgpr_kernarg_preload_offset 0
		.amdhsa_user_sgpr_private_segment_size 0
		.amdhsa_uses_dynamic_stack 0
		.amdhsa_enable_private_segment 0
		.amdhsa_system_sgpr_workgroup_id_x 1
		.amdhsa_system_sgpr_workgroup_id_y 0
		.amdhsa_system_sgpr_workgroup_id_z 0
		.amdhsa_system_sgpr_workgroup_info 0
		.amdhsa_system_vgpr_workitem_id 0
		.amdhsa_next_free_vgpr 1
		.amdhsa_next_free_sgpr 0
		.amdhsa_accum_offset 4
		.amdhsa_reserve_vcc 0
		.amdhsa_float_round_mode_32 0
		.amdhsa_float_round_mode_16_64 0
		.amdhsa_float_denorm_mode_32 3
		.amdhsa_float_denorm_mode_16_64 3
		.amdhsa_dx10_clamp 1
		.amdhsa_ieee_mode 1
		.amdhsa_fp16_overflow 0
		.amdhsa_tg_split 0
		.amdhsa_exception_fp_ieee_invalid_op 0
		.amdhsa_exception_fp_denorm_src 0
		.amdhsa_exception_fp_ieee_div_zero 0
		.amdhsa_exception_fp_ieee_overflow 0
		.amdhsa_exception_fp_ieee_underflow 0
		.amdhsa_exception_fp_ieee_inexact 0
		.amdhsa_exception_int_div_zero 0
	.end_amdhsa_kernel
	.section	.text._ZN7rocprim17ROCPRIM_400000_NS6detail17trampoline_kernelINS0_14default_configENS1_25partition_config_selectorILNS1_17partition_subalgoE8EiNS0_10empty_typeEbEEZZNS1_14partition_implILS5_8ELb0ES3_jPKiPS6_PKS6_NS0_5tupleIJPiS6_EEENSE_IJSB_SB_EEENS0_18inequality_wrapperIN6hipcub16HIPCUB_304000_NS8EqualityEEEPlJS6_EEE10hipError_tPvRmT3_T4_T5_T6_T7_T9_mT8_P12ihipStream_tbDpT10_ENKUlT_T0_E_clISt17integral_constantIbLb0EES17_EEDaS12_S13_EUlS12_E_NS1_11comp_targetILNS1_3genE0ELNS1_11target_archE4294967295ELNS1_3gpuE0ELNS1_3repE0EEENS1_30default_config_static_selectorELNS0_4arch9wavefront6targetE1EEEvT1_,"axG",@progbits,_ZN7rocprim17ROCPRIM_400000_NS6detail17trampoline_kernelINS0_14default_configENS1_25partition_config_selectorILNS1_17partition_subalgoE8EiNS0_10empty_typeEbEEZZNS1_14partition_implILS5_8ELb0ES3_jPKiPS6_PKS6_NS0_5tupleIJPiS6_EEENSE_IJSB_SB_EEENS0_18inequality_wrapperIN6hipcub16HIPCUB_304000_NS8EqualityEEEPlJS6_EEE10hipError_tPvRmT3_T4_T5_T6_T7_T9_mT8_P12ihipStream_tbDpT10_ENKUlT_T0_E_clISt17integral_constantIbLb0EES17_EEDaS12_S13_EUlS12_E_NS1_11comp_targetILNS1_3genE0ELNS1_11target_archE4294967295ELNS1_3gpuE0ELNS1_3repE0EEENS1_30default_config_static_selectorELNS0_4arch9wavefront6targetE1EEEvT1_,comdat
.Lfunc_end178:
	.size	_ZN7rocprim17ROCPRIM_400000_NS6detail17trampoline_kernelINS0_14default_configENS1_25partition_config_selectorILNS1_17partition_subalgoE8EiNS0_10empty_typeEbEEZZNS1_14partition_implILS5_8ELb0ES3_jPKiPS6_PKS6_NS0_5tupleIJPiS6_EEENSE_IJSB_SB_EEENS0_18inequality_wrapperIN6hipcub16HIPCUB_304000_NS8EqualityEEEPlJS6_EEE10hipError_tPvRmT3_T4_T5_T6_T7_T9_mT8_P12ihipStream_tbDpT10_ENKUlT_T0_E_clISt17integral_constantIbLb0EES17_EEDaS12_S13_EUlS12_E_NS1_11comp_targetILNS1_3genE0ELNS1_11target_archE4294967295ELNS1_3gpuE0ELNS1_3repE0EEENS1_30default_config_static_selectorELNS0_4arch9wavefront6targetE1EEEvT1_, .Lfunc_end178-_ZN7rocprim17ROCPRIM_400000_NS6detail17trampoline_kernelINS0_14default_configENS1_25partition_config_selectorILNS1_17partition_subalgoE8EiNS0_10empty_typeEbEEZZNS1_14partition_implILS5_8ELb0ES3_jPKiPS6_PKS6_NS0_5tupleIJPiS6_EEENSE_IJSB_SB_EEENS0_18inequality_wrapperIN6hipcub16HIPCUB_304000_NS8EqualityEEEPlJS6_EEE10hipError_tPvRmT3_T4_T5_T6_T7_T9_mT8_P12ihipStream_tbDpT10_ENKUlT_T0_E_clISt17integral_constantIbLb0EES17_EEDaS12_S13_EUlS12_E_NS1_11comp_targetILNS1_3genE0ELNS1_11target_archE4294967295ELNS1_3gpuE0ELNS1_3repE0EEENS1_30default_config_static_selectorELNS0_4arch9wavefront6targetE1EEEvT1_
                                        ; -- End function
	.section	.AMDGPU.csdata,"",@progbits
; Kernel info:
; codeLenInByte = 0
; NumSgprs: 6
; NumVgprs: 0
; NumAgprs: 0
; TotalNumVgprs: 0
; ScratchSize: 0
; MemoryBound: 0
; FloatMode: 240
; IeeeMode: 1
; LDSByteSize: 0 bytes/workgroup (compile time only)
; SGPRBlocks: 0
; VGPRBlocks: 0
; NumSGPRsForWavesPerEU: 6
; NumVGPRsForWavesPerEU: 1
; AccumOffset: 4
; Occupancy: 8
; WaveLimiterHint : 0
; COMPUTE_PGM_RSRC2:SCRATCH_EN: 0
; COMPUTE_PGM_RSRC2:USER_SGPR: 2
; COMPUTE_PGM_RSRC2:TRAP_HANDLER: 0
; COMPUTE_PGM_RSRC2:TGID_X_EN: 1
; COMPUTE_PGM_RSRC2:TGID_Y_EN: 0
; COMPUTE_PGM_RSRC2:TGID_Z_EN: 0
; COMPUTE_PGM_RSRC2:TIDIG_COMP_CNT: 0
; COMPUTE_PGM_RSRC3_GFX90A:ACCUM_OFFSET: 0
; COMPUTE_PGM_RSRC3_GFX90A:TG_SPLIT: 0
	.section	.text._ZN7rocprim17ROCPRIM_400000_NS6detail17trampoline_kernelINS0_14default_configENS1_25partition_config_selectorILNS1_17partition_subalgoE8EiNS0_10empty_typeEbEEZZNS1_14partition_implILS5_8ELb0ES3_jPKiPS6_PKS6_NS0_5tupleIJPiS6_EEENSE_IJSB_SB_EEENS0_18inequality_wrapperIN6hipcub16HIPCUB_304000_NS8EqualityEEEPlJS6_EEE10hipError_tPvRmT3_T4_T5_T6_T7_T9_mT8_P12ihipStream_tbDpT10_ENKUlT_T0_E_clISt17integral_constantIbLb0EES17_EEDaS12_S13_EUlS12_E_NS1_11comp_targetILNS1_3genE5ELNS1_11target_archE942ELNS1_3gpuE9ELNS1_3repE0EEENS1_30default_config_static_selectorELNS0_4arch9wavefront6targetE1EEEvT1_,"axG",@progbits,_ZN7rocprim17ROCPRIM_400000_NS6detail17trampoline_kernelINS0_14default_configENS1_25partition_config_selectorILNS1_17partition_subalgoE8EiNS0_10empty_typeEbEEZZNS1_14partition_implILS5_8ELb0ES3_jPKiPS6_PKS6_NS0_5tupleIJPiS6_EEENSE_IJSB_SB_EEENS0_18inequality_wrapperIN6hipcub16HIPCUB_304000_NS8EqualityEEEPlJS6_EEE10hipError_tPvRmT3_T4_T5_T6_T7_T9_mT8_P12ihipStream_tbDpT10_ENKUlT_T0_E_clISt17integral_constantIbLb0EES17_EEDaS12_S13_EUlS12_E_NS1_11comp_targetILNS1_3genE5ELNS1_11target_archE942ELNS1_3gpuE9ELNS1_3repE0EEENS1_30default_config_static_selectorELNS0_4arch9wavefront6targetE1EEEvT1_,comdat
	.protected	_ZN7rocprim17ROCPRIM_400000_NS6detail17trampoline_kernelINS0_14default_configENS1_25partition_config_selectorILNS1_17partition_subalgoE8EiNS0_10empty_typeEbEEZZNS1_14partition_implILS5_8ELb0ES3_jPKiPS6_PKS6_NS0_5tupleIJPiS6_EEENSE_IJSB_SB_EEENS0_18inequality_wrapperIN6hipcub16HIPCUB_304000_NS8EqualityEEEPlJS6_EEE10hipError_tPvRmT3_T4_T5_T6_T7_T9_mT8_P12ihipStream_tbDpT10_ENKUlT_T0_E_clISt17integral_constantIbLb0EES17_EEDaS12_S13_EUlS12_E_NS1_11comp_targetILNS1_3genE5ELNS1_11target_archE942ELNS1_3gpuE9ELNS1_3repE0EEENS1_30default_config_static_selectorELNS0_4arch9wavefront6targetE1EEEvT1_ ; -- Begin function _ZN7rocprim17ROCPRIM_400000_NS6detail17trampoline_kernelINS0_14default_configENS1_25partition_config_selectorILNS1_17partition_subalgoE8EiNS0_10empty_typeEbEEZZNS1_14partition_implILS5_8ELb0ES3_jPKiPS6_PKS6_NS0_5tupleIJPiS6_EEENSE_IJSB_SB_EEENS0_18inequality_wrapperIN6hipcub16HIPCUB_304000_NS8EqualityEEEPlJS6_EEE10hipError_tPvRmT3_T4_T5_T6_T7_T9_mT8_P12ihipStream_tbDpT10_ENKUlT_T0_E_clISt17integral_constantIbLb0EES17_EEDaS12_S13_EUlS12_E_NS1_11comp_targetILNS1_3genE5ELNS1_11target_archE942ELNS1_3gpuE9ELNS1_3repE0EEENS1_30default_config_static_selectorELNS0_4arch9wavefront6targetE1EEEvT1_
	.globl	_ZN7rocprim17ROCPRIM_400000_NS6detail17trampoline_kernelINS0_14default_configENS1_25partition_config_selectorILNS1_17partition_subalgoE8EiNS0_10empty_typeEbEEZZNS1_14partition_implILS5_8ELb0ES3_jPKiPS6_PKS6_NS0_5tupleIJPiS6_EEENSE_IJSB_SB_EEENS0_18inequality_wrapperIN6hipcub16HIPCUB_304000_NS8EqualityEEEPlJS6_EEE10hipError_tPvRmT3_T4_T5_T6_T7_T9_mT8_P12ihipStream_tbDpT10_ENKUlT_T0_E_clISt17integral_constantIbLb0EES17_EEDaS12_S13_EUlS12_E_NS1_11comp_targetILNS1_3genE5ELNS1_11target_archE942ELNS1_3gpuE9ELNS1_3repE0EEENS1_30default_config_static_selectorELNS0_4arch9wavefront6targetE1EEEvT1_
	.p2align	8
	.type	_ZN7rocprim17ROCPRIM_400000_NS6detail17trampoline_kernelINS0_14default_configENS1_25partition_config_selectorILNS1_17partition_subalgoE8EiNS0_10empty_typeEbEEZZNS1_14partition_implILS5_8ELb0ES3_jPKiPS6_PKS6_NS0_5tupleIJPiS6_EEENSE_IJSB_SB_EEENS0_18inequality_wrapperIN6hipcub16HIPCUB_304000_NS8EqualityEEEPlJS6_EEE10hipError_tPvRmT3_T4_T5_T6_T7_T9_mT8_P12ihipStream_tbDpT10_ENKUlT_T0_E_clISt17integral_constantIbLb0EES17_EEDaS12_S13_EUlS12_E_NS1_11comp_targetILNS1_3genE5ELNS1_11target_archE942ELNS1_3gpuE9ELNS1_3repE0EEENS1_30default_config_static_selectorELNS0_4arch9wavefront6targetE1EEEvT1_,@function
_ZN7rocprim17ROCPRIM_400000_NS6detail17trampoline_kernelINS0_14default_configENS1_25partition_config_selectorILNS1_17partition_subalgoE8EiNS0_10empty_typeEbEEZZNS1_14partition_implILS5_8ELb0ES3_jPKiPS6_PKS6_NS0_5tupleIJPiS6_EEENSE_IJSB_SB_EEENS0_18inequality_wrapperIN6hipcub16HIPCUB_304000_NS8EqualityEEEPlJS6_EEE10hipError_tPvRmT3_T4_T5_T6_T7_T9_mT8_P12ihipStream_tbDpT10_ENKUlT_T0_E_clISt17integral_constantIbLb0EES17_EEDaS12_S13_EUlS12_E_NS1_11comp_targetILNS1_3genE5ELNS1_11target_archE942ELNS1_3gpuE9ELNS1_3repE0EEENS1_30default_config_static_selectorELNS0_4arch9wavefront6targetE1EEEvT1_: ; @_ZN7rocprim17ROCPRIM_400000_NS6detail17trampoline_kernelINS0_14default_configENS1_25partition_config_selectorILNS1_17partition_subalgoE8EiNS0_10empty_typeEbEEZZNS1_14partition_implILS5_8ELb0ES3_jPKiPS6_PKS6_NS0_5tupleIJPiS6_EEENSE_IJSB_SB_EEENS0_18inequality_wrapperIN6hipcub16HIPCUB_304000_NS8EqualityEEEPlJS6_EEE10hipError_tPvRmT3_T4_T5_T6_T7_T9_mT8_P12ihipStream_tbDpT10_ENKUlT_T0_E_clISt17integral_constantIbLb0EES17_EEDaS12_S13_EUlS12_E_NS1_11comp_targetILNS1_3genE5ELNS1_11target_archE942ELNS1_3gpuE9ELNS1_3repE0EEENS1_30default_config_static_selectorELNS0_4arch9wavefront6targetE1EEEvT1_
; %bb.0:
	s_load_dwordx2 s[8:9], s[0:1], 0x50
	s_load_dwordx4 s[4:7], s[0:1], 0x8
	s_load_dwordx4 s[36:39], s[0:1], 0x40
	s_load_dword s3, s[0:1], 0x68
	s_waitcnt lgkmcnt(0)
	v_mov_b32_e32 v3, s9
	s_lshl_b64 s[10:11], s[6:7], 2
	s_add_u32 s10, s4, s10
	s_mul_i32 s9, s3, 0x1e00
	s_addc_u32 s11, s5, s11
	s_add_i32 s12, s3, -1
	s_add_i32 s3, s9, s6
	s_sub_i32 s3, s8, s3
	v_mov_b32_e32 v2, s8
	s_add_u32 s8, s6, s9
	s_addc_u32 s9, s7, 0
	s_cmp_eq_u32 s2, s12
	s_load_dwordx2 s[34:35], s[38:39], 0x0
	v_cmp_ge_u64_e32 vcc, s[8:9], v[2:3]
	s_cselect_b64 s[38:39], -1, 0
	s_mul_i32 s4, s2, 0x1e00
	s_mov_b32 s5, 0
	s_and_b64 s[42:43], s[38:39], vcc
	s_xor_b64 s[40:41], s[42:43], -1
	s_lshl_b64 s[4:5], s[4:5], 2
	s_add_u32 s4, s10, s4
	s_mov_b64 s[8:9], -1
	s_addc_u32 s5, s11, s5
	s_and_b64 vcc, exec, s[40:41]
	s_cbranch_vccz .LBB179_2
; %bb.1:
	v_lshlrev_b32_e32 v2, 2, v0
	v_mov_b32_e32 v3, 0
	v_lshl_add_u64 v[4:5], s[4:5], 0, v[2:3]
	v_add_co_u32_e32 v6, vcc, 0x1000, v4
	global_load_dword v1, v2, s[4:5]
	global_load_dword v3, v2, s[4:5] offset:2048
	v_addc_co_u32_e32 v7, vcc, 0, v5, vcc
	v_add_co_u32_e32 v8, vcc, 0x2000, v4
	s_mov_b64 s[8:9], 0
	s_nop 0
	v_addc_co_u32_e32 v9, vcc, 0, v5, vcc
	v_add_co_u32_e32 v10, vcc, 0x3000, v4
	s_nop 1
	v_addc_co_u32_e32 v11, vcc, 0, v5, vcc
	v_add_co_u32_e32 v12, vcc, 0x4000, v4
	s_nop 1
	v_addc_co_u32_e32 v13, vcc, 0, v5, vcc
	global_load_dword v14, v[6:7], off
	global_load_dword v15, v[6:7], off offset:2048
	global_load_dword v16, v[8:9], off
	global_load_dword v17, v[8:9], off offset:2048
	;; [unrolled: 2-line block ×4, first 2 shown]
	v_add_co_u32_e32 v6, vcc, 0x5000, v4
	s_nop 1
	v_addc_co_u32_e32 v7, vcc, 0, v5, vcc
	v_add_co_u32_e32 v8, vcc, 0x6000, v4
	s_nop 1
	v_addc_co_u32_e32 v9, vcc, 0, v5, vcc
	global_load_dword v10, v[6:7], off
	global_load_dword v11, v[6:7], off offset:2048
	global_load_dword v12, v[8:9], off
	global_load_dword v13, v[8:9], off offset:2048
	v_add_co_u32_e32 v4, vcc, 0x7000, v4
	s_nop 1
	v_addc_co_u32_e32 v5, vcc, 0, v5, vcc
	global_load_dword v4, v[4:5], off
	s_waitcnt vmcnt(13)
	ds_write2st64_b32 v2, v1, v3 offset1:8
	s_waitcnt vmcnt(11)
	ds_write2st64_b32 v2, v14, v15 offset0:16 offset1:24
	s_waitcnt vmcnt(9)
	ds_write2st64_b32 v2, v16, v17 offset0:32 offset1:40
	;; [unrolled: 2-line block ×6, first 2 shown]
	s_waitcnt vmcnt(0)
	ds_write_b32 v2, v4 offset:28672
	s_waitcnt lgkmcnt(0)
	s_barrier
.LBB179_2:
	s_andn2_b64 vcc, exec, s[8:9]
	s_addk_i32 s3, 0x1e00
	s_cbranch_vccnz .LBB179_34
; %bb.3:
	v_cmp_gt_u32_e32 vcc, s3, v0
                                        ; implicit-def: $vgpr2_vgpr3_vgpr4_vgpr5_vgpr6_vgpr7_vgpr8_vgpr9_vgpr10_vgpr11_vgpr12_vgpr13_vgpr14_vgpr15_vgpr16_vgpr17
	s_and_saveexec_b64 s[8:9], vcc
	s_cbranch_execz .LBB179_5
; %bb.4:
	v_lshlrev_b32_e32 v1, 2, v0
	global_load_dword v2, v1, s[4:5]
.LBB179_5:
	s_or_b64 exec, exec, s[8:9]
	v_or_b32_e32 v1, 0x200, v0
	v_cmp_gt_u32_e32 vcc, s3, v1
	s_and_saveexec_b64 s[8:9], vcc
	s_cbranch_execz .LBB179_7
; %bb.6:
	v_lshlrev_b32_e32 v1, 2, v0
	global_load_dword v3, v1, s[4:5] offset:2048
.LBB179_7:
	s_or_b64 exec, exec, s[8:9]
	v_or_b32_e32 v1, 0x400, v0
	v_cmp_gt_u32_e32 vcc, s3, v1
	s_and_saveexec_b64 s[8:9], vcc
	s_cbranch_execz .LBB179_9
; %bb.8:
	v_lshlrev_b32_e32 v1, 2, v1
	global_load_dword v4, v1, s[4:5]
.LBB179_9:
	s_or_b64 exec, exec, s[8:9]
	v_or_b32_e32 v1, 0x600, v0
	v_cmp_gt_u32_e32 vcc, s3, v1
	s_and_saveexec_b64 s[8:9], vcc
	s_cbranch_execz .LBB179_11
; %bb.10:
	v_lshlrev_b32_e32 v1, 2, v1
	global_load_dword v5, v1, s[4:5]
.LBB179_11:
	;; [unrolled: 9-line block ×13, first 2 shown]
	s_or_b64 exec, exec, s[8:9]
	v_lshlrev_b32_e32 v1, 2, v0
	s_waitcnt vmcnt(0)
	ds_write2st64_b32 v1, v2, v3 offset1:8
	ds_write2st64_b32 v1, v4, v5 offset0:16 offset1:24
	ds_write2st64_b32 v1, v6, v7 offset0:32 offset1:40
	;; [unrolled: 1-line block ×6, first 2 shown]
	ds_write_b32 v1, v16 offset:28672
	s_waitcnt lgkmcnt(0)
	s_barrier
.LBB179_34:
	v_mul_u32_u24_e32 v10, 15, v0
	v_lshlrev_b32_e32 v17, 2, v10
	s_waitcnt lgkmcnt(0)
	ds_read2_b32 v[30:31], v17 offset1:1
	ds_read2_b32 v[28:29], v17 offset0:2 offset1:3
	ds_read2_b32 v[26:27], v17 offset0:4 offset1:5
	;; [unrolled: 1-line block ×6, first 2 shown]
	ds_read_b32 v1, v17 offset:56
	s_cmp_lg_u32 s2, 0
	s_cselect_b64 s[44:45], -1, 0
	s_cmp_lg_u64 s[6:7], 0
	s_cselect_b64 s[6:7], -1, 0
	s_or_b64 s[6:7], s[44:45], s[6:7]
	v_mad_u32_u24 v15, v0, 15, 1
	v_mad_u32_u24 v11, v0, 15, 2
	;; [unrolled: 1-line block ×14, first 2 shown]
	s_mov_b64 s[46:47], 0
	s_and_b64 vcc, exec, s[6:7]
	s_waitcnt lgkmcnt(0)
	s_barrier
	s_cbranch_vccz .LBB179_39
; %bb.35:
	s_add_u32 s4, s4, -4
	s_addc_u32 s5, s5, -1
	s_load_dword s8, s[4:5], 0x0
	v_lshlrev_b32_e32 v32, 2, v0
	s_and_b64 vcc, exec, s[40:41]
	ds_write_b32 v32, v1
	s_cbranch_vccz .LBB179_41
; %bb.36:
	v_cmp_ne_u32_e32 vcc, 0, v0
	s_waitcnt lgkmcnt(0)
	v_mov_b32_e32 v33, s8
	s_barrier
	s_and_saveexec_b64 s[4:5], vcc
	s_cbranch_execz .LBB179_38
; %bb.37:
	v_add_u32_e32 v33, -4, v32
	ds_read_b32 v33, v33
.LBB179_38:
	s_or_b64 exec, exec, s[4:5]
	v_cmp_ne_u32_e32 vcc, v19, v1
	s_waitcnt lgkmcnt(0)
	v_cmp_ne_u32_e64 s[4:5], v33, v30
	v_cndmask_b32_e64 v35, 0, 1, vcc
	v_cmp_ne_u32_e32 vcc, v18, v19
	s_nop 1
	v_cndmask_b32_e64 v36, 0, 1, vcc
	v_cmp_ne_u32_e32 vcc, v21, v18
	s_nop 1
	;; [unrolled: 3-line block ×13, first 2 shown]
	v_cndmask_b32_e64 v48, 0, 1, vcc
	s_branch .LBB179_45
.LBB179_39:
                                        ; implicit-def: $sgpr4_sgpr5
                                        ; implicit-def: $vgpr35
                                        ; implicit-def: $vgpr36
                                        ; implicit-def: $vgpr37
                                        ; implicit-def: $vgpr38
                                        ; implicit-def: $vgpr39
                                        ; implicit-def: $vgpr40
                                        ; implicit-def: $vgpr41
                                        ; implicit-def: $vgpr42
                                        ; implicit-def: $vgpr48
                                        ; implicit-def: $vgpr47
                                        ; implicit-def: $vgpr46
                                        ; implicit-def: $vgpr45
                                        ; implicit-def: $vgpr44
                                        ; implicit-def: $vgpr43
	s_branch .LBB179_46
.LBB179_40:
                                        ; implicit-def: $sgpr8
	s_branch .LBB179_54
.LBB179_41:
                                        ; implicit-def: $sgpr4_sgpr5
                                        ; implicit-def: $vgpr35
                                        ; implicit-def: $vgpr36
                                        ; implicit-def: $vgpr37
                                        ; implicit-def: $vgpr38
                                        ; implicit-def: $vgpr39
                                        ; implicit-def: $vgpr40
                                        ; implicit-def: $vgpr41
                                        ; implicit-def: $vgpr42
                                        ; implicit-def: $vgpr48
                                        ; implicit-def: $vgpr47
                                        ; implicit-def: $vgpr46
                                        ; implicit-def: $vgpr45
                                        ; implicit-def: $vgpr44
                                        ; implicit-def: $vgpr43
	s_cbranch_execz .LBB179_45
; %bb.42:
	v_cmp_ne_u32_e32 vcc, 0, v0
	s_waitcnt lgkmcnt(0)
	v_mov_b32_e32 v33, s8
	s_barrier
	s_and_saveexec_b64 s[4:5], vcc
	s_cbranch_execz .LBB179_44
; %bb.43:
	v_add_u32_e32 v32, -4, v32
	ds_read_b32 v33, v32
.LBB179_44:
	s_or_b64 exec, exec, s[4:5]
	v_cmp_gt_u32_e32 vcc, s3, v2
	v_cmp_ne_u32_e64 s[4:5], v19, v1
	s_and_b64 s[4:5], vcc, s[4:5]
	v_cmp_gt_u32_e32 vcc, s3, v5
	v_cndmask_b32_e64 v35, 0, 1, s[4:5]
	v_cmp_ne_u32_e64 s[4:5], v18, v19
	s_and_b64 s[4:5], vcc, s[4:5]
	v_cmp_gt_u32_e32 vcc, s3, v4
	v_cndmask_b32_e64 v36, 0, 1, s[4:5]
	;; [unrolled: 4-line block ×14, first 2 shown]
	s_waitcnt lgkmcnt(0)
	v_cmp_ne_u32_e64 s[4:5], v33, v30
	s_and_b64 s[4:5], vcc, s[4:5]
.LBB179_45:
	s_mov_b64 s[46:47], -1
	s_cbranch_execnz .LBB179_40
.LBB179_46:
	s_movk_i32 s4, 0xffc8
	v_mad_i32_i24 v17, v0, s4, v17
	s_and_b64 vcc, exec, s[40:41]
	v_cmp_ne_u32_e64 s[30:31], v19, v1
	v_cmp_ne_u32_e64 s[4:5], v18, v19
	;; [unrolled: 1-line block ×3, first 2 shown]
	s_waitcnt lgkmcnt(0)
	v_cmp_ne_u32_e64 s[8:9], v20, v21
	v_cmp_ne_u32_e64 s[10:11], v23, v20
	;; [unrolled: 1-line block ×11, first 2 shown]
	ds_write_b32 v17, v1
	s_cbranch_vccz .LBB179_50
; %bb.47:
	v_cndmask_b32_e64 v35, 0, 1, s[30:31]
	v_cndmask_b32_e64 v36, 0, 1, s[4:5]
	;; [unrolled: 1-line block ×14, first 2 shown]
	v_cmp_ne_u32_e32 vcc, 0, v0
	s_waitcnt lgkmcnt(0)
	s_barrier
	s_waitcnt lgkmcnt(0)
                                        ; implicit-def: $sgpr4_sgpr5
	s_and_saveexec_b64 s[6:7], vcc
	s_xor_b64 s[6:7], exec, s[6:7]
	s_cbranch_execz .LBB179_49
; %bb.48:
	v_add_u32_e32 v32, -4, v17
	ds_read_b32 v32, v32
	s_or_b64 s[46:47], s[46:47], exec
	s_waitcnt lgkmcnt(0)
	v_cmp_ne_u32_e32 vcc, v32, v30
	s_and_b64 s[4:5], vcc, exec
.LBB179_49:
	s_or_b64 exec, exec, s[6:7]
	s_mov_b32 s8, 1
	s_branch .LBB179_54
.LBB179_50:
                                        ; implicit-def: $sgpr4_sgpr5
                                        ; implicit-def: $vgpr35
                                        ; implicit-def: $vgpr36
                                        ; implicit-def: $vgpr37
                                        ; implicit-def: $vgpr38
                                        ; implicit-def: $vgpr39
                                        ; implicit-def: $vgpr40
                                        ; implicit-def: $vgpr41
                                        ; implicit-def: $vgpr42
                                        ; implicit-def: $vgpr48
                                        ; implicit-def: $vgpr47
                                        ; implicit-def: $vgpr46
                                        ; implicit-def: $vgpr45
                                        ; implicit-def: $vgpr44
                                        ; implicit-def: $vgpr43
                                        ; implicit-def: $sgpr8
	s_cbranch_execz .LBB179_54
; %bb.51:
	v_cmp_gt_u32_e32 vcc, s3, v2
	v_cmp_ne_u32_e64 s[4:5], v19, v1
	s_and_b64 s[4:5], vcc, s[4:5]
	v_cmp_gt_u32_e32 vcc, s3, v5
	v_cndmask_b32_e64 v35, 0, 1, s[4:5]
	v_cmp_ne_u32_e64 s[4:5], v18, v19
	s_and_b64 s[4:5], vcc, s[4:5]
	v_cmp_gt_u32_e32 vcc, s3, v4
	v_cndmask_b32_e64 v36, 0, 1, s[4:5]
	;; [unrolled: 4-line block ×13, first 2 shown]
	v_cmp_ne_u32_e64 s[4:5], v30, v31
	s_and_b64 s[4:5], vcc, s[4:5]
	v_cmp_ne_u32_e32 vcc, 0, v0
	v_cndmask_b32_e64 v48, 0, 1, s[4:5]
	s_waitcnt lgkmcnt(0)
	s_barrier
	s_waitcnt lgkmcnt(0)
                                        ; implicit-def: $sgpr4_sgpr5
	s_and_saveexec_b64 s[6:7], vcc
	s_cbranch_execz .LBB179_53
; %bb.52:
	v_add_u32_e32 v17, -4, v17
	ds_read_b32 v17, v17
	v_cmp_gt_u32_e32 vcc, s3, v10
	s_or_b64 s[46:47], s[46:47], exec
	s_waitcnt lgkmcnt(0)
	v_cmp_ne_u32_e64 s[4:5], v17, v30
	s_and_b64 s[4:5], vcc, s[4:5]
	s_and_b64 s[4:5], s[4:5], exec
.LBB179_53:
	s_or_b64 exec, exec, s[6:7]
	s_mov_b32 s8, 1
.LBB179_54:
	s_waitcnt lgkmcnt(0)
	v_mov_b32_e32 v49, s8
	s_and_saveexec_b64 s[6:7], s[46:47]
; %bb.55:
	v_cndmask_b32_e64 v49, 0, 1, s[4:5]
; %bb.56:
	s_or_b64 exec, exec, s[6:7]
	s_load_dwordx2 s[20:21], s[0:1], 0x60
	s_andn2_b64 vcc, exec, s[42:43]
	s_cbranch_vccnz .LBB179_58
; %bb.57:
	v_cmp_gt_u32_e32 vcc, s3, v10
	s_nop 1
	v_cndmask_b32_e32 v49, 0, v49, vcc
	v_cmp_gt_u32_e32 vcc, s3, v15
	s_nop 1
	v_cndmask_b32_e32 v48, 0, v48, vcc
	;; [unrolled: 3-line block ×15, first 2 shown]
.LBB179_58:
	v_and_b32_e32 v54, 0xff, v45
	v_and_b32_e32 v55, 0xff, v44
	;; [unrolled: 1-line block ×5, first 2 shown]
	v_add3_u32 v3, v55, v56, v54
	v_and_b32_e32 v50, 0xff, v49
	v_and_b32_e32 v51, 0xff, v48
	v_add3_u32 v3, v3, v53, v52
	v_and_b32_e32 v57, 0xff, v42
	v_and_b32_e32 v58, 0xff, v41
	;; [unrolled: 3-line block ×5, first 2 shown]
	v_add3_u32 v3, v3, v61, v62
	v_add3_u32 v66, v3, v63, v2
	v_mbcnt_lo_u32_b32 v2, -1, 0
	v_mbcnt_hi_u32_b32 v64, -1, v2
	v_and_b32_e32 v2, 15, v64
	v_cmp_eq_u32_e64 s[14:15], 0, v2
	v_cmp_lt_u32_e64 s[12:13], 1, v2
	v_cmp_lt_u32_e64 s[10:11], 3, v2
	;; [unrolled: 1-line block ×3, first 2 shown]
	v_and_b32_e32 v2, 16, v64
	v_cmp_eq_u32_e64 s[6:7], 0, v2
	v_or_b32_e32 v2, 63, v0
	v_cmp_lt_u32_e64 s[18:19], 31, v64
	v_lshrrev_b32_e32 v65, 6, v0
	v_cmp_eq_u32_e64 s[4:5], v2, v0
	s_and_b64 vcc, exec, s[44:45]
	s_waitcnt lgkmcnt(0)
	s_barrier
	s_cbranch_vccz .LBB179_85
; %bb.59:
	v_mov_b32_dpp v2, v66 row_shr:1 row_mask:0xf bank_mask:0xf
	v_cndmask_b32_e64 v2, v2, 0, s[14:15]
	v_add_u32_e32 v2, v2, v66
	s_nop 1
	v_mov_b32_dpp v3, v2 row_shr:2 row_mask:0xf bank_mask:0xf
	v_cndmask_b32_e64 v3, 0, v3, s[12:13]
	v_add_u32_e32 v2, v2, v3
	s_nop 1
	;; [unrolled: 4-line block ×4, first 2 shown]
	v_mov_b32_dpp v3, v2 row_bcast:15 row_mask:0xf bank_mask:0xf
	v_cndmask_b32_e64 v3, v3, 0, s[6:7]
	v_add_u32_e32 v2, v2, v3
	s_nop 1
	v_mov_b32_dpp v3, v2 row_bcast:31 row_mask:0xf bank_mask:0xf
	v_cndmask_b32_e64 v3, 0, v3, s[18:19]
	v_add_u32_e32 v2, v2, v3
	s_and_saveexec_b64 s[16:17], s[4:5]
	s_cbranch_execz .LBB179_61
; %bb.60:
	v_lshlrev_b32_e32 v3, 2, v65
	ds_write_b32 v3, v2
.LBB179_61:
	s_or_b64 exec, exec, s[16:17]
	v_cmp_gt_u32_e32 vcc, 8, v0
	s_waitcnt lgkmcnt(0)
	s_barrier
	s_and_saveexec_b64 s[16:17], vcc
	s_cbranch_execz .LBB179_63
; %bb.62:
	v_lshlrev_b32_e32 v3, 2, v0
	ds_read_b32 v4, v3
	v_and_b32_e32 v5, 7, v64
	v_cmp_ne_u32_e32 vcc, 0, v5
	s_waitcnt lgkmcnt(0)
	v_mov_b32_dpp v6, v4 row_shr:1 row_mask:0xf bank_mask:0xf
	v_cndmask_b32_e32 v6, 0, v6, vcc
	v_add_u32_e32 v4, v6, v4
	v_cmp_lt_u32_e32 vcc, 1, v5
	s_nop 0
	v_mov_b32_dpp v6, v4 row_shr:2 row_mask:0xf bank_mask:0xf
	v_cndmask_b32_e32 v6, 0, v6, vcc
	v_add_u32_e32 v4, v4, v6
	v_cmp_lt_u32_e32 vcc, 3, v5
	s_nop 0
	v_mov_b32_dpp v6, v4 row_shr:4 row_mask:0xf bank_mask:0xf
	v_cndmask_b32_e32 v5, 0, v6, vcc
	v_add_u32_e32 v4, v4, v5
	ds_write_b32 v3, v4
.LBB179_63:
	s_or_b64 exec, exec, s[16:17]
	v_cmp_gt_u32_e32 vcc, 64, v0
	v_cmp_lt_u32_e64 s[16:17], 63, v0
	s_waitcnt lgkmcnt(0)
	s_barrier
	s_waitcnt lgkmcnt(0)
                                        ; implicit-def: $vgpr12
	s_and_saveexec_b64 s[22:23], s[16:17]
	s_cbranch_execz .LBB179_65
; %bb.64:
	v_lshl_add_u32 v3, v65, 2, -4
	ds_read_b32 v12, v3
	s_waitcnt lgkmcnt(0)
	v_add_u32_e32 v2, v12, v2
.LBB179_65:
	s_or_b64 exec, exec, s[22:23]
	v_add_u32_e32 v3, -1, v64
	v_and_b32_e32 v4, 64, v64
	v_cmp_lt_i32_e64 s[16:17], v3, v4
	s_nop 1
	v_cndmask_b32_e64 v3, v3, v64, s[16:17]
	v_lshlrev_b32_e32 v3, 2, v3
	ds_bpermute_b32 v13, v3, v2
	v_cmp_eq_u32_e64 s[16:17], 0, v64
	s_and_saveexec_b64 s[22:23], vcc
	s_cbranch_execz .LBB179_84
; %bb.66:
	v_mov_b32_e32 v9, 0
	ds_read_b32 v2, v9 offset:28
	s_and_saveexec_b64 s[24:25], s[16:17]
	s_cbranch_execz .LBB179_68
; %bb.67:
	s_add_i32 s26, s2, 64
	s_mov_b32 s27, 0
	s_lshl_b64 s[26:27], s[26:27], 3
	s_add_u32 s26, s20, s26
	v_mov_b32_e32 v3, 1
	s_addc_u32 s27, s21, s27
	s_waitcnt lgkmcnt(0)
	global_store_dwordx2 v9, v[2:3], s[26:27] sc1
.LBB179_68:
	s_or_b64 exec, exec, s[24:25]
	v_xad_u32 v4, v64, -1, s2
	v_add_u32_e32 v8, 64, v4
	v_lshl_add_u64 v[10:11], v[8:9], 3, s[20:21]
	global_load_dwordx2 v[6:7], v[10:11], off sc1
	s_waitcnt vmcnt(0)
	v_cmp_eq_u16_sdwa s[26:27], v7, v9 src0_sel:BYTE_0 src1_sel:DWORD
	s_and_saveexec_b64 s[24:25], s[26:27]
	s_cbranch_execz .LBB179_72
; %bb.69:
	s_mov_b64 s[26:27], 0
	v_mov_b32_e32 v3, 0
.LBB179_70:                             ; =>This Inner Loop Header: Depth=1
	global_load_dwordx2 v[6:7], v[10:11], off sc1
	s_waitcnt vmcnt(0)
	v_cmp_ne_u16_sdwa s[28:29], v7, v3 src0_sel:BYTE_0 src1_sel:DWORD
	s_or_b64 s[26:27], s[28:29], s[26:27]
	s_andn2_b64 exec, exec, s[26:27]
	s_cbranch_execnz .LBB179_70
; %bb.71:
	s_or_b64 exec, exec, s[26:27]
.LBB179_72:
	s_or_b64 exec, exec, s[24:25]
	v_and_b32_e32 v15, 63, v64
	v_mov_b32_e32 v14, 2
	v_cmp_ne_u32_e32 vcc, 63, v15
	v_cmp_eq_u16_sdwa s[24:25], v7, v14 src0_sel:BYTE_0 src1_sel:DWORD
	v_lshlrev_b64 v[8:9], v64, -1
	v_addc_co_u32_e32 v10, vcc, 0, v64, vcc
	v_and_b32_e32 v3, s25, v9
	v_lshlrev_b32_e32 v16, 2, v10
	v_or_b32_e32 v3, 0x80000000, v3
	ds_bpermute_b32 v10, v16, v6
	v_and_b32_e32 v5, s24, v8
	v_ffbl_b32_e32 v3, v3
	v_add_u32_e32 v3, 32, v3
	v_ffbl_b32_e32 v5, v5
	v_min_u32_e32 v3, v5, v3
	v_cmp_lt_u32_e32 vcc, v15, v3
	v_add_u32_e32 v32, 2, v15
	v_add_u32_e32 v34, 4, v15
	s_waitcnt lgkmcnt(0)
	v_cndmask_b32_e32 v5, 0, v10, vcc
	v_cmp_gt_u32_e32 vcc, 62, v15
	v_add_u32_e32 v5, v5, v6
	v_add_u32_e32 v68, 8, v15
	v_cndmask_b32_e64 v6, 0, 1, vcc
	v_lshlrev_b32_e32 v6, 1, v6
	v_add_lshl_u32 v17, v6, v64, 2
	ds_bpermute_b32 v6, v17, v5
	v_cmp_le_u32_e32 vcc, v32, v3
	v_add_u32_e32 v70, 16, v15
	v_add_u32_e32 v72, 32, v15
	s_waitcnt lgkmcnt(0)
	v_cndmask_b32_e32 v6, 0, v6, vcc
	v_cmp_gt_u32_e32 vcc, 60, v15
	v_add_u32_e32 v5, v5, v6
	s_nop 0
	v_cndmask_b32_e64 v6, 0, 1, vcc
	v_lshlrev_b32_e32 v6, 2, v6
	v_add_lshl_u32 v33, v6, v64, 2
	ds_bpermute_b32 v6, v33, v5
	v_cmp_le_u32_e32 vcc, v34, v3
	s_waitcnt lgkmcnt(0)
	s_nop 0
	v_cndmask_b32_e32 v6, 0, v6, vcc
	v_cmp_gt_u32_e32 vcc, 56, v15
	v_add_u32_e32 v5, v5, v6
	s_nop 0
	v_cndmask_b32_e64 v6, 0, 1, vcc
	v_lshlrev_b32_e32 v6, 3, v6
	v_add_lshl_u32 v67, v6, v64, 2
	ds_bpermute_b32 v6, v67, v5
	v_cmp_le_u32_e32 vcc, v68, v3
	s_waitcnt lgkmcnt(0)
	s_nop 0
	;; [unrolled: 11-line block ×4, first 2 shown]
	v_cndmask_b32_e32 v3, 0, v6, vcc
	v_add_u32_e32 v6, v5, v3
	v_mov_b32_e32 v5, 0
	s_branch .LBB179_74
.LBB179_73:                             ;   in Loop: Header=BB179_74 Depth=1
	s_or_b64 exec, exec, s[24:25]
	v_cmp_eq_u16_sdwa s[24:25], v7, v14 src0_sel:BYTE_0 src1_sel:DWORD
	ds_bpermute_b32 v73, v16, v6
	v_subrev_u32_e32 v4, 64, v4
	v_and_b32_e32 v10, s25, v9
	v_or_b32_e32 v10, 0x80000000, v10
	v_and_b32_e32 v11, s24, v8
	v_ffbl_b32_e32 v10, v10
	v_add_u32_e32 v10, 32, v10
	v_ffbl_b32_e32 v11, v11
	v_min_u32_e32 v10, v11, v10
	v_cmp_lt_u32_e32 vcc, v15, v10
	s_waitcnt lgkmcnt(0)
	s_nop 0
	v_cndmask_b32_e32 v11, 0, v73, vcc
	v_add_u32_e32 v6, v11, v6
	ds_bpermute_b32 v11, v17, v6
	v_cmp_le_u32_e32 vcc, v32, v10
	s_waitcnt lgkmcnt(0)
	s_nop 0
	v_cndmask_b32_e32 v11, 0, v11, vcc
	v_add_u32_e32 v6, v6, v11
	ds_bpermute_b32 v11, v33, v6
	v_cmp_le_u32_e32 vcc, v34, v10
	;; [unrolled: 6-line block ×5, first 2 shown]
	s_waitcnt lgkmcnt(0)
	s_nop 0
	v_cndmask_b32_e32 v10, 0, v11, vcc
	v_add3_u32 v6, v10, v3, v6
.LBB179_74:                             ; =>This Loop Header: Depth=1
                                        ;     Child Loop BB179_77 Depth 2
	v_cmp_ne_u16_sdwa s[24:25], v7, v14 src0_sel:BYTE_0 src1_sel:DWORD
	s_nop 1
	v_cndmask_b32_e64 v3, 0, 1, s[24:25]
	;;#ASMSTART
	;;#ASMEND
	s_nop 0
	v_cmp_ne_u32_e32 vcc, 0, v3
	s_cmp_lg_u64 vcc, exec
	v_mov_b32_e32 v3, v6
	s_cbranch_scc1 .LBB179_79
; %bb.75:                               ;   in Loop: Header=BB179_74 Depth=1
	v_lshl_add_u64 v[10:11], v[4:5], 3, s[20:21]
	global_load_dwordx2 v[6:7], v[10:11], off sc1
	s_waitcnt vmcnt(0)
	v_cmp_eq_u16_sdwa s[26:27], v7, v5 src0_sel:BYTE_0 src1_sel:DWORD
	s_and_saveexec_b64 s[24:25], s[26:27]
	s_cbranch_execz .LBB179_73
; %bb.76:                               ;   in Loop: Header=BB179_74 Depth=1
	s_mov_b64 s[26:27], 0
.LBB179_77:                             ;   Parent Loop BB179_74 Depth=1
                                        ; =>  This Inner Loop Header: Depth=2
	global_load_dwordx2 v[6:7], v[10:11], off sc1
	s_waitcnt vmcnt(0)
	v_cmp_ne_u16_sdwa s[28:29], v7, v5 src0_sel:BYTE_0 src1_sel:DWORD
	s_or_b64 s[26:27], s[28:29], s[26:27]
	s_andn2_b64 exec, exec, s[26:27]
	s_cbranch_execnz .LBB179_77
; %bb.78:                               ;   in Loop: Header=BB179_74 Depth=1
	s_or_b64 exec, exec, s[26:27]
	s_branch .LBB179_73
.LBB179_79:                             ;   in Loop: Header=BB179_74 Depth=1
                                        ; implicit-def: $vgpr6
                                        ; implicit-def: $vgpr7
	s_cbranch_execz .LBB179_74
; %bb.80:
	s_and_saveexec_b64 s[24:25], s[16:17]
	s_cbranch_execz .LBB179_82
; %bb.81:
	s_add_i32 s2, s2, 64
	s_mov_b32 s3, 0
	s_lshl_b64 s[2:3], s[2:3], 3
	s_add_u32 s2, s20, s2
	v_add_u32_e32 v4, v3, v2
	v_mov_b32_e32 v5, 2
	s_addc_u32 s3, s21, s3
	v_mov_b32_e32 v6, 0
	global_store_dwordx2 v6, v[4:5], s[2:3] sc1
	ds_write_b64 v6, v[2:3] offset:30720
.LBB179_82:
	s_or_b64 exec, exec, s[24:25]
	v_cmp_eq_u32_e32 vcc, 0, v0
	s_and_b64 exec, exec, vcc
	s_cbranch_execz .LBB179_84
; %bb.83:
	v_mov_b32_e32 v2, 0
	ds_write_b32 v2, v3 offset:28
.LBB179_84:
	s_or_b64 exec, exec, s[22:23]
	v_mov_b32_e32 v14, 0
	s_waitcnt lgkmcnt(0)
	s_barrier
	ds_read_b32 v2, v14 offset:28
	v_cndmask_b32_e64 v3, v13, v12, s[16:17]
	v_cmp_ne_u32_e32 vcc, 0, v0
	s_waitcnt lgkmcnt(0)
	s_barrier
	v_cndmask_b32_e32 v3, 0, v3, vcc
	v_add_u32_e32 v2, v2, v3
	v_add_u32_e32 v3, v2, v50
	;; [unrolled: 1-line block ×10, first 2 shown]
	ds_read_b64 v[32:33], v14 offset:30720
	v_add_u32_e32 v12, v11, v59
	v_add_u32_e32 v13, v12, v60
	;; [unrolled: 1-line block ×5, first 2 shown]
	s_waitcnt lgkmcnt(0)
	v_mov_b32_e32 v34, v33
	s_load_dwordx2 s[2:3], s[0:1], 0x28
	s_branch .LBB179_95
.LBB179_85:
                                        ; implicit-def: $vgpr34
                                        ; implicit-def: $vgpr32
                                        ; implicit-def: $vgpr2_vgpr3_vgpr4_vgpr5_vgpr6_vgpr7_vgpr8_vgpr9_vgpr10_vgpr11_vgpr12_vgpr13_vgpr14_vgpr15_vgpr16_vgpr17
	s_load_dwordx2 s[2:3], s[0:1], 0x28
	s_cbranch_execz .LBB179_95
; %bb.86:
	v_mov_b32_dpp v2, v66 row_shr:1 row_mask:0xf bank_mask:0xf
	v_cndmask_b32_e64 v2, v2, 0, s[14:15]
	v_add_u32_e32 v2, v2, v66
	s_nop 1
	v_mov_b32_dpp v3, v2 row_shr:2 row_mask:0xf bank_mask:0xf
	v_cndmask_b32_e64 v3, 0, v3, s[12:13]
	v_add_u32_e32 v2, v2, v3
	s_nop 1
	;; [unrolled: 4-line block ×4, first 2 shown]
	v_mov_b32_dpp v3, v2 row_bcast:15 row_mask:0xf bank_mask:0xf
	v_cndmask_b32_e64 v3, v3, 0, s[6:7]
	v_add_u32_e32 v2, v2, v3
	s_nop 1
	v_mov_b32_dpp v3, v2 row_bcast:31 row_mask:0xf bank_mask:0xf
	v_cndmask_b32_e64 v3, 0, v3, s[18:19]
	v_add_u32_e32 v2, v2, v3
	s_and_saveexec_b64 s[0:1], s[4:5]
	s_cbranch_execz .LBB179_88
; %bb.87:
	v_lshlrev_b32_e32 v3, 2, v65
	ds_write_b32 v3, v2
.LBB179_88:
	s_or_b64 exec, exec, s[0:1]
	v_cmp_gt_u32_e32 vcc, 8, v0
	s_waitcnt lgkmcnt(0)
	s_barrier
	s_and_saveexec_b64 s[0:1], vcc
	s_cbranch_execz .LBB179_90
; %bb.89:
	v_lshlrev_b32_e32 v3, 2, v0
	ds_read_b32 v4, v3
	v_and_b32_e32 v5, 7, v64
	v_cmp_ne_u32_e32 vcc, 0, v5
	s_waitcnt lgkmcnt(0)
	v_mov_b32_dpp v6, v4 row_shr:1 row_mask:0xf bank_mask:0xf
	v_cndmask_b32_e32 v6, 0, v6, vcc
	v_add_u32_e32 v4, v6, v4
	v_cmp_lt_u32_e32 vcc, 1, v5
	s_nop 0
	v_mov_b32_dpp v6, v4 row_shr:2 row_mask:0xf bank_mask:0xf
	v_cndmask_b32_e32 v6, 0, v6, vcc
	v_add_u32_e32 v4, v4, v6
	v_cmp_lt_u32_e32 vcc, 3, v5
	s_nop 0
	v_mov_b32_dpp v6, v4 row_shr:4 row_mask:0xf bank_mask:0xf
	v_cndmask_b32_e32 v5, 0, v6, vcc
	v_add_u32_e32 v4, v4, v5
	ds_write_b32 v3, v4
.LBB179_90:
	s_or_b64 exec, exec, s[0:1]
	v_cmp_lt_u32_e32 vcc, 63, v0
	v_mov_b32_e32 v4, 0
	v_mov_b32_e32 v3, 0
	s_waitcnt lgkmcnt(0)
	s_barrier
	s_and_saveexec_b64 s[0:1], vcc
	s_cbranch_execz .LBB179_92
; %bb.91:
	v_lshl_add_u32 v3, v65, 2, -4
	ds_read_b32 v3, v3
.LBB179_92:
	s_or_b64 exec, exec, s[0:1]
	v_add_u32_e32 v5, -1, v64
	v_and_b32_e32 v6, 64, v64
	v_cmp_lt_i32_e32 vcc, v5, v6
	s_waitcnt lgkmcnt(0)
	v_add_u32_e32 v2, v3, v2
	ds_read_b32 v32, v4 offset:28
	v_cndmask_b32_e32 v5, v5, v64, vcc
	v_lshlrev_b32_e32 v5, 2, v5
	ds_bpermute_b32 v2, v5, v2
	v_cmp_eq_u32_e32 vcc, 0, v0
	s_and_saveexec_b64 s[0:1], vcc
	s_cbranch_execz .LBB179_94
; %bb.93:
	v_mov_b32_e32 v4, 0
	v_mov_b32_e32 v33, 2
	s_waitcnt lgkmcnt(1)
	global_store_dwordx2 v4, v[32:33], s[20:21] offset:512 sc1
.LBB179_94:
	s_or_b64 exec, exec, s[0:1]
	v_cmp_eq_u32_e64 s[0:1], 0, v64
	v_mov_b32_e32 v34, 0
	s_waitcnt lgkmcnt(0)
	v_cndmask_b32_e64 v2, v2, v3, s[0:1]
	v_cndmask_b32_e64 v2, v2, 0, vcc
	v_add_u32_e32 v3, v2, v50
	v_add_u32_e32 v4, v3, v51
	;; [unrolled: 1-line block ×14, first 2 shown]
	s_barrier
.LBB179_95:
	s_movk_i32 s0, 0x201
	v_cmp_gt_u32_e32 vcc, s0, v32
	s_mov_b64 s[0:1], -1
	s_cbranch_vccnz .LBB179_99
; %bb.96:
	s_and_b64 vcc, exec, s[0:1]
	s_cbranch_vccnz .LBB179_145
.LBB179_97:
	v_cmp_eq_u32_e32 vcc, 0, v0
	s_and_b64 s[0:1], vcc, s[38:39]
	s_waitcnt lgkmcnt(0)
	s_and_saveexec_b64 s[2:3], s[0:1]
	s_cbranch_execnz .LBB179_189
.LBB179_98:
	s_endpgm
.LBB179_99:
	v_add_u32_e32 v17, v34, v32
	s_lshl_b64 s[0:1], s[34:35], 2
	s_waitcnt lgkmcnt(0)
	s_add_u32 s0, s2, s0
	v_cmp_lt_u32_e32 vcc, v2, v17
	s_addc_u32 s1, s3, s1
	s_or_b64 s[6:7], s[40:41], vcc
	s_and_saveexec_b64 s[4:5], s[6:7]
	s_cbranch_execz .LBB179_102
; %bb.100:
	v_and_b32_e32 v33, 1, v49
	v_cmp_eq_u32_e32 vcc, 1, v33
	s_and_b64 exec, exec, vcc
	s_cbranch_execz .LBB179_102
; %bb.101:
	v_mov_b32_e32 v51, 0
	v_mov_b32_e32 v50, v2
	v_lshl_add_u64 v[50:51], v[50:51], 2, s[0:1]
	global_store_dword v[50:51], v30, off
.LBB179_102:
	s_or_b64 exec, exec, s[4:5]
	v_cmp_lt_u32_e32 vcc, v3, v17
	s_or_b64 s[6:7], s[40:41], vcc
	s_and_saveexec_b64 s[4:5], s[6:7]
	s_cbranch_execz .LBB179_105
; %bb.103:
	v_and_b32_e32 v33, 1, v48
	v_cmp_eq_u32_e32 vcc, 1, v33
	s_and_b64 exec, exec, vcc
	s_cbranch_execz .LBB179_105
; %bb.104:
	v_mov_b32_e32 v51, 0
	v_mov_b32_e32 v50, v3
	v_lshl_add_u64 v[50:51], v[50:51], 2, s[0:1]
	global_store_dword v[50:51], v31, off
.LBB179_105:
	s_or_b64 exec, exec, s[4:5]
	v_cmp_lt_u32_e32 vcc, v4, v17
	s_or_b64 s[6:7], s[40:41], vcc
	s_and_saveexec_b64 s[4:5], s[6:7]
	s_cbranch_execz .LBB179_108
; %bb.106:
	v_and_b32_e32 v33, 1, v47
	v_cmp_eq_u32_e32 vcc, 1, v33
	s_and_b64 exec, exec, vcc
	s_cbranch_execz .LBB179_108
; %bb.107:
	v_mov_b32_e32 v51, 0
	v_mov_b32_e32 v50, v4
	v_lshl_add_u64 v[50:51], v[50:51], 2, s[0:1]
	global_store_dword v[50:51], v28, off
.LBB179_108:
	s_or_b64 exec, exec, s[4:5]
	v_cmp_lt_u32_e32 vcc, v5, v17
	s_or_b64 s[6:7], s[40:41], vcc
	s_and_saveexec_b64 s[4:5], s[6:7]
	s_cbranch_execz .LBB179_111
; %bb.109:
	v_and_b32_e32 v33, 1, v46
	v_cmp_eq_u32_e32 vcc, 1, v33
	s_and_b64 exec, exec, vcc
	s_cbranch_execz .LBB179_111
; %bb.110:
	v_mov_b32_e32 v51, 0
	v_mov_b32_e32 v50, v5
	v_lshl_add_u64 v[50:51], v[50:51], 2, s[0:1]
	global_store_dword v[50:51], v29, off
.LBB179_111:
	s_or_b64 exec, exec, s[4:5]
	v_cmp_lt_u32_e32 vcc, v6, v17
	s_or_b64 s[6:7], s[40:41], vcc
	s_and_saveexec_b64 s[4:5], s[6:7]
	s_cbranch_execz .LBB179_114
; %bb.112:
	v_and_b32_e32 v33, 1, v45
	v_cmp_eq_u32_e32 vcc, 1, v33
	s_and_b64 exec, exec, vcc
	s_cbranch_execz .LBB179_114
; %bb.113:
	v_mov_b32_e32 v51, 0
	v_mov_b32_e32 v50, v6
	v_lshl_add_u64 v[50:51], v[50:51], 2, s[0:1]
	global_store_dword v[50:51], v26, off
.LBB179_114:
	s_or_b64 exec, exec, s[4:5]
	v_cmp_lt_u32_e32 vcc, v7, v17
	s_or_b64 s[6:7], s[40:41], vcc
	s_and_saveexec_b64 s[4:5], s[6:7]
	s_cbranch_execz .LBB179_117
; %bb.115:
	v_and_b32_e32 v33, 1, v44
	v_cmp_eq_u32_e32 vcc, 1, v33
	s_and_b64 exec, exec, vcc
	s_cbranch_execz .LBB179_117
; %bb.116:
	v_mov_b32_e32 v51, 0
	v_mov_b32_e32 v50, v7
	v_lshl_add_u64 v[50:51], v[50:51], 2, s[0:1]
	global_store_dword v[50:51], v27, off
.LBB179_117:
	s_or_b64 exec, exec, s[4:5]
	v_cmp_lt_u32_e32 vcc, v8, v17
	s_or_b64 s[6:7], s[40:41], vcc
	s_and_saveexec_b64 s[4:5], s[6:7]
	s_cbranch_execz .LBB179_120
; %bb.118:
	v_and_b32_e32 v33, 1, v43
	v_cmp_eq_u32_e32 vcc, 1, v33
	s_and_b64 exec, exec, vcc
	s_cbranch_execz .LBB179_120
; %bb.119:
	v_mov_b32_e32 v51, 0
	v_mov_b32_e32 v50, v8
	v_lshl_add_u64 v[50:51], v[50:51], 2, s[0:1]
	global_store_dword v[50:51], v24, off
.LBB179_120:
	s_or_b64 exec, exec, s[4:5]
	v_cmp_lt_u32_e32 vcc, v9, v17
	s_or_b64 s[6:7], s[40:41], vcc
	s_and_saveexec_b64 s[4:5], s[6:7]
	s_cbranch_execz .LBB179_123
; %bb.121:
	v_and_b32_e32 v33, 1, v42
	v_cmp_eq_u32_e32 vcc, 1, v33
	s_and_b64 exec, exec, vcc
	s_cbranch_execz .LBB179_123
; %bb.122:
	v_mov_b32_e32 v51, 0
	v_mov_b32_e32 v50, v9
	v_lshl_add_u64 v[50:51], v[50:51], 2, s[0:1]
	global_store_dword v[50:51], v25, off
.LBB179_123:
	s_or_b64 exec, exec, s[4:5]
	v_cmp_lt_u32_e32 vcc, v10, v17
	s_or_b64 s[6:7], s[40:41], vcc
	s_and_saveexec_b64 s[4:5], s[6:7]
	s_cbranch_execz .LBB179_126
; %bb.124:
	v_and_b32_e32 v33, 1, v41
	v_cmp_eq_u32_e32 vcc, 1, v33
	s_and_b64 exec, exec, vcc
	s_cbranch_execz .LBB179_126
; %bb.125:
	v_mov_b32_e32 v51, 0
	v_mov_b32_e32 v50, v10
	v_lshl_add_u64 v[50:51], v[50:51], 2, s[0:1]
	global_store_dword v[50:51], v22, off
.LBB179_126:
	s_or_b64 exec, exec, s[4:5]
	v_cmp_lt_u32_e32 vcc, v11, v17
	s_or_b64 s[6:7], s[40:41], vcc
	s_and_saveexec_b64 s[4:5], s[6:7]
	s_cbranch_execz .LBB179_129
; %bb.127:
	v_and_b32_e32 v33, 1, v40
	v_cmp_eq_u32_e32 vcc, 1, v33
	s_and_b64 exec, exec, vcc
	s_cbranch_execz .LBB179_129
; %bb.128:
	v_mov_b32_e32 v51, 0
	v_mov_b32_e32 v50, v11
	v_lshl_add_u64 v[50:51], v[50:51], 2, s[0:1]
	global_store_dword v[50:51], v23, off
.LBB179_129:
	s_or_b64 exec, exec, s[4:5]
	v_cmp_lt_u32_e32 vcc, v12, v17
	s_or_b64 s[6:7], s[40:41], vcc
	s_and_saveexec_b64 s[4:5], s[6:7]
	s_cbranch_execz .LBB179_132
; %bb.130:
	v_and_b32_e32 v33, 1, v39
	v_cmp_eq_u32_e32 vcc, 1, v33
	s_and_b64 exec, exec, vcc
	s_cbranch_execz .LBB179_132
; %bb.131:
	v_mov_b32_e32 v51, 0
	v_mov_b32_e32 v50, v12
	v_lshl_add_u64 v[50:51], v[50:51], 2, s[0:1]
	global_store_dword v[50:51], v20, off
.LBB179_132:
	s_or_b64 exec, exec, s[4:5]
	v_cmp_lt_u32_e32 vcc, v13, v17
	s_or_b64 s[6:7], s[40:41], vcc
	s_and_saveexec_b64 s[4:5], s[6:7]
	s_cbranch_execz .LBB179_135
; %bb.133:
	v_and_b32_e32 v33, 1, v38
	v_cmp_eq_u32_e32 vcc, 1, v33
	s_and_b64 exec, exec, vcc
	s_cbranch_execz .LBB179_135
; %bb.134:
	v_mov_b32_e32 v51, 0
	v_mov_b32_e32 v50, v13
	v_lshl_add_u64 v[50:51], v[50:51], 2, s[0:1]
	global_store_dword v[50:51], v21, off
.LBB179_135:
	s_or_b64 exec, exec, s[4:5]
	v_cmp_lt_u32_e32 vcc, v14, v17
	s_or_b64 s[6:7], s[40:41], vcc
	s_and_saveexec_b64 s[4:5], s[6:7]
	s_cbranch_execz .LBB179_138
; %bb.136:
	v_and_b32_e32 v33, 1, v37
	v_cmp_eq_u32_e32 vcc, 1, v33
	s_and_b64 exec, exec, vcc
	s_cbranch_execz .LBB179_138
; %bb.137:
	v_mov_b32_e32 v51, 0
	v_mov_b32_e32 v50, v14
	v_lshl_add_u64 v[50:51], v[50:51], 2, s[0:1]
	global_store_dword v[50:51], v18, off
.LBB179_138:
	s_or_b64 exec, exec, s[4:5]
	v_cmp_lt_u32_e32 vcc, v15, v17
	s_or_b64 s[6:7], s[40:41], vcc
	s_and_saveexec_b64 s[4:5], s[6:7]
	s_cbranch_execz .LBB179_141
; %bb.139:
	v_and_b32_e32 v33, 1, v36
	v_cmp_eq_u32_e32 vcc, 1, v33
	s_and_b64 exec, exec, vcc
	s_cbranch_execz .LBB179_141
; %bb.140:
	v_mov_b32_e32 v51, 0
	v_mov_b32_e32 v50, v15
	v_lshl_add_u64 v[50:51], v[50:51], 2, s[0:1]
	global_store_dword v[50:51], v19, off
.LBB179_141:
	s_or_b64 exec, exec, s[4:5]
	v_cmp_lt_u32_e32 vcc, v16, v17
	s_or_b64 s[6:7], s[40:41], vcc
	s_and_saveexec_b64 s[4:5], s[6:7]
	s_cbranch_execz .LBB179_144
; %bb.142:
	v_and_b32_e32 v17, 1, v35
	v_cmp_eq_u32_e32 vcc, 1, v17
	s_and_b64 exec, exec, vcc
	s_cbranch_execz .LBB179_144
; %bb.143:
	v_mov_b32_e32 v17, 0
	v_lshl_add_u64 v[50:51], v[16:17], 2, s[0:1]
	global_store_dword v[50:51], v1, off
.LBB179_144:
	s_or_b64 exec, exec, s[4:5]
	s_branch .LBB179_97
.LBB179_145:
	v_and_b32_e32 v17, 1, v49
	v_cmp_eq_u32_e32 vcc, 1, v17
	s_and_saveexec_b64 s[0:1], vcc
	s_cbranch_execz .LBB179_147
; %bb.146:
	v_sub_u32_e32 v2, v2, v34
	v_lshlrev_b32_e32 v2, 2, v2
	ds_write_b32 v2, v30
.LBB179_147:
	s_or_b64 exec, exec, s[0:1]
	v_and_b32_e32 v2, 1, v48
	v_cmp_eq_u32_e32 vcc, 1, v2
	s_and_saveexec_b64 s[0:1], vcc
	s_cbranch_execz .LBB179_149
; %bb.148:
	v_sub_u32_e32 v2, v3, v34
	v_lshlrev_b32_e32 v2, 2, v2
	ds_write_b32 v2, v31
.LBB179_149:
	s_or_b64 exec, exec, s[0:1]
	v_and_b32_e32 v2, 1, v47
	v_cmp_eq_u32_e32 vcc, 1, v2
	s_and_saveexec_b64 s[0:1], vcc
	s_cbranch_execz .LBB179_151
; %bb.150:
	v_sub_u32_e32 v2, v4, v34
	v_lshlrev_b32_e32 v2, 2, v2
	ds_write_b32 v2, v28
.LBB179_151:
	s_or_b64 exec, exec, s[0:1]
	v_and_b32_e32 v2, 1, v46
	v_cmp_eq_u32_e32 vcc, 1, v2
	s_and_saveexec_b64 s[0:1], vcc
	s_cbranch_execz .LBB179_153
; %bb.152:
	v_sub_u32_e32 v2, v5, v34
	v_lshlrev_b32_e32 v2, 2, v2
	ds_write_b32 v2, v29
.LBB179_153:
	s_or_b64 exec, exec, s[0:1]
	v_and_b32_e32 v2, 1, v45
	v_cmp_eq_u32_e32 vcc, 1, v2
	s_and_saveexec_b64 s[0:1], vcc
	s_cbranch_execz .LBB179_155
; %bb.154:
	v_sub_u32_e32 v2, v6, v34
	v_lshlrev_b32_e32 v2, 2, v2
	ds_write_b32 v2, v26
.LBB179_155:
	s_or_b64 exec, exec, s[0:1]
	v_and_b32_e32 v2, 1, v44
	v_cmp_eq_u32_e32 vcc, 1, v2
	s_and_saveexec_b64 s[0:1], vcc
	s_cbranch_execz .LBB179_157
; %bb.156:
	v_sub_u32_e32 v2, v7, v34
	v_lshlrev_b32_e32 v2, 2, v2
	ds_write_b32 v2, v27
.LBB179_157:
	s_or_b64 exec, exec, s[0:1]
	v_and_b32_e32 v2, 1, v43
	v_cmp_eq_u32_e32 vcc, 1, v2
	s_and_saveexec_b64 s[0:1], vcc
	s_cbranch_execz .LBB179_159
; %bb.158:
	v_sub_u32_e32 v2, v8, v34
	v_lshlrev_b32_e32 v2, 2, v2
	ds_write_b32 v2, v24
.LBB179_159:
	s_or_b64 exec, exec, s[0:1]
	v_and_b32_e32 v2, 1, v42
	v_cmp_eq_u32_e32 vcc, 1, v2
	s_and_saveexec_b64 s[0:1], vcc
	s_cbranch_execz .LBB179_161
; %bb.160:
	v_sub_u32_e32 v2, v9, v34
	v_lshlrev_b32_e32 v2, 2, v2
	ds_write_b32 v2, v25
.LBB179_161:
	s_or_b64 exec, exec, s[0:1]
	v_and_b32_e32 v2, 1, v41
	v_cmp_eq_u32_e32 vcc, 1, v2
	s_and_saveexec_b64 s[0:1], vcc
	s_cbranch_execz .LBB179_163
; %bb.162:
	v_sub_u32_e32 v2, v10, v34
	v_lshlrev_b32_e32 v2, 2, v2
	ds_write_b32 v2, v22
.LBB179_163:
	s_or_b64 exec, exec, s[0:1]
	v_and_b32_e32 v2, 1, v40
	v_cmp_eq_u32_e32 vcc, 1, v2
	s_and_saveexec_b64 s[0:1], vcc
	s_cbranch_execz .LBB179_165
; %bb.164:
	v_sub_u32_e32 v2, v11, v34
	v_lshlrev_b32_e32 v2, 2, v2
	ds_write_b32 v2, v23
.LBB179_165:
	s_or_b64 exec, exec, s[0:1]
	v_and_b32_e32 v2, 1, v39
	v_cmp_eq_u32_e32 vcc, 1, v2
	s_and_saveexec_b64 s[0:1], vcc
	s_cbranch_execz .LBB179_167
; %bb.166:
	v_sub_u32_e32 v2, v12, v34
	v_lshlrev_b32_e32 v2, 2, v2
	ds_write_b32 v2, v20
.LBB179_167:
	s_or_b64 exec, exec, s[0:1]
	v_and_b32_e32 v2, 1, v38
	v_cmp_eq_u32_e32 vcc, 1, v2
	s_and_saveexec_b64 s[0:1], vcc
	s_cbranch_execz .LBB179_169
; %bb.168:
	v_sub_u32_e32 v2, v13, v34
	v_lshlrev_b32_e32 v2, 2, v2
	ds_write_b32 v2, v21
.LBB179_169:
	s_or_b64 exec, exec, s[0:1]
	v_and_b32_e32 v2, 1, v37
	v_cmp_eq_u32_e32 vcc, 1, v2
	s_and_saveexec_b64 s[0:1], vcc
	s_cbranch_execz .LBB179_171
; %bb.170:
	v_sub_u32_e32 v2, v14, v34
	v_lshlrev_b32_e32 v2, 2, v2
	ds_write_b32 v2, v18
.LBB179_171:
	s_or_b64 exec, exec, s[0:1]
	v_and_b32_e32 v2, 1, v36
	v_cmp_eq_u32_e32 vcc, 1, v2
	s_and_saveexec_b64 s[0:1], vcc
	s_cbranch_execz .LBB179_173
; %bb.172:
	v_sub_u32_e32 v2, v15, v34
	v_lshlrev_b32_e32 v2, 2, v2
	ds_write_b32 v2, v19
.LBB179_173:
	s_or_b64 exec, exec, s[0:1]
	v_and_b32_e32 v2, 1, v35
	v_cmp_eq_u32_e32 vcc, 1, v2
	s_and_saveexec_b64 s[0:1], vcc
	s_cbranch_execz .LBB179_175
; %bb.174:
	v_sub_u32_e32 v2, v16, v34
	v_lshlrev_b32_e32 v2, 2, v2
	ds_write_b32 v2, v1
.LBB179_175:
	s_or_b64 exec, exec, s[0:1]
	v_cmp_lt_u32_e32 vcc, v0, v32
	s_waitcnt lgkmcnt(0)
	s_barrier
	s_and_saveexec_b64 s[0:1], vcc
	s_cbranch_execz .LBB179_188
; %bb.176:
	s_lshl_b64 s[4:5], s[34:35], 2
	v_mov_b32_e32 v35, 0
	s_add_u32 s2, s2, s4
	s_addc_u32 s3, s3, s5
	v_lshlrev_b64 v[2:3], 2, v[34:35]
	v_lshl_add_u64 v[2:3], s[2:3], 0, v[2:3]
	v_xad_u32 v1, v0, -1, v32
	s_movk_i32 s2, 0x1ff
	v_cmp_lt_u32_e32 vcc, s2, v1
	s_mov_b64 s[4:5], -1
	v_mov_b32_e32 v4, v0
	s_and_saveexec_b64 s[2:3], vcc
	s_cbranch_execz .LBB179_185
; %bb.177:
	v_lshrrev_b32_e32 v8, 9, v1
	v_add_u32_e32 v4, -1, v8
	v_or_b32_e32 v1, 0x200, v0
	v_lshrrev_b32_e32 v5, 1, v4
	v_add_u32_e32 v10, 1, v5
	v_cmp_lt_u32_e32 vcc, 13, v4
	v_lshlrev_b32_e32 v9, 2, v0
	v_mov_b64_e32 v[4:5], v[0:1]
	s_and_saveexec_b64 s[4:5], vcc
	s_cbranch_execz .LBB179_181
; %bb.178:
	v_and_b32_e32 v11, -8, v10
	s_mov_b32 s8, 0
	s_mov_b64 s[6:7], 0
	v_mov_b32_e32 v7, 0
	v_mov_b32_e32 v12, v9
	v_mov_b64_e32 v[4:5], v[0:1]
.LBB179_179:                            ; =>This Inner Loop Header: Depth=1
	ds_read2st64_b32 v[14:15], v12 offset1:8
	v_mov_b32_e32 v6, v4
	ds_read2st64_b32 v[26:27], v12 offset0:48 offset1:56
	v_lshl_add_u64 v[48:49], v[6:7], 2, v[2:3]
	v_mov_b32_e32 v6, v5
	ds_read2st64_b32 v[18:19], v12 offset0:16 offset1:24
	ds_read2st64_b32 v[30:31], v12 offset0:64 offset1:72
	v_lshl_add_u64 v[50:51], v[6:7], 2, v[2:3]
	v_add_u32_e32 v6, 0x400, v4
	ds_read2st64_b32 v[38:39], v12 offset0:80 offset1:88
	v_lshl_add_u64 v[52:53], v[6:7], 2, v[2:3]
	v_add_u32_e32 v6, 0x800, v4
	v_add_u32_e32 v16, 0x400, v5
	v_mov_b32_e32 v17, v7
	v_add_u32_e32 v20, 0x800, v5
	ds_read2st64_b32 v[22:23], v12 offset0:32 offset1:40
	v_mov_b32_e32 v21, v7
	ds_read2st64_b32 v[42:43], v12 offset0:96 offset1:104
	v_lshl_add_u64 v[54:55], v[6:7], 2, v[2:3]
	v_add_u32_e32 v6, 0xc00, v4
	v_add_u32_e32 v24, 0xc00, v5
	v_mov_b32_e32 v25, v7
	ds_read2st64_b32 v[46:47], v12 offset0:112 offset1:120
	v_lshl_add_u64 v[16:17], v[16:17], 2, v[2:3]
	v_lshl_add_u64 v[20:21], v[20:21], 2, v[2:3]
	s_waitcnt lgkmcnt(7)
	global_store_dword v[48:49], v14, off
	global_store_dword v[50:51], v15, off
	s_waitcnt lgkmcnt(5)
	global_store_dword v[52:53], v18, off
	global_store_dword v[16:17], v19, off
	;; [unrolled: 3-line block ×3, first 2 shown]
	v_lshl_add_u64 v[14:15], v[6:7], 2, v[2:3]
	v_add_u32_e32 v6, 0x1000, v4
	v_add_u32_e32 v28, 0x1000, v5
	v_mov_b32_e32 v29, v7
	v_lshl_add_u64 v[24:25], v[24:25], 2, v[2:3]
	global_store_dword v[14:15], v26, off
	global_store_dword v[24:25], v27, off
	v_lshl_add_u64 v[14:15], v[6:7], 2, v[2:3]
	v_add_u32_e32 v6, 0x1400, v4
	v_add_u32_e32 v36, 0x1400, v5
	v_mov_b32_e32 v37, v7
	v_add_u32_e32 v11, -8, v11
	v_lshl_add_u64 v[28:29], v[28:29], 2, v[2:3]
	global_store_dword v[14:15], v30, off
	global_store_dword v[28:29], v31, off
	v_lshl_add_u64 v[14:15], v[6:7], 2, v[2:3]
	v_add_u32_e32 v6, 0x1800, v4
	v_add_u32_e32 v40, 0x1800, v5
	v_mov_b32_e32 v41, v7
	s_add_i32 s8, s8, 16
	v_lshl_add_u64 v[36:37], v[36:37], 2, v[2:3]
	v_cmp_eq_u32_e32 vcc, 0, v11
	global_store_dword v[14:15], v38, off
	global_store_dword v[36:37], v39, off
	v_lshl_add_u64 v[14:15], v[6:7], 2, v[2:3]
	v_add_u32_e32 v6, 0x1c00, v4
	v_add_u32_e32 v44, 0x1c00, v5
	v_mov_b32_e32 v45, v7
	v_add_u32_e32 v12, 0x8000, v12
	v_lshl_add_u64 v[40:41], v[40:41], 2, v[2:3]
	v_add_u32_e32 v5, 0x2000, v5
	v_mov_b32_e32 v35, s8
	s_or_b64 s[6:7], vcc, s[6:7]
	v_add_u32_e32 v4, 0x2000, v4
	s_waitcnt lgkmcnt(1)
	global_store_dword v[14:15], v42, off
	global_store_dword v[40:41], v43, off
	v_lshl_add_u64 v[14:15], v[6:7], 2, v[2:3]
	v_lshl_add_u64 v[44:45], v[44:45], 2, v[2:3]
	s_waitcnt lgkmcnt(0)
	global_store_dword v[14:15], v46, off
	global_store_dword v[44:45], v47, off
	s_andn2_b64 exec, exec, s[6:7]
	s_cbranch_execnz .LBB179_179
; %bb.180:
	s_or_b64 exec, exec, s[6:7]
.LBB179_181:
	s_or_b64 exec, exec, s[4:5]
	v_and_b32_e32 v1, 7, v10
	v_cmp_ne_u32_e32 vcc, 0, v1
	s_and_saveexec_b64 s[4:5], vcc
	s_cbranch_execz .LBB179_184
; %bb.182:
	v_lshl_or_b32 v9, v35, 11, v9
	s_mov_b64 s[6:7], 0
	v_mov_b32_e32 v7, 0
.LBB179_183:                            ; =>This Inner Loop Header: Depth=1
	ds_read2st64_b32 v[10:11], v9 offset1:8
	v_add_u32_e32 v1, -1, v1
	v_mov_b32_e32 v6, v4
	v_cmp_eq_u32_e32 vcc, 0, v1
	v_add_u32_e32 v4, 0x400, v4
	v_add_u32_e32 v9, 0x1000, v9
	v_lshl_add_u64 v[12:13], v[6:7], 2, v[2:3]
	v_mov_b32_e32 v6, v5
	v_add_u32_e32 v5, 0x400, v5
	s_or_b64 s[6:7], vcc, s[6:7]
	v_lshl_add_u64 v[14:15], v[6:7], 2, v[2:3]
	s_waitcnt lgkmcnt(0)
	global_store_dword v[12:13], v10, off
	global_store_dword v[14:15], v11, off
	s_andn2_b64 exec, exec, s[6:7]
	s_cbranch_execnz .LBB179_183
.LBB179_184:
	s_or_b64 exec, exec, s[4:5]
	v_add_u32_e32 v1, 1, v8
	v_and_b32_e32 v5, 0xfffffe, v1
	v_cmp_ne_u32_e32 vcc, v1, v5
	v_lshl_or_b32 v4, v5, 9, v0
	s_orn2_b64 s[4:5], vcc, exec
.LBB179_185:
	s_or_b64 exec, exec, s[2:3]
	s_and_b64 exec, exec, s[4:5]
	s_cbranch_execz .LBB179_188
; %bb.186:
	v_lshlrev_b32_e32 v1, 2, v4
	s_mov_b64 s[2:3], 0
	v_mov_b32_e32 v5, 0
.LBB179_187:                            ; =>This Inner Loop Header: Depth=1
	ds_read_b32 v8, v1
	v_lshl_add_u64 v[6:7], v[4:5], 2, v[2:3]
	v_add_u32_e32 v4, 0x200, v4
	v_cmp_ge_u32_e32 vcc, v4, v32
	v_add_u32_e32 v1, 0x800, v1
	s_or_b64 s[2:3], vcc, s[2:3]
	s_waitcnt lgkmcnt(0)
	global_store_dword v[6:7], v8, off
	s_andn2_b64 exec, exec, s[2:3]
	s_cbranch_execnz .LBB179_187
.LBB179_188:
	s_or_b64 exec, exec, s[0:1]
	v_cmp_eq_u32_e32 vcc, 0, v0
	s_and_b64 s[0:1], vcc, s[38:39]
	s_and_saveexec_b64 s[2:3], s[0:1]
	s_cbranch_execz .LBB179_98
.LBB179_189:
	v_mov_b32_e32 v33, 0
	v_lshl_add_u64 v[0:1], s[34:35], 0, v[32:33]
	v_mov_b32_e32 v35, v33
	v_lshl_add_u64 v[0:1], v[0:1], 0, v[34:35]
	global_store_dwordx2 v33, v[0:1], s[36:37]
	s_endpgm
	.section	.rodata,"a",@progbits
	.p2align	6, 0x0
	.amdhsa_kernel _ZN7rocprim17ROCPRIM_400000_NS6detail17trampoline_kernelINS0_14default_configENS1_25partition_config_selectorILNS1_17partition_subalgoE8EiNS0_10empty_typeEbEEZZNS1_14partition_implILS5_8ELb0ES3_jPKiPS6_PKS6_NS0_5tupleIJPiS6_EEENSE_IJSB_SB_EEENS0_18inequality_wrapperIN6hipcub16HIPCUB_304000_NS8EqualityEEEPlJS6_EEE10hipError_tPvRmT3_T4_T5_T6_T7_T9_mT8_P12ihipStream_tbDpT10_ENKUlT_T0_E_clISt17integral_constantIbLb0EES17_EEDaS12_S13_EUlS12_E_NS1_11comp_targetILNS1_3genE5ELNS1_11target_archE942ELNS1_3gpuE9ELNS1_3repE0EEENS1_30default_config_static_selectorELNS0_4arch9wavefront6targetE1EEEvT1_
		.amdhsa_group_segment_fixed_size 30728
		.amdhsa_private_segment_fixed_size 0
		.amdhsa_kernarg_size 112
		.amdhsa_user_sgpr_count 2
		.amdhsa_user_sgpr_dispatch_ptr 0
		.amdhsa_user_sgpr_queue_ptr 0
		.amdhsa_user_sgpr_kernarg_segment_ptr 1
		.amdhsa_user_sgpr_dispatch_id 0
		.amdhsa_user_sgpr_kernarg_preload_length 0
		.amdhsa_user_sgpr_kernarg_preload_offset 0
		.amdhsa_user_sgpr_private_segment_size 0
		.amdhsa_uses_dynamic_stack 0
		.amdhsa_enable_private_segment 0
		.amdhsa_system_sgpr_workgroup_id_x 1
		.amdhsa_system_sgpr_workgroup_id_y 0
		.amdhsa_system_sgpr_workgroup_id_z 0
		.amdhsa_system_sgpr_workgroup_info 0
		.amdhsa_system_vgpr_workitem_id 0
		.amdhsa_next_free_vgpr 74
		.amdhsa_next_free_sgpr 48
		.amdhsa_accum_offset 76
		.amdhsa_reserve_vcc 1
		.amdhsa_float_round_mode_32 0
		.amdhsa_float_round_mode_16_64 0
		.amdhsa_float_denorm_mode_32 3
		.amdhsa_float_denorm_mode_16_64 3
		.amdhsa_dx10_clamp 1
		.amdhsa_ieee_mode 1
		.amdhsa_fp16_overflow 0
		.amdhsa_tg_split 0
		.amdhsa_exception_fp_ieee_invalid_op 0
		.amdhsa_exception_fp_denorm_src 0
		.amdhsa_exception_fp_ieee_div_zero 0
		.amdhsa_exception_fp_ieee_overflow 0
		.amdhsa_exception_fp_ieee_underflow 0
		.amdhsa_exception_fp_ieee_inexact 0
		.amdhsa_exception_int_div_zero 0
	.end_amdhsa_kernel
	.section	.text._ZN7rocprim17ROCPRIM_400000_NS6detail17trampoline_kernelINS0_14default_configENS1_25partition_config_selectorILNS1_17partition_subalgoE8EiNS0_10empty_typeEbEEZZNS1_14partition_implILS5_8ELb0ES3_jPKiPS6_PKS6_NS0_5tupleIJPiS6_EEENSE_IJSB_SB_EEENS0_18inequality_wrapperIN6hipcub16HIPCUB_304000_NS8EqualityEEEPlJS6_EEE10hipError_tPvRmT3_T4_T5_T6_T7_T9_mT8_P12ihipStream_tbDpT10_ENKUlT_T0_E_clISt17integral_constantIbLb0EES17_EEDaS12_S13_EUlS12_E_NS1_11comp_targetILNS1_3genE5ELNS1_11target_archE942ELNS1_3gpuE9ELNS1_3repE0EEENS1_30default_config_static_selectorELNS0_4arch9wavefront6targetE1EEEvT1_,"axG",@progbits,_ZN7rocprim17ROCPRIM_400000_NS6detail17trampoline_kernelINS0_14default_configENS1_25partition_config_selectorILNS1_17partition_subalgoE8EiNS0_10empty_typeEbEEZZNS1_14partition_implILS5_8ELb0ES3_jPKiPS6_PKS6_NS0_5tupleIJPiS6_EEENSE_IJSB_SB_EEENS0_18inequality_wrapperIN6hipcub16HIPCUB_304000_NS8EqualityEEEPlJS6_EEE10hipError_tPvRmT3_T4_T5_T6_T7_T9_mT8_P12ihipStream_tbDpT10_ENKUlT_T0_E_clISt17integral_constantIbLb0EES17_EEDaS12_S13_EUlS12_E_NS1_11comp_targetILNS1_3genE5ELNS1_11target_archE942ELNS1_3gpuE9ELNS1_3repE0EEENS1_30default_config_static_selectorELNS0_4arch9wavefront6targetE1EEEvT1_,comdat
.Lfunc_end179:
	.size	_ZN7rocprim17ROCPRIM_400000_NS6detail17trampoline_kernelINS0_14default_configENS1_25partition_config_selectorILNS1_17partition_subalgoE8EiNS0_10empty_typeEbEEZZNS1_14partition_implILS5_8ELb0ES3_jPKiPS6_PKS6_NS0_5tupleIJPiS6_EEENSE_IJSB_SB_EEENS0_18inequality_wrapperIN6hipcub16HIPCUB_304000_NS8EqualityEEEPlJS6_EEE10hipError_tPvRmT3_T4_T5_T6_T7_T9_mT8_P12ihipStream_tbDpT10_ENKUlT_T0_E_clISt17integral_constantIbLb0EES17_EEDaS12_S13_EUlS12_E_NS1_11comp_targetILNS1_3genE5ELNS1_11target_archE942ELNS1_3gpuE9ELNS1_3repE0EEENS1_30default_config_static_selectorELNS0_4arch9wavefront6targetE1EEEvT1_, .Lfunc_end179-_ZN7rocprim17ROCPRIM_400000_NS6detail17trampoline_kernelINS0_14default_configENS1_25partition_config_selectorILNS1_17partition_subalgoE8EiNS0_10empty_typeEbEEZZNS1_14partition_implILS5_8ELb0ES3_jPKiPS6_PKS6_NS0_5tupleIJPiS6_EEENSE_IJSB_SB_EEENS0_18inequality_wrapperIN6hipcub16HIPCUB_304000_NS8EqualityEEEPlJS6_EEE10hipError_tPvRmT3_T4_T5_T6_T7_T9_mT8_P12ihipStream_tbDpT10_ENKUlT_T0_E_clISt17integral_constantIbLb0EES17_EEDaS12_S13_EUlS12_E_NS1_11comp_targetILNS1_3genE5ELNS1_11target_archE942ELNS1_3gpuE9ELNS1_3repE0EEENS1_30default_config_static_selectorELNS0_4arch9wavefront6targetE1EEEvT1_
                                        ; -- End function
	.section	.AMDGPU.csdata,"",@progbits
; Kernel info:
; codeLenInByte = 7852
; NumSgprs: 54
; NumVgprs: 74
; NumAgprs: 0
; TotalNumVgprs: 74
; ScratchSize: 0
; MemoryBound: 0
; FloatMode: 240
; IeeeMode: 1
; LDSByteSize: 30728 bytes/workgroup (compile time only)
; SGPRBlocks: 6
; VGPRBlocks: 9
; NumSGPRsForWavesPerEU: 54
; NumVGPRsForWavesPerEU: 74
; AccumOffset: 76
; Occupancy: 4
; WaveLimiterHint : 1
; COMPUTE_PGM_RSRC2:SCRATCH_EN: 0
; COMPUTE_PGM_RSRC2:USER_SGPR: 2
; COMPUTE_PGM_RSRC2:TRAP_HANDLER: 0
; COMPUTE_PGM_RSRC2:TGID_X_EN: 1
; COMPUTE_PGM_RSRC2:TGID_Y_EN: 0
; COMPUTE_PGM_RSRC2:TGID_Z_EN: 0
; COMPUTE_PGM_RSRC2:TIDIG_COMP_CNT: 0
; COMPUTE_PGM_RSRC3_GFX90A:ACCUM_OFFSET: 18
; COMPUTE_PGM_RSRC3_GFX90A:TG_SPLIT: 0
	.section	.text._ZN7rocprim17ROCPRIM_400000_NS6detail17trampoline_kernelINS0_14default_configENS1_25partition_config_selectorILNS1_17partition_subalgoE8EiNS0_10empty_typeEbEEZZNS1_14partition_implILS5_8ELb0ES3_jPKiPS6_PKS6_NS0_5tupleIJPiS6_EEENSE_IJSB_SB_EEENS0_18inequality_wrapperIN6hipcub16HIPCUB_304000_NS8EqualityEEEPlJS6_EEE10hipError_tPvRmT3_T4_T5_T6_T7_T9_mT8_P12ihipStream_tbDpT10_ENKUlT_T0_E_clISt17integral_constantIbLb0EES17_EEDaS12_S13_EUlS12_E_NS1_11comp_targetILNS1_3genE4ELNS1_11target_archE910ELNS1_3gpuE8ELNS1_3repE0EEENS1_30default_config_static_selectorELNS0_4arch9wavefront6targetE1EEEvT1_,"axG",@progbits,_ZN7rocprim17ROCPRIM_400000_NS6detail17trampoline_kernelINS0_14default_configENS1_25partition_config_selectorILNS1_17partition_subalgoE8EiNS0_10empty_typeEbEEZZNS1_14partition_implILS5_8ELb0ES3_jPKiPS6_PKS6_NS0_5tupleIJPiS6_EEENSE_IJSB_SB_EEENS0_18inequality_wrapperIN6hipcub16HIPCUB_304000_NS8EqualityEEEPlJS6_EEE10hipError_tPvRmT3_T4_T5_T6_T7_T9_mT8_P12ihipStream_tbDpT10_ENKUlT_T0_E_clISt17integral_constantIbLb0EES17_EEDaS12_S13_EUlS12_E_NS1_11comp_targetILNS1_3genE4ELNS1_11target_archE910ELNS1_3gpuE8ELNS1_3repE0EEENS1_30default_config_static_selectorELNS0_4arch9wavefront6targetE1EEEvT1_,comdat
	.protected	_ZN7rocprim17ROCPRIM_400000_NS6detail17trampoline_kernelINS0_14default_configENS1_25partition_config_selectorILNS1_17partition_subalgoE8EiNS0_10empty_typeEbEEZZNS1_14partition_implILS5_8ELb0ES3_jPKiPS6_PKS6_NS0_5tupleIJPiS6_EEENSE_IJSB_SB_EEENS0_18inequality_wrapperIN6hipcub16HIPCUB_304000_NS8EqualityEEEPlJS6_EEE10hipError_tPvRmT3_T4_T5_T6_T7_T9_mT8_P12ihipStream_tbDpT10_ENKUlT_T0_E_clISt17integral_constantIbLb0EES17_EEDaS12_S13_EUlS12_E_NS1_11comp_targetILNS1_3genE4ELNS1_11target_archE910ELNS1_3gpuE8ELNS1_3repE0EEENS1_30default_config_static_selectorELNS0_4arch9wavefront6targetE1EEEvT1_ ; -- Begin function _ZN7rocprim17ROCPRIM_400000_NS6detail17trampoline_kernelINS0_14default_configENS1_25partition_config_selectorILNS1_17partition_subalgoE8EiNS0_10empty_typeEbEEZZNS1_14partition_implILS5_8ELb0ES3_jPKiPS6_PKS6_NS0_5tupleIJPiS6_EEENSE_IJSB_SB_EEENS0_18inequality_wrapperIN6hipcub16HIPCUB_304000_NS8EqualityEEEPlJS6_EEE10hipError_tPvRmT3_T4_T5_T6_T7_T9_mT8_P12ihipStream_tbDpT10_ENKUlT_T0_E_clISt17integral_constantIbLb0EES17_EEDaS12_S13_EUlS12_E_NS1_11comp_targetILNS1_3genE4ELNS1_11target_archE910ELNS1_3gpuE8ELNS1_3repE0EEENS1_30default_config_static_selectorELNS0_4arch9wavefront6targetE1EEEvT1_
	.globl	_ZN7rocprim17ROCPRIM_400000_NS6detail17trampoline_kernelINS0_14default_configENS1_25partition_config_selectorILNS1_17partition_subalgoE8EiNS0_10empty_typeEbEEZZNS1_14partition_implILS5_8ELb0ES3_jPKiPS6_PKS6_NS0_5tupleIJPiS6_EEENSE_IJSB_SB_EEENS0_18inequality_wrapperIN6hipcub16HIPCUB_304000_NS8EqualityEEEPlJS6_EEE10hipError_tPvRmT3_T4_T5_T6_T7_T9_mT8_P12ihipStream_tbDpT10_ENKUlT_T0_E_clISt17integral_constantIbLb0EES17_EEDaS12_S13_EUlS12_E_NS1_11comp_targetILNS1_3genE4ELNS1_11target_archE910ELNS1_3gpuE8ELNS1_3repE0EEENS1_30default_config_static_selectorELNS0_4arch9wavefront6targetE1EEEvT1_
	.p2align	8
	.type	_ZN7rocprim17ROCPRIM_400000_NS6detail17trampoline_kernelINS0_14default_configENS1_25partition_config_selectorILNS1_17partition_subalgoE8EiNS0_10empty_typeEbEEZZNS1_14partition_implILS5_8ELb0ES3_jPKiPS6_PKS6_NS0_5tupleIJPiS6_EEENSE_IJSB_SB_EEENS0_18inequality_wrapperIN6hipcub16HIPCUB_304000_NS8EqualityEEEPlJS6_EEE10hipError_tPvRmT3_T4_T5_T6_T7_T9_mT8_P12ihipStream_tbDpT10_ENKUlT_T0_E_clISt17integral_constantIbLb0EES17_EEDaS12_S13_EUlS12_E_NS1_11comp_targetILNS1_3genE4ELNS1_11target_archE910ELNS1_3gpuE8ELNS1_3repE0EEENS1_30default_config_static_selectorELNS0_4arch9wavefront6targetE1EEEvT1_,@function
_ZN7rocprim17ROCPRIM_400000_NS6detail17trampoline_kernelINS0_14default_configENS1_25partition_config_selectorILNS1_17partition_subalgoE8EiNS0_10empty_typeEbEEZZNS1_14partition_implILS5_8ELb0ES3_jPKiPS6_PKS6_NS0_5tupleIJPiS6_EEENSE_IJSB_SB_EEENS0_18inequality_wrapperIN6hipcub16HIPCUB_304000_NS8EqualityEEEPlJS6_EEE10hipError_tPvRmT3_T4_T5_T6_T7_T9_mT8_P12ihipStream_tbDpT10_ENKUlT_T0_E_clISt17integral_constantIbLb0EES17_EEDaS12_S13_EUlS12_E_NS1_11comp_targetILNS1_3genE4ELNS1_11target_archE910ELNS1_3gpuE8ELNS1_3repE0EEENS1_30default_config_static_selectorELNS0_4arch9wavefront6targetE1EEEvT1_: ; @_ZN7rocprim17ROCPRIM_400000_NS6detail17trampoline_kernelINS0_14default_configENS1_25partition_config_selectorILNS1_17partition_subalgoE8EiNS0_10empty_typeEbEEZZNS1_14partition_implILS5_8ELb0ES3_jPKiPS6_PKS6_NS0_5tupleIJPiS6_EEENSE_IJSB_SB_EEENS0_18inequality_wrapperIN6hipcub16HIPCUB_304000_NS8EqualityEEEPlJS6_EEE10hipError_tPvRmT3_T4_T5_T6_T7_T9_mT8_P12ihipStream_tbDpT10_ENKUlT_T0_E_clISt17integral_constantIbLb0EES17_EEDaS12_S13_EUlS12_E_NS1_11comp_targetILNS1_3genE4ELNS1_11target_archE910ELNS1_3gpuE8ELNS1_3repE0EEENS1_30default_config_static_selectorELNS0_4arch9wavefront6targetE1EEEvT1_
; %bb.0:
	.section	.rodata,"a",@progbits
	.p2align	6, 0x0
	.amdhsa_kernel _ZN7rocprim17ROCPRIM_400000_NS6detail17trampoline_kernelINS0_14default_configENS1_25partition_config_selectorILNS1_17partition_subalgoE8EiNS0_10empty_typeEbEEZZNS1_14partition_implILS5_8ELb0ES3_jPKiPS6_PKS6_NS0_5tupleIJPiS6_EEENSE_IJSB_SB_EEENS0_18inequality_wrapperIN6hipcub16HIPCUB_304000_NS8EqualityEEEPlJS6_EEE10hipError_tPvRmT3_T4_T5_T6_T7_T9_mT8_P12ihipStream_tbDpT10_ENKUlT_T0_E_clISt17integral_constantIbLb0EES17_EEDaS12_S13_EUlS12_E_NS1_11comp_targetILNS1_3genE4ELNS1_11target_archE910ELNS1_3gpuE8ELNS1_3repE0EEENS1_30default_config_static_selectorELNS0_4arch9wavefront6targetE1EEEvT1_
		.amdhsa_group_segment_fixed_size 0
		.amdhsa_private_segment_fixed_size 0
		.amdhsa_kernarg_size 112
		.amdhsa_user_sgpr_count 2
		.amdhsa_user_sgpr_dispatch_ptr 0
		.amdhsa_user_sgpr_queue_ptr 0
		.amdhsa_user_sgpr_kernarg_segment_ptr 1
		.amdhsa_user_sgpr_dispatch_id 0
		.amdhsa_user_sgpr_kernarg_preload_length 0
		.amdhsa_user_sgpr_kernarg_preload_offset 0
		.amdhsa_user_sgpr_private_segment_size 0
		.amdhsa_uses_dynamic_stack 0
		.amdhsa_enable_private_segment 0
		.amdhsa_system_sgpr_workgroup_id_x 1
		.amdhsa_system_sgpr_workgroup_id_y 0
		.amdhsa_system_sgpr_workgroup_id_z 0
		.amdhsa_system_sgpr_workgroup_info 0
		.amdhsa_system_vgpr_workitem_id 0
		.amdhsa_next_free_vgpr 1
		.amdhsa_next_free_sgpr 0
		.amdhsa_accum_offset 4
		.amdhsa_reserve_vcc 0
		.amdhsa_float_round_mode_32 0
		.amdhsa_float_round_mode_16_64 0
		.amdhsa_float_denorm_mode_32 3
		.amdhsa_float_denorm_mode_16_64 3
		.amdhsa_dx10_clamp 1
		.amdhsa_ieee_mode 1
		.amdhsa_fp16_overflow 0
		.amdhsa_tg_split 0
		.amdhsa_exception_fp_ieee_invalid_op 0
		.amdhsa_exception_fp_denorm_src 0
		.amdhsa_exception_fp_ieee_div_zero 0
		.amdhsa_exception_fp_ieee_overflow 0
		.amdhsa_exception_fp_ieee_underflow 0
		.amdhsa_exception_fp_ieee_inexact 0
		.amdhsa_exception_int_div_zero 0
	.end_amdhsa_kernel
	.section	.text._ZN7rocprim17ROCPRIM_400000_NS6detail17trampoline_kernelINS0_14default_configENS1_25partition_config_selectorILNS1_17partition_subalgoE8EiNS0_10empty_typeEbEEZZNS1_14partition_implILS5_8ELb0ES3_jPKiPS6_PKS6_NS0_5tupleIJPiS6_EEENSE_IJSB_SB_EEENS0_18inequality_wrapperIN6hipcub16HIPCUB_304000_NS8EqualityEEEPlJS6_EEE10hipError_tPvRmT3_T4_T5_T6_T7_T9_mT8_P12ihipStream_tbDpT10_ENKUlT_T0_E_clISt17integral_constantIbLb0EES17_EEDaS12_S13_EUlS12_E_NS1_11comp_targetILNS1_3genE4ELNS1_11target_archE910ELNS1_3gpuE8ELNS1_3repE0EEENS1_30default_config_static_selectorELNS0_4arch9wavefront6targetE1EEEvT1_,"axG",@progbits,_ZN7rocprim17ROCPRIM_400000_NS6detail17trampoline_kernelINS0_14default_configENS1_25partition_config_selectorILNS1_17partition_subalgoE8EiNS0_10empty_typeEbEEZZNS1_14partition_implILS5_8ELb0ES3_jPKiPS6_PKS6_NS0_5tupleIJPiS6_EEENSE_IJSB_SB_EEENS0_18inequality_wrapperIN6hipcub16HIPCUB_304000_NS8EqualityEEEPlJS6_EEE10hipError_tPvRmT3_T4_T5_T6_T7_T9_mT8_P12ihipStream_tbDpT10_ENKUlT_T0_E_clISt17integral_constantIbLb0EES17_EEDaS12_S13_EUlS12_E_NS1_11comp_targetILNS1_3genE4ELNS1_11target_archE910ELNS1_3gpuE8ELNS1_3repE0EEENS1_30default_config_static_selectorELNS0_4arch9wavefront6targetE1EEEvT1_,comdat
.Lfunc_end180:
	.size	_ZN7rocprim17ROCPRIM_400000_NS6detail17trampoline_kernelINS0_14default_configENS1_25partition_config_selectorILNS1_17partition_subalgoE8EiNS0_10empty_typeEbEEZZNS1_14partition_implILS5_8ELb0ES3_jPKiPS6_PKS6_NS0_5tupleIJPiS6_EEENSE_IJSB_SB_EEENS0_18inequality_wrapperIN6hipcub16HIPCUB_304000_NS8EqualityEEEPlJS6_EEE10hipError_tPvRmT3_T4_T5_T6_T7_T9_mT8_P12ihipStream_tbDpT10_ENKUlT_T0_E_clISt17integral_constantIbLb0EES17_EEDaS12_S13_EUlS12_E_NS1_11comp_targetILNS1_3genE4ELNS1_11target_archE910ELNS1_3gpuE8ELNS1_3repE0EEENS1_30default_config_static_selectorELNS0_4arch9wavefront6targetE1EEEvT1_, .Lfunc_end180-_ZN7rocprim17ROCPRIM_400000_NS6detail17trampoline_kernelINS0_14default_configENS1_25partition_config_selectorILNS1_17partition_subalgoE8EiNS0_10empty_typeEbEEZZNS1_14partition_implILS5_8ELb0ES3_jPKiPS6_PKS6_NS0_5tupleIJPiS6_EEENSE_IJSB_SB_EEENS0_18inequality_wrapperIN6hipcub16HIPCUB_304000_NS8EqualityEEEPlJS6_EEE10hipError_tPvRmT3_T4_T5_T6_T7_T9_mT8_P12ihipStream_tbDpT10_ENKUlT_T0_E_clISt17integral_constantIbLb0EES17_EEDaS12_S13_EUlS12_E_NS1_11comp_targetILNS1_3genE4ELNS1_11target_archE910ELNS1_3gpuE8ELNS1_3repE0EEENS1_30default_config_static_selectorELNS0_4arch9wavefront6targetE1EEEvT1_
                                        ; -- End function
	.section	.AMDGPU.csdata,"",@progbits
; Kernel info:
; codeLenInByte = 0
; NumSgprs: 6
; NumVgprs: 0
; NumAgprs: 0
; TotalNumVgprs: 0
; ScratchSize: 0
; MemoryBound: 0
; FloatMode: 240
; IeeeMode: 1
; LDSByteSize: 0 bytes/workgroup (compile time only)
; SGPRBlocks: 0
; VGPRBlocks: 0
; NumSGPRsForWavesPerEU: 6
; NumVGPRsForWavesPerEU: 1
; AccumOffset: 4
; Occupancy: 8
; WaveLimiterHint : 0
; COMPUTE_PGM_RSRC2:SCRATCH_EN: 0
; COMPUTE_PGM_RSRC2:USER_SGPR: 2
; COMPUTE_PGM_RSRC2:TRAP_HANDLER: 0
; COMPUTE_PGM_RSRC2:TGID_X_EN: 1
; COMPUTE_PGM_RSRC2:TGID_Y_EN: 0
; COMPUTE_PGM_RSRC2:TGID_Z_EN: 0
; COMPUTE_PGM_RSRC2:TIDIG_COMP_CNT: 0
; COMPUTE_PGM_RSRC3_GFX90A:ACCUM_OFFSET: 0
; COMPUTE_PGM_RSRC3_GFX90A:TG_SPLIT: 0
	.section	.text._ZN7rocprim17ROCPRIM_400000_NS6detail17trampoline_kernelINS0_14default_configENS1_25partition_config_selectorILNS1_17partition_subalgoE8EiNS0_10empty_typeEbEEZZNS1_14partition_implILS5_8ELb0ES3_jPKiPS6_PKS6_NS0_5tupleIJPiS6_EEENSE_IJSB_SB_EEENS0_18inequality_wrapperIN6hipcub16HIPCUB_304000_NS8EqualityEEEPlJS6_EEE10hipError_tPvRmT3_T4_T5_T6_T7_T9_mT8_P12ihipStream_tbDpT10_ENKUlT_T0_E_clISt17integral_constantIbLb0EES17_EEDaS12_S13_EUlS12_E_NS1_11comp_targetILNS1_3genE3ELNS1_11target_archE908ELNS1_3gpuE7ELNS1_3repE0EEENS1_30default_config_static_selectorELNS0_4arch9wavefront6targetE1EEEvT1_,"axG",@progbits,_ZN7rocprim17ROCPRIM_400000_NS6detail17trampoline_kernelINS0_14default_configENS1_25partition_config_selectorILNS1_17partition_subalgoE8EiNS0_10empty_typeEbEEZZNS1_14partition_implILS5_8ELb0ES3_jPKiPS6_PKS6_NS0_5tupleIJPiS6_EEENSE_IJSB_SB_EEENS0_18inequality_wrapperIN6hipcub16HIPCUB_304000_NS8EqualityEEEPlJS6_EEE10hipError_tPvRmT3_T4_T5_T6_T7_T9_mT8_P12ihipStream_tbDpT10_ENKUlT_T0_E_clISt17integral_constantIbLb0EES17_EEDaS12_S13_EUlS12_E_NS1_11comp_targetILNS1_3genE3ELNS1_11target_archE908ELNS1_3gpuE7ELNS1_3repE0EEENS1_30default_config_static_selectorELNS0_4arch9wavefront6targetE1EEEvT1_,comdat
	.protected	_ZN7rocprim17ROCPRIM_400000_NS6detail17trampoline_kernelINS0_14default_configENS1_25partition_config_selectorILNS1_17partition_subalgoE8EiNS0_10empty_typeEbEEZZNS1_14partition_implILS5_8ELb0ES3_jPKiPS6_PKS6_NS0_5tupleIJPiS6_EEENSE_IJSB_SB_EEENS0_18inequality_wrapperIN6hipcub16HIPCUB_304000_NS8EqualityEEEPlJS6_EEE10hipError_tPvRmT3_T4_T5_T6_T7_T9_mT8_P12ihipStream_tbDpT10_ENKUlT_T0_E_clISt17integral_constantIbLb0EES17_EEDaS12_S13_EUlS12_E_NS1_11comp_targetILNS1_3genE3ELNS1_11target_archE908ELNS1_3gpuE7ELNS1_3repE0EEENS1_30default_config_static_selectorELNS0_4arch9wavefront6targetE1EEEvT1_ ; -- Begin function _ZN7rocprim17ROCPRIM_400000_NS6detail17trampoline_kernelINS0_14default_configENS1_25partition_config_selectorILNS1_17partition_subalgoE8EiNS0_10empty_typeEbEEZZNS1_14partition_implILS5_8ELb0ES3_jPKiPS6_PKS6_NS0_5tupleIJPiS6_EEENSE_IJSB_SB_EEENS0_18inequality_wrapperIN6hipcub16HIPCUB_304000_NS8EqualityEEEPlJS6_EEE10hipError_tPvRmT3_T4_T5_T6_T7_T9_mT8_P12ihipStream_tbDpT10_ENKUlT_T0_E_clISt17integral_constantIbLb0EES17_EEDaS12_S13_EUlS12_E_NS1_11comp_targetILNS1_3genE3ELNS1_11target_archE908ELNS1_3gpuE7ELNS1_3repE0EEENS1_30default_config_static_selectorELNS0_4arch9wavefront6targetE1EEEvT1_
	.globl	_ZN7rocprim17ROCPRIM_400000_NS6detail17trampoline_kernelINS0_14default_configENS1_25partition_config_selectorILNS1_17partition_subalgoE8EiNS0_10empty_typeEbEEZZNS1_14partition_implILS5_8ELb0ES3_jPKiPS6_PKS6_NS0_5tupleIJPiS6_EEENSE_IJSB_SB_EEENS0_18inequality_wrapperIN6hipcub16HIPCUB_304000_NS8EqualityEEEPlJS6_EEE10hipError_tPvRmT3_T4_T5_T6_T7_T9_mT8_P12ihipStream_tbDpT10_ENKUlT_T0_E_clISt17integral_constantIbLb0EES17_EEDaS12_S13_EUlS12_E_NS1_11comp_targetILNS1_3genE3ELNS1_11target_archE908ELNS1_3gpuE7ELNS1_3repE0EEENS1_30default_config_static_selectorELNS0_4arch9wavefront6targetE1EEEvT1_
	.p2align	8
	.type	_ZN7rocprim17ROCPRIM_400000_NS6detail17trampoline_kernelINS0_14default_configENS1_25partition_config_selectorILNS1_17partition_subalgoE8EiNS0_10empty_typeEbEEZZNS1_14partition_implILS5_8ELb0ES3_jPKiPS6_PKS6_NS0_5tupleIJPiS6_EEENSE_IJSB_SB_EEENS0_18inequality_wrapperIN6hipcub16HIPCUB_304000_NS8EqualityEEEPlJS6_EEE10hipError_tPvRmT3_T4_T5_T6_T7_T9_mT8_P12ihipStream_tbDpT10_ENKUlT_T0_E_clISt17integral_constantIbLb0EES17_EEDaS12_S13_EUlS12_E_NS1_11comp_targetILNS1_3genE3ELNS1_11target_archE908ELNS1_3gpuE7ELNS1_3repE0EEENS1_30default_config_static_selectorELNS0_4arch9wavefront6targetE1EEEvT1_,@function
_ZN7rocprim17ROCPRIM_400000_NS6detail17trampoline_kernelINS0_14default_configENS1_25partition_config_selectorILNS1_17partition_subalgoE8EiNS0_10empty_typeEbEEZZNS1_14partition_implILS5_8ELb0ES3_jPKiPS6_PKS6_NS0_5tupleIJPiS6_EEENSE_IJSB_SB_EEENS0_18inequality_wrapperIN6hipcub16HIPCUB_304000_NS8EqualityEEEPlJS6_EEE10hipError_tPvRmT3_T4_T5_T6_T7_T9_mT8_P12ihipStream_tbDpT10_ENKUlT_T0_E_clISt17integral_constantIbLb0EES17_EEDaS12_S13_EUlS12_E_NS1_11comp_targetILNS1_3genE3ELNS1_11target_archE908ELNS1_3gpuE7ELNS1_3repE0EEENS1_30default_config_static_selectorELNS0_4arch9wavefront6targetE1EEEvT1_: ; @_ZN7rocprim17ROCPRIM_400000_NS6detail17trampoline_kernelINS0_14default_configENS1_25partition_config_selectorILNS1_17partition_subalgoE8EiNS0_10empty_typeEbEEZZNS1_14partition_implILS5_8ELb0ES3_jPKiPS6_PKS6_NS0_5tupleIJPiS6_EEENSE_IJSB_SB_EEENS0_18inequality_wrapperIN6hipcub16HIPCUB_304000_NS8EqualityEEEPlJS6_EEE10hipError_tPvRmT3_T4_T5_T6_T7_T9_mT8_P12ihipStream_tbDpT10_ENKUlT_T0_E_clISt17integral_constantIbLb0EES17_EEDaS12_S13_EUlS12_E_NS1_11comp_targetILNS1_3genE3ELNS1_11target_archE908ELNS1_3gpuE7ELNS1_3repE0EEENS1_30default_config_static_selectorELNS0_4arch9wavefront6targetE1EEEvT1_
; %bb.0:
	.section	.rodata,"a",@progbits
	.p2align	6, 0x0
	.amdhsa_kernel _ZN7rocprim17ROCPRIM_400000_NS6detail17trampoline_kernelINS0_14default_configENS1_25partition_config_selectorILNS1_17partition_subalgoE8EiNS0_10empty_typeEbEEZZNS1_14partition_implILS5_8ELb0ES3_jPKiPS6_PKS6_NS0_5tupleIJPiS6_EEENSE_IJSB_SB_EEENS0_18inequality_wrapperIN6hipcub16HIPCUB_304000_NS8EqualityEEEPlJS6_EEE10hipError_tPvRmT3_T4_T5_T6_T7_T9_mT8_P12ihipStream_tbDpT10_ENKUlT_T0_E_clISt17integral_constantIbLb0EES17_EEDaS12_S13_EUlS12_E_NS1_11comp_targetILNS1_3genE3ELNS1_11target_archE908ELNS1_3gpuE7ELNS1_3repE0EEENS1_30default_config_static_selectorELNS0_4arch9wavefront6targetE1EEEvT1_
		.amdhsa_group_segment_fixed_size 0
		.amdhsa_private_segment_fixed_size 0
		.amdhsa_kernarg_size 112
		.amdhsa_user_sgpr_count 2
		.amdhsa_user_sgpr_dispatch_ptr 0
		.amdhsa_user_sgpr_queue_ptr 0
		.amdhsa_user_sgpr_kernarg_segment_ptr 1
		.amdhsa_user_sgpr_dispatch_id 0
		.amdhsa_user_sgpr_kernarg_preload_length 0
		.amdhsa_user_sgpr_kernarg_preload_offset 0
		.amdhsa_user_sgpr_private_segment_size 0
		.amdhsa_uses_dynamic_stack 0
		.amdhsa_enable_private_segment 0
		.amdhsa_system_sgpr_workgroup_id_x 1
		.amdhsa_system_sgpr_workgroup_id_y 0
		.amdhsa_system_sgpr_workgroup_id_z 0
		.amdhsa_system_sgpr_workgroup_info 0
		.amdhsa_system_vgpr_workitem_id 0
		.amdhsa_next_free_vgpr 1
		.amdhsa_next_free_sgpr 0
		.amdhsa_accum_offset 4
		.amdhsa_reserve_vcc 0
		.amdhsa_float_round_mode_32 0
		.amdhsa_float_round_mode_16_64 0
		.amdhsa_float_denorm_mode_32 3
		.amdhsa_float_denorm_mode_16_64 3
		.amdhsa_dx10_clamp 1
		.amdhsa_ieee_mode 1
		.amdhsa_fp16_overflow 0
		.amdhsa_tg_split 0
		.amdhsa_exception_fp_ieee_invalid_op 0
		.amdhsa_exception_fp_denorm_src 0
		.amdhsa_exception_fp_ieee_div_zero 0
		.amdhsa_exception_fp_ieee_overflow 0
		.amdhsa_exception_fp_ieee_underflow 0
		.amdhsa_exception_fp_ieee_inexact 0
		.amdhsa_exception_int_div_zero 0
	.end_amdhsa_kernel
	.section	.text._ZN7rocprim17ROCPRIM_400000_NS6detail17trampoline_kernelINS0_14default_configENS1_25partition_config_selectorILNS1_17partition_subalgoE8EiNS0_10empty_typeEbEEZZNS1_14partition_implILS5_8ELb0ES3_jPKiPS6_PKS6_NS0_5tupleIJPiS6_EEENSE_IJSB_SB_EEENS0_18inequality_wrapperIN6hipcub16HIPCUB_304000_NS8EqualityEEEPlJS6_EEE10hipError_tPvRmT3_T4_T5_T6_T7_T9_mT8_P12ihipStream_tbDpT10_ENKUlT_T0_E_clISt17integral_constantIbLb0EES17_EEDaS12_S13_EUlS12_E_NS1_11comp_targetILNS1_3genE3ELNS1_11target_archE908ELNS1_3gpuE7ELNS1_3repE0EEENS1_30default_config_static_selectorELNS0_4arch9wavefront6targetE1EEEvT1_,"axG",@progbits,_ZN7rocprim17ROCPRIM_400000_NS6detail17trampoline_kernelINS0_14default_configENS1_25partition_config_selectorILNS1_17partition_subalgoE8EiNS0_10empty_typeEbEEZZNS1_14partition_implILS5_8ELb0ES3_jPKiPS6_PKS6_NS0_5tupleIJPiS6_EEENSE_IJSB_SB_EEENS0_18inequality_wrapperIN6hipcub16HIPCUB_304000_NS8EqualityEEEPlJS6_EEE10hipError_tPvRmT3_T4_T5_T6_T7_T9_mT8_P12ihipStream_tbDpT10_ENKUlT_T0_E_clISt17integral_constantIbLb0EES17_EEDaS12_S13_EUlS12_E_NS1_11comp_targetILNS1_3genE3ELNS1_11target_archE908ELNS1_3gpuE7ELNS1_3repE0EEENS1_30default_config_static_selectorELNS0_4arch9wavefront6targetE1EEEvT1_,comdat
.Lfunc_end181:
	.size	_ZN7rocprim17ROCPRIM_400000_NS6detail17trampoline_kernelINS0_14default_configENS1_25partition_config_selectorILNS1_17partition_subalgoE8EiNS0_10empty_typeEbEEZZNS1_14partition_implILS5_8ELb0ES3_jPKiPS6_PKS6_NS0_5tupleIJPiS6_EEENSE_IJSB_SB_EEENS0_18inequality_wrapperIN6hipcub16HIPCUB_304000_NS8EqualityEEEPlJS6_EEE10hipError_tPvRmT3_T4_T5_T6_T7_T9_mT8_P12ihipStream_tbDpT10_ENKUlT_T0_E_clISt17integral_constantIbLb0EES17_EEDaS12_S13_EUlS12_E_NS1_11comp_targetILNS1_3genE3ELNS1_11target_archE908ELNS1_3gpuE7ELNS1_3repE0EEENS1_30default_config_static_selectorELNS0_4arch9wavefront6targetE1EEEvT1_, .Lfunc_end181-_ZN7rocprim17ROCPRIM_400000_NS6detail17trampoline_kernelINS0_14default_configENS1_25partition_config_selectorILNS1_17partition_subalgoE8EiNS0_10empty_typeEbEEZZNS1_14partition_implILS5_8ELb0ES3_jPKiPS6_PKS6_NS0_5tupleIJPiS6_EEENSE_IJSB_SB_EEENS0_18inequality_wrapperIN6hipcub16HIPCUB_304000_NS8EqualityEEEPlJS6_EEE10hipError_tPvRmT3_T4_T5_T6_T7_T9_mT8_P12ihipStream_tbDpT10_ENKUlT_T0_E_clISt17integral_constantIbLb0EES17_EEDaS12_S13_EUlS12_E_NS1_11comp_targetILNS1_3genE3ELNS1_11target_archE908ELNS1_3gpuE7ELNS1_3repE0EEENS1_30default_config_static_selectorELNS0_4arch9wavefront6targetE1EEEvT1_
                                        ; -- End function
	.section	.AMDGPU.csdata,"",@progbits
; Kernel info:
; codeLenInByte = 0
; NumSgprs: 6
; NumVgprs: 0
; NumAgprs: 0
; TotalNumVgprs: 0
; ScratchSize: 0
; MemoryBound: 0
; FloatMode: 240
; IeeeMode: 1
; LDSByteSize: 0 bytes/workgroup (compile time only)
; SGPRBlocks: 0
; VGPRBlocks: 0
; NumSGPRsForWavesPerEU: 6
; NumVGPRsForWavesPerEU: 1
; AccumOffset: 4
; Occupancy: 8
; WaveLimiterHint : 0
; COMPUTE_PGM_RSRC2:SCRATCH_EN: 0
; COMPUTE_PGM_RSRC2:USER_SGPR: 2
; COMPUTE_PGM_RSRC2:TRAP_HANDLER: 0
; COMPUTE_PGM_RSRC2:TGID_X_EN: 1
; COMPUTE_PGM_RSRC2:TGID_Y_EN: 0
; COMPUTE_PGM_RSRC2:TGID_Z_EN: 0
; COMPUTE_PGM_RSRC2:TIDIG_COMP_CNT: 0
; COMPUTE_PGM_RSRC3_GFX90A:ACCUM_OFFSET: 0
; COMPUTE_PGM_RSRC3_GFX90A:TG_SPLIT: 0
	.section	.text._ZN7rocprim17ROCPRIM_400000_NS6detail17trampoline_kernelINS0_14default_configENS1_25partition_config_selectorILNS1_17partition_subalgoE8EiNS0_10empty_typeEbEEZZNS1_14partition_implILS5_8ELb0ES3_jPKiPS6_PKS6_NS0_5tupleIJPiS6_EEENSE_IJSB_SB_EEENS0_18inequality_wrapperIN6hipcub16HIPCUB_304000_NS8EqualityEEEPlJS6_EEE10hipError_tPvRmT3_T4_T5_T6_T7_T9_mT8_P12ihipStream_tbDpT10_ENKUlT_T0_E_clISt17integral_constantIbLb0EES17_EEDaS12_S13_EUlS12_E_NS1_11comp_targetILNS1_3genE2ELNS1_11target_archE906ELNS1_3gpuE6ELNS1_3repE0EEENS1_30default_config_static_selectorELNS0_4arch9wavefront6targetE1EEEvT1_,"axG",@progbits,_ZN7rocprim17ROCPRIM_400000_NS6detail17trampoline_kernelINS0_14default_configENS1_25partition_config_selectorILNS1_17partition_subalgoE8EiNS0_10empty_typeEbEEZZNS1_14partition_implILS5_8ELb0ES3_jPKiPS6_PKS6_NS0_5tupleIJPiS6_EEENSE_IJSB_SB_EEENS0_18inequality_wrapperIN6hipcub16HIPCUB_304000_NS8EqualityEEEPlJS6_EEE10hipError_tPvRmT3_T4_T5_T6_T7_T9_mT8_P12ihipStream_tbDpT10_ENKUlT_T0_E_clISt17integral_constantIbLb0EES17_EEDaS12_S13_EUlS12_E_NS1_11comp_targetILNS1_3genE2ELNS1_11target_archE906ELNS1_3gpuE6ELNS1_3repE0EEENS1_30default_config_static_selectorELNS0_4arch9wavefront6targetE1EEEvT1_,comdat
	.protected	_ZN7rocprim17ROCPRIM_400000_NS6detail17trampoline_kernelINS0_14default_configENS1_25partition_config_selectorILNS1_17partition_subalgoE8EiNS0_10empty_typeEbEEZZNS1_14partition_implILS5_8ELb0ES3_jPKiPS6_PKS6_NS0_5tupleIJPiS6_EEENSE_IJSB_SB_EEENS0_18inequality_wrapperIN6hipcub16HIPCUB_304000_NS8EqualityEEEPlJS6_EEE10hipError_tPvRmT3_T4_T5_T6_T7_T9_mT8_P12ihipStream_tbDpT10_ENKUlT_T0_E_clISt17integral_constantIbLb0EES17_EEDaS12_S13_EUlS12_E_NS1_11comp_targetILNS1_3genE2ELNS1_11target_archE906ELNS1_3gpuE6ELNS1_3repE0EEENS1_30default_config_static_selectorELNS0_4arch9wavefront6targetE1EEEvT1_ ; -- Begin function _ZN7rocprim17ROCPRIM_400000_NS6detail17trampoline_kernelINS0_14default_configENS1_25partition_config_selectorILNS1_17partition_subalgoE8EiNS0_10empty_typeEbEEZZNS1_14partition_implILS5_8ELb0ES3_jPKiPS6_PKS6_NS0_5tupleIJPiS6_EEENSE_IJSB_SB_EEENS0_18inequality_wrapperIN6hipcub16HIPCUB_304000_NS8EqualityEEEPlJS6_EEE10hipError_tPvRmT3_T4_T5_T6_T7_T9_mT8_P12ihipStream_tbDpT10_ENKUlT_T0_E_clISt17integral_constantIbLb0EES17_EEDaS12_S13_EUlS12_E_NS1_11comp_targetILNS1_3genE2ELNS1_11target_archE906ELNS1_3gpuE6ELNS1_3repE0EEENS1_30default_config_static_selectorELNS0_4arch9wavefront6targetE1EEEvT1_
	.globl	_ZN7rocprim17ROCPRIM_400000_NS6detail17trampoline_kernelINS0_14default_configENS1_25partition_config_selectorILNS1_17partition_subalgoE8EiNS0_10empty_typeEbEEZZNS1_14partition_implILS5_8ELb0ES3_jPKiPS6_PKS6_NS0_5tupleIJPiS6_EEENSE_IJSB_SB_EEENS0_18inequality_wrapperIN6hipcub16HIPCUB_304000_NS8EqualityEEEPlJS6_EEE10hipError_tPvRmT3_T4_T5_T6_T7_T9_mT8_P12ihipStream_tbDpT10_ENKUlT_T0_E_clISt17integral_constantIbLb0EES17_EEDaS12_S13_EUlS12_E_NS1_11comp_targetILNS1_3genE2ELNS1_11target_archE906ELNS1_3gpuE6ELNS1_3repE0EEENS1_30default_config_static_selectorELNS0_4arch9wavefront6targetE1EEEvT1_
	.p2align	8
	.type	_ZN7rocprim17ROCPRIM_400000_NS6detail17trampoline_kernelINS0_14default_configENS1_25partition_config_selectorILNS1_17partition_subalgoE8EiNS0_10empty_typeEbEEZZNS1_14partition_implILS5_8ELb0ES3_jPKiPS6_PKS6_NS0_5tupleIJPiS6_EEENSE_IJSB_SB_EEENS0_18inequality_wrapperIN6hipcub16HIPCUB_304000_NS8EqualityEEEPlJS6_EEE10hipError_tPvRmT3_T4_T5_T6_T7_T9_mT8_P12ihipStream_tbDpT10_ENKUlT_T0_E_clISt17integral_constantIbLb0EES17_EEDaS12_S13_EUlS12_E_NS1_11comp_targetILNS1_3genE2ELNS1_11target_archE906ELNS1_3gpuE6ELNS1_3repE0EEENS1_30default_config_static_selectorELNS0_4arch9wavefront6targetE1EEEvT1_,@function
_ZN7rocprim17ROCPRIM_400000_NS6detail17trampoline_kernelINS0_14default_configENS1_25partition_config_selectorILNS1_17partition_subalgoE8EiNS0_10empty_typeEbEEZZNS1_14partition_implILS5_8ELb0ES3_jPKiPS6_PKS6_NS0_5tupleIJPiS6_EEENSE_IJSB_SB_EEENS0_18inequality_wrapperIN6hipcub16HIPCUB_304000_NS8EqualityEEEPlJS6_EEE10hipError_tPvRmT3_T4_T5_T6_T7_T9_mT8_P12ihipStream_tbDpT10_ENKUlT_T0_E_clISt17integral_constantIbLb0EES17_EEDaS12_S13_EUlS12_E_NS1_11comp_targetILNS1_3genE2ELNS1_11target_archE906ELNS1_3gpuE6ELNS1_3repE0EEENS1_30default_config_static_selectorELNS0_4arch9wavefront6targetE1EEEvT1_: ; @_ZN7rocprim17ROCPRIM_400000_NS6detail17trampoline_kernelINS0_14default_configENS1_25partition_config_selectorILNS1_17partition_subalgoE8EiNS0_10empty_typeEbEEZZNS1_14partition_implILS5_8ELb0ES3_jPKiPS6_PKS6_NS0_5tupleIJPiS6_EEENSE_IJSB_SB_EEENS0_18inequality_wrapperIN6hipcub16HIPCUB_304000_NS8EqualityEEEPlJS6_EEE10hipError_tPvRmT3_T4_T5_T6_T7_T9_mT8_P12ihipStream_tbDpT10_ENKUlT_T0_E_clISt17integral_constantIbLb0EES17_EEDaS12_S13_EUlS12_E_NS1_11comp_targetILNS1_3genE2ELNS1_11target_archE906ELNS1_3gpuE6ELNS1_3repE0EEENS1_30default_config_static_selectorELNS0_4arch9wavefront6targetE1EEEvT1_
; %bb.0:
	.section	.rodata,"a",@progbits
	.p2align	6, 0x0
	.amdhsa_kernel _ZN7rocprim17ROCPRIM_400000_NS6detail17trampoline_kernelINS0_14default_configENS1_25partition_config_selectorILNS1_17partition_subalgoE8EiNS0_10empty_typeEbEEZZNS1_14partition_implILS5_8ELb0ES3_jPKiPS6_PKS6_NS0_5tupleIJPiS6_EEENSE_IJSB_SB_EEENS0_18inequality_wrapperIN6hipcub16HIPCUB_304000_NS8EqualityEEEPlJS6_EEE10hipError_tPvRmT3_T4_T5_T6_T7_T9_mT8_P12ihipStream_tbDpT10_ENKUlT_T0_E_clISt17integral_constantIbLb0EES17_EEDaS12_S13_EUlS12_E_NS1_11comp_targetILNS1_3genE2ELNS1_11target_archE906ELNS1_3gpuE6ELNS1_3repE0EEENS1_30default_config_static_selectorELNS0_4arch9wavefront6targetE1EEEvT1_
		.amdhsa_group_segment_fixed_size 0
		.amdhsa_private_segment_fixed_size 0
		.amdhsa_kernarg_size 112
		.amdhsa_user_sgpr_count 2
		.amdhsa_user_sgpr_dispatch_ptr 0
		.amdhsa_user_sgpr_queue_ptr 0
		.amdhsa_user_sgpr_kernarg_segment_ptr 1
		.amdhsa_user_sgpr_dispatch_id 0
		.amdhsa_user_sgpr_kernarg_preload_length 0
		.amdhsa_user_sgpr_kernarg_preload_offset 0
		.amdhsa_user_sgpr_private_segment_size 0
		.amdhsa_uses_dynamic_stack 0
		.amdhsa_enable_private_segment 0
		.amdhsa_system_sgpr_workgroup_id_x 1
		.amdhsa_system_sgpr_workgroup_id_y 0
		.amdhsa_system_sgpr_workgroup_id_z 0
		.amdhsa_system_sgpr_workgroup_info 0
		.amdhsa_system_vgpr_workitem_id 0
		.amdhsa_next_free_vgpr 1
		.amdhsa_next_free_sgpr 0
		.amdhsa_accum_offset 4
		.amdhsa_reserve_vcc 0
		.amdhsa_float_round_mode_32 0
		.amdhsa_float_round_mode_16_64 0
		.amdhsa_float_denorm_mode_32 3
		.amdhsa_float_denorm_mode_16_64 3
		.amdhsa_dx10_clamp 1
		.amdhsa_ieee_mode 1
		.amdhsa_fp16_overflow 0
		.amdhsa_tg_split 0
		.amdhsa_exception_fp_ieee_invalid_op 0
		.amdhsa_exception_fp_denorm_src 0
		.amdhsa_exception_fp_ieee_div_zero 0
		.amdhsa_exception_fp_ieee_overflow 0
		.amdhsa_exception_fp_ieee_underflow 0
		.amdhsa_exception_fp_ieee_inexact 0
		.amdhsa_exception_int_div_zero 0
	.end_amdhsa_kernel
	.section	.text._ZN7rocprim17ROCPRIM_400000_NS6detail17trampoline_kernelINS0_14default_configENS1_25partition_config_selectorILNS1_17partition_subalgoE8EiNS0_10empty_typeEbEEZZNS1_14partition_implILS5_8ELb0ES3_jPKiPS6_PKS6_NS0_5tupleIJPiS6_EEENSE_IJSB_SB_EEENS0_18inequality_wrapperIN6hipcub16HIPCUB_304000_NS8EqualityEEEPlJS6_EEE10hipError_tPvRmT3_T4_T5_T6_T7_T9_mT8_P12ihipStream_tbDpT10_ENKUlT_T0_E_clISt17integral_constantIbLb0EES17_EEDaS12_S13_EUlS12_E_NS1_11comp_targetILNS1_3genE2ELNS1_11target_archE906ELNS1_3gpuE6ELNS1_3repE0EEENS1_30default_config_static_selectorELNS0_4arch9wavefront6targetE1EEEvT1_,"axG",@progbits,_ZN7rocprim17ROCPRIM_400000_NS6detail17trampoline_kernelINS0_14default_configENS1_25partition_config_selectorILNS1_17partition_subalgoE8EiNS0_10empty_typeEbEEZZNS1_14partition_implILS5_8ELb0ES3_jPKiPS6_PKS6_NS0_5tupleIJPiS6_EEENSE_IJSB_SB_EEENS0_18inequality_wrapperIN6hipcub16HIPCUB_304000_NS8EqualityEEEPlJS6_EEE10hipError_tPvRmT3_T4_T5_T6_T7_T9_mT8_P12ihipStream_tbDpT10_ENKUlT_T0_E_clISt17integral_constantIbLb0EES17_EEDaS12_S13_EUlS12_E_NS1_11comp_targetILNS1_3genE2ELNS1_11target_archE906ELNS1_3gpuE6ELNS1_3repE0EEENS1_30default_config_static_selectorELNS0_4arch9wavefront6targetE1EEEvT1_,comdat
.Lfunc_end182:
	.size	_ZN7rocprim17ROCPRIM_400000_NS6detail17trampoline_kernelINS0_14default_configENS1_25partition_config_selectorILNS1_17partition_subalgoE8EiNS0_10empty_typeEbEEZZNS1_14partition_implILS5_8ELb0ES3_jPKiPS6_PKS6_NS0_5tupleIJPiS6_EEENSE_IJSB_SB_EEENS0_18inequality_wrapperIN6hipcub16HIPCUB_304000_NS8EqualityEEEPlJS6_EEE10hipError_tPvRmT3_T4_T5_T6_T7_T9_mT8_P12ihipStream_tbDpT10_ENKUlT_T0_E_clISt17integral_constantIbLb0EES17_EEDaS12_S13_EUlS12_E_NS1_11comp_targetILNS1_3genE2ELNS1_11target_archE906ELNS1_3gpuE6ELNS1_3repE0EEENS1_30default_config_static_selectorELNS0_4arch9wavefront6targetE1EEEvT1_, .Lfunc_end182-_ZN7rocprim17ROCPRIM_400000_NS6detail17trampoline_kernelINS0_14default_configENS1_25partition_config_selectorILNS1_17partition_subalgoE8EiNS0_10empty_typeEbEEZZNS1_14partition_implILS5_8ELb0ES3_jPKiPS6_PKS6_NS0_5tupleIJPiS6_EEENSE_IJSB_SB_EEENS0_18inequality_wrapperIN6hipcub16HIPCUB_304000_NS8EqualityEEEPlJS6_EEE10hipError_tPvRmT3_T4_T5_T6_T7_T9_mT8_P12ihipStream_tbDpT10_ENKUlT_T0_E_clISt17integral_constantIbLb0EES17_EEDaS12_S13_EUlS12_E_NS1_11comp_targetILNS1_3genE2ELNS1_11target_archE906ELNS1_3gpuE6ELNS1_3repE0EEENS1_30default_config_static_selectorELNS0_4arch9wavefront6targetE1EEEvT1_
                                        ; -- End function
	.section	.AMDGPU.csdata,"",@progbits
; Kernel info:
; codeLenInByte = 0
; NumSgprs: 6
; NumVgprs: 0
; NumAgprs: 0
; TotalNumVgprs: 0
; ScratchSize: 0
; MemoryBound: 0
; FloatMode: 240
; IeeeMode: 1
; LDSByteSize: 0 bytes/workgroup (compile time only)
; SGPRBlocks: 0
; VGPRBlocks: 0
; NumSGPRsForWavesPerEU: 6
; NumVGPRsForWavesPerEU: 1
; AccumOffset: 4
; Occupancy: 8
; WaveLimiterHint : 0
; COMPUTE_PGM_RSRC2:SCRATCH_EN: 0
; COMPUTE_PGM_RSRC2:USER_SGPR: 2
; COMPUTE_PGM_RSRC2:TRAP_HANDLER: 0
; COMPUTE_PGM_RSRC2:TGID_X_EN: 1
; COMPUTE_PGM_RSRC2:TGID_Y_EN: 0
; COMPUTE_PGM_RSRC2:TGID_Z_EN: 0
; COMPUTE_PGM_RSRC2:TIDIG_COMP_CNT: 0
; COMPUTE_PGM_RSRC3_GFX90A:ACCUM_OFFSET: 0
; COMPUTE_PGM_RSRC3_GFX90A:TG_SPLIT: 0
	.section	.text._ZN7rocprim17ROCPRIM_400000_NS6detail17trampoline_kernelINS0_14default_configENS1_25partition_config_selectorILNS1_17partition_subalgoE8EiNS0_10empty_typeEbEEZZNS1_14partition_implILS5_8ELb0ES3_jPKiPS6_PKS6_NS0_5tupleIJPiS6_EEENSE_IJSB_SB_EEENS0_18inequality_wrapperIN6hipcub16HIPCUB_304000_NS8EqualityEEEPlJS6_EEE10hipError_tPvRmT3_T4_T5_T6_T7_T9_mT8_P12ihipStream_tbDpT10_ENKUlT_T0_E_clISt17integral_constantIbLb0EES17_EEDaS12_S13_EUlS12_E_NS1_11comp_targetILNS1_3genE10ELNS1_11target_archE1200ELNS1_3gpuE4ELNS1_3repE0EEENS1_30default_config_static_selectorELNS0_4arch9wavefront6targetE1EEEvT1_,"axG",@progbits,_ZN7rocprim17ROCPRIM_400000_NS6detail17trampoline_kernelINS0_14default_configENS1_25partition_config_selectorILNS1_17partition_subalgoE8EiNS0_10empty_typeEbEEZZNS1_14partition_implILS5_8ELb0ES3_jPKiPS6_PKS6_NS0_5tupleIJPiS6_EEENSE_IJSB_SB_EEENS0_18inequality_wrapperIN6hipcub16HIPCUB_304000_NS8EqualityEEEPlJS6_EEE10hipError_tPvRmT3_T4_T5_T6_T7_T9_mT8_P12ihipStream_tbDpT10_ENKUlT_T0_E_clISt17integral_constantIbLb0EES17_EEDaS12_S13_EUlS12_E_NS1_11comp_targetILNS1_3genE10ELNS1_11target_archE1200ELNS1_3gpuE4ELNS1_3repE0EEENS1_30default_config_static_selectorELNS0_4arch9wavefront6targetE1EEEvT1_,comdat
	.protected	_ZN7rocprim17ROCPRIM_400000_NS6detail17trampoline_kernelINS0_14default_configENS1_25partition_config_selectorILNS1_17partition_subalgoE8EiNS0_10empty_typeEbEEZZNS1_14partition_implILS5_8ELb0ES3_jPKiPS6_PKS6_NS0_5tupleIJPiS6_EEENSE_IJSB_SB_EEENS0_18inequality_wrapperIN6hipcub16HIPCUB_304000_NS8EqualityEEEPlJS6_EEE10hipError_tPvRmT3_T4_T5_T6_T7_T9_mT8_P12ihipStream_tbDpT10_ENKUlT_T0_E_clISt17integral_constantIbLb0EES17_EEDaS12_S13_EUlS12_E_NS1_11comp_targetILNS1_3genE10ELNS1_11target_archE1200ELNS1_3gpuE4ELNS1_3repE0EEENS1_30default_config_static_selectorELNS0_4arch9wavefront6targetE1EEEvT1_ ; -- Begin function _ZN7rocprim17ROCPRIM_400000_NS6detail17trampoline_kernelINS0_14default_configENS1_25partition_config_selectorILNS1_17partition_subalgoE8EiNS0_10empty_typeEbEEZZNS1_14partition_implILS5_8ELb0ES3_jPKiPS6_PKS6_NS0_5tupleIJPiS6_EEENSE_IJSB_SB_EEENS0_18inequality_wrapperIN6hipcub16HIPCUB_304000_NS8EqualityEEEPlJS6_EEE10hipError_tPvRmT3_T4_T5_T6_T7_T9_mT8_P12ihipStream_tbDpT10_ENKUlT_T0_E_clISt17integral_constantIbLb0EES17_EEDaS12_S13_EUlS12_E_NS1_11comp_targetILNS1_3genE10ELNS1_11target_archE1200ELNS1_3gpuE4ELNS1_3repE0EEENS1_30default_config_static_selectorELNS0_4arch9wavefront6targetE1EEEvT1_
	.globl	_ZN7rocprim17ROCPRIM_400000_NS6detail17trampoline_kernelINS0_14default_configENS1_25partition_config_selectorILNS1_17partition_subalgoE8EiNS0_10empty_typeEbEEZZNS1_14partition_implILS5_8ELb0ES3_jPKiPS6_PKS6_NS0_5tupleIJPiS6_EEENSE_IJSB_SB_EEENS0_18inequality_wrapperIN6hipcub16HIPCUB_304000_NS8EqualityEEEPlJS6_EEE10hipError_tPvRmT3_T4_T5_T6_T7_T9_mT8_P12ihipStream_tbDpT10_ENKUlT_T0_E_clISt17integral_constantIbLb0EES17_EEDaS12_S13_EUlS12_E_NS1_11comp_targetILNS1_3genE10ELNS1_11target_archE1200ELNS1_3gpuE4ELNS1_3repE0EEENS1_30default_config_static_selectorELNS0_4arch9wavefront6targetE1EEEvT1_
	.p2align	8
	.type	_ZN7rocprim17ROCPRIM_400000_NS6detail17trampoline_kernelINS0_14default_configENS1_25partition_config_selectorILNS1_17partition_subalgoE8EiNS0_10empty_typeEbEEZZNS1_14partition_implILS5_8ELb0ES3_jPKiPS6_PKS6_NS0_5tupleIJPiS6_EEENSE_IJSB_SB_EEENS0_18inequality_wrapperIN6hipcub16HIPCUB_304000_NS8EqualityEEEPlJS6_EEE10hipError_tPvRmT3_T4_T5_T6_T7_T9_mT8_P12ihipStream_tbDpT10_ENKUlT_T0_E_clISt17integral_constantIbLb0EES17_EEDaS12_S13_EUlS12_E_NS1_11comp_targetILNS1_3genE10ELNS1_11target_archE1200ELNS1_3gpuE4ELNS1_3repE0EEENS1_30default_config_static_selectorELNS0_4arch9wavefront6targetE1EEEvT1_,@function
_ZN7rocprim17ROCPRIM_400000_NS6detail17trampoline_kernelINS0_14default_configENS1_25partition_config_selectorILNS1_17partition_subalgoE8EiNS0_10empty_typeEbEEZZNS1_14partition_implILS5_8ELb0ES3_jPKiPS6_PKS6_NS0_5tupleIJPiS6_EEENSE_IJSB_SB_EEENS0_18inequality_wrapperIN6hipcub16HIPCUB_304000_NS8EqualityEEEPlJS6_EEE10hipError_tPvRmT3_T4_T5_T6_T7_T9_mT8_P12ihipStream_tbDpT10_ENKUlT_T0_E_clISt17integral_constantIbLb0EES17_EEDaS12_S13_EUlS12_E_NS1_11comp_targetILNS1_3genE10ELNS1_11target_archE1200ELNS1_3gpuE4ELNS1_3repE0EEENS1_30default_config_static_selectorELNS0_4arch9wavefront6targetE1EEEvT1_: ; @_ZN7rocprim17ROCPRIM_400000_NS6detail17trampoline_kernelINS0_14default_configENS1_25partition_config_selectorILNS1_17partition_subalgoE8EiNS0_10empty_typeEbEEZZNS1_14partition_implILS5_8ELb0ES3_jPKiPS6_PKS6_NS0_5tupleIJPiS6_EEENSE_IJSB_SB_EEENS0_18inequality_wrapperIN6hipcub16HIPCUB_304000_NS8EqualityEEEPlJS6_EEE10hipError_tPvRmT3_T4_T5_T6_T7_T9_mT8_P12ihipStream_tbDpT10_ENKUlT_T0_E_clISt17integral_constantIbLb0EES17_EEDaS12_S13_EUlS12_E_NS1_11comp_targetILNS1_3genE10ELNS1_11target_archE1200ELNS1_3gpuE4ELNS1_3repE0EEENS1_30default_config_static_selectorELNS0_4arch9wavefront6targetE1EEEvT1_
; %bb.0:
	.section	.rodata,"a",@progbits
	.p2align	6, 0x0
	.amdhsa_kernel _ZN7rocprim17ROCPRIM_400000_NS6detail17trampoline_kernelINS0_14default_configENS1_25partition_config_selectorILNS1_17partition_subalgoE8EiNS0_10empty_typeEbEEZZNS1_14partition_implILS5_8ELb0ES3_jPKiPS6_PKS6_NS0_5tupleIJPiS6_EEENSE_IJSB_SB_EEENS0_18inequality_wrapperIN6hipcub16HIPCUB_304000_NS8EqualityEEEPlJS6_EEE10hipError_tPvRmT3_T4_T5_T6_T7_T9_mT8_P12ihipStream_tbDpT10_ENKUlT_T0_E_clISt17integral_constantIbLb0EES17_EEDaS12_S13_EUlS12_E_NS1_11comp_targetILNS1_3genE10ELNS1_11target_archE1200ELNS1_3gpuE4ELNS1_3repE0EEENS1_30default_config_static_selectorELNS0_4arch9wavefront6targetE1EEEvT1_
		.amdhsa_group_segment_fixed_size 0
		.amdhsa_private_segment_fixed_size 0
		.amdhsa_kernarg_size 112
		.amdhsa_user_sgpr_count 2
		.amdhsa_user_sgpr_dispatch_ptr 0
		.amdhsa_user_sgpr_queue_ptr 0
		.amdhsa_user_sgpr_kernarg_segment_ptr 1
		.amdhsa_user_sgpr_dispatch_id 0
		.amdhsa_user_sgpr_kernarg_preload_length 0
		.amdhsa_user_sgpr_kernarg_preload_offset 0
		.amdhsa_user_sgpr_private_segment_size 0
		.amdhsa_uses_dynamic_stack 0
		.amdhsa_enable_private_segment 0
		.amdhsa_system_sgpr_workgroup_id_x 1
		.amdhsa_system_sgpr_workgroup_id_y 0
		.amdhsa_system_sgpr_workgroup_id_z 0
		.amdhsa_system_sgpr_workgroup_info 0
		.amdhsa_system_vgpr_workitem_id 0
		.amdhsa_next_free_vgpr 1
		.amdhsa_next_free_sgpr 0
		.amdhsa_accum_offset 4
		.amdhsa_reserve_vcc 0
		.amdhsa_float_round_mode_32 0
		.amdhsa_float_round_mode_16_64 0
		.amdhsa_float_denorm_mode_32 3
		.amdhsa_float_denorm_mode_16_64 3
		.amdhsa_dx10_clamp 1
		.amdhsa_ieee_mode 1
		.amdhsa_fp16_overflow 0
		.amdhsa_tg_split 0
		.amdhsa_exception_fp_ieee_invalid_op 0
		.amdhsa_exception_fp_denorm_src 0
		.amdhsa_exception_fp_ieee_div_zero 0
		.amdhsa_exception_fp_ieee_overflow 0
		.amdhsa_exception_fp_ieee_underflow 0
		.amdhsa_exception_fp_ieee_inexact 0
		.amdhsa_exception_int_div_zero 0
	.end_amdhsa_kernel
	.section	.text._ZN7rocprim17ROCPRIM_400000_NS6detail17trampoline_kernelINS0_14default_configENS1_25partition_config_selectorILNS1_17partition_subalgoE8EiNS0_10empty_typeEbEEZZNS1_14partition_implILS5_8ELb0ES3_jPKiPS6_PKS6_NS0_5tupleIJPiS6_EEENSE_IJSB_SB_EEENS0_18inequality_wrapperIN6hipcub16HIPCUB_304000_NS8EqualityEEEPlJS6_EEE10hipError_tPvRmT3_T4_T5_T6_T7_T9_mT8_P12ihipStream_tbDpT10_ENKUlT_T0_E_clISt17integral_constantIbLb0EES17_EEDaS12_S13_EUlS12_E_NS1_11comp_targetILNS1_3genE10ELNS1_11target_archE1200ELNS1_3gpuE4ELNS1_3repE0EEENS1_30default_config_static_selectorELNS0_4arch9wavefront6targetE1EEEvT1_,"axG",@progbits,_ZN7rocprim17ROCPRIM_400000_NS6detail17trampoline_kernelINS0_14default_configENS1_25partition_config_selectorILNS1_17partition_subalgoE8EiNS0_10empty_typeEbEEZZNS1_14partition_implILS5_8ELb0ES3_jPKiPS6_PKS6_NS0_5tupleIJPiS6_EEENSE_IJSB_SB_EEENS0_18inequality_wrapperIN6hipcub16HIPCUB_304000_NS8EqualityEEEPlJS6_EEE10hipError_tPvRmT3_T4_T5_T6_T7_T9_mT8_P12ihipStream_tbDpT10_ENKUlT_T0_E_clISt17integral_constantIbLb0EES17_EEDaS12_S13_EUlS12_E_NS1_11comp_targetILNS1_3genE10ELNS1_11target_archE1200ELNS1_3gpuE4ELNS1_3repE0EEENS1_30default_config_static_selectorELNS0_4arch9wavefront6targetE1EEEvT1_,comdat
.Lfunc_end183:
	.size	_ZN7rocprim17ROCPRIM_400000_NS6detail17trampoline_kernelINS0_14default_configENS1_25partition_config_selectorILNS1_17partition_subalgoE8EiNS0_10empty_typeEbEEZZNS1_14partition_implILS5_8ELb0ES3_jPKiPS6_PKS6_NS0_5tupleIJPiS6_EEENSE_IJSB_SB_EEENS0_18inequality_wrapperIN6hipcub16HIPCUB_304000_NS8EqualityEEEPlJS6_EEE10hipError_tPvRmT3_T4_T5_T6_T7_T9_mT8_P12ihipStream_tbDpT10_ENKUlT_T0_E_clISt17integral_constantIbLb0EES17_EEDaS12_S13_EUlS12_E_NS1_11comp_targetILNS1_3genE10ELNS1_11target_archE1200ELNS1_3gpuE4ELNS1_3repE0EEENS1_30default_config_static_selectorELNS0_4arch9wavefront6targetE1EEEvT1_, .Lfunc_end183-_ZN7rocprim17ROCPRIM_400000_NS6detail17trampoline_kernelINS0_14default_configENS1_25partition_config_selectorILNS1_17partition_subalgoE8EiNS0_10empty_typeEbEEZZNS1_14partition_implILS5_8ELb0ES3_jPKiPS6_PKS6_NS0_5tupleIJPiS6_EEENSE_IJSB_SB_EEENS0_18inequality_wrapperIN6hipcub16HIPCUB_304000_NS8EqualityEEEPlJS6_EEE10hipError_tPvRmT3_T4_T5_T6_T7_T9_mT8_P12ihipStream_tbDpT10_ENKUlT_T0_E_clISt17integral_constantIbLb0EES17_EEDaS12_S13_EUlS12_E_NS1_11comp_targetILNS1_3genE10ELNS1_11target_archE1200ELNS1_3gpuE4ELNS1_3repE0EEENS1_30default_config_static_selectorELNS0_4arch9wavefront6targetE1EEEvT1_
                                        ; -- End function
	.section	.AMDGPU.csdata,"",@progbits
; Kernel info:
; codeLenInByte = 0
; NumSgprs: 6
; NumVgprs: 0
; NumAgprs: 0
; TotalNumVgprs: 0
; ScratchSize: 0
; MemoryBound: 0
; FloatMode: 240
; IeeeMode: 1
; LDSByteSize: 0 bytes/workgroup (compile time only)
; SGPRBlocks: 0
; VGPRBlocks: 0
; NumSGPRsForWavesPerEU: 6
; NumVGPRsForWavesPerEU: 1
; AccumOffset: 4
; Occupancy: 8
; WaveLimiterHint : 0
; COMPUTE_PGM_RSRC2:SCRATCH_EN: 0
; COMPUTE_PGM_RSRC2:USER_SGPR: 2
; COMPUTE_PGM_RSRC2:TRAP_HANDLER: 0
; COMPUTE_PGM_RSRC2:TGID_X_EN: 1
; COMPUTE_PGM_RSRC2:TGID_Y_EN: 0
; COMPUTE_PGM_RSRC2:TGID_Z_EN: 0
; COMPUTE_PGM_RSRC2:TIDIG_COMP_CNT: 0
; COMPUTE_PGM_RSRC3_GFX90A:ACCUM_OFFSET: 0
; COMPUTE_PGM_RSRC3_GFX90A:TG_SPLIT: 0
	.section	.text._ZN7rocprim17ROCPRIM_400000_NS6detail17trampoline_kernelINS0_14default_configENS1_25partition_config_selectorILNS1_17partition_subalgoE8EiNS0_10empty_typeEbEEZZNS1_14partition_implILS5_8ELb0ES3_jPKiPS6_PKS6_NS0_5tupleIJPiS6_EEENSE_IJSB_SB_EEENS0_18inequality_wrapperIN6hipcub16HIPCUB_304000_NS8EqualityEEEPlJS6_EEE10hipError_tPvRmT3_T4_T5_T6_T7_T9_mT8_P12ihipStream_tbDpT10_ENKUlT_T0_E_clISt17integral_constantIbLb0EES17_EEDaS12_S13_EUlS12_E_NS1_11comp_targetILNS1_3genE9ELNS1_11target_archE1100ELNS1_3gpuE3ELNS1_3repE0EEENS1_30default_config_static_selectorELNS0_4arch9wavefront6targetE1EEEvT1_,"axG",@progbits,_ZN7rocprim17ROCPRIM_400000_NS6detail17trampoline_kernelINS0_14default_configENS1_25partition_config_selectorILNS1_17partition_subalgoE8EiNS0_10empty_typeEbEEZZNS1_14partition_implILS5_8ELb0ES3_jPKiPS6_PKS6_NS0_5tupleIJPiS6_EEENSE_IJSB_SB_EEENS0_18inequality_wrapperIN6hipcub16HIPCUB_304000_NS8EqualityEEEPlJS6_EEE10hipError_tPvRmT3_T4_T5_T6_T7_T9_mT8_P12ihipStream_tbDpT10_ENKUlT_T0_E_clISt17integral_constantIbLb0EES17_EEDaS12_S13_EUlS12_E_NS1_11comp_targetILNS1_3genE9ELNS1_11target_archE1100ELNS1_3gpuE3ELNS1_3repE0EEENS1_30default_config_static_selectorELNS0_4arch9wavefront6targetE1EEEvT1_,comdat
	.protected	_ZN7rocprim17ROCPRIM_400000_NS6detail17trampoline_kernelINS0_14default_configENS1_25partition_config_selectorILNS1_17partition_subalgoE8EiNS0_10empty_typeEbEEZZNS1_14partition_implILS5_8ELb0ES3_jPKiPS6_PKS6_NS0_5tupleIJPiS6_EEENSE_IJSB_SB_EEENS0_18inequality_wrapperIN6hipcub16HIPCUB_304000_NS8EqualityEEEPlJS6_EEE10hipError_tPvRmT3_T4_T5_T6_T7_T9_mT8_P12ihipStream_tbDpT10_ENKUlT_T0_E_clISt17integral_constantIbLb0EES17_EEDaS12_S13_EUlS12_E_NS1_11comp_targetILNS1_3genE9ELNS1_11target_archE1100ELNS1_3gpuE3ELNS1_3repE0EEENS1_30default_config_static_selectorELNS0_4arch9wavefront6targetE1EEEvT1_ ; -- Begin function _ZN7rocprim17ROCPRIM_400000_NS6detail17trampoline_kernelINS0_14default_configENS1_25partition_config_selectorILNS1_17partition_subalgoE8EiNS0_10empty_typeEbEEZZNS1_14partition_implILS5_8ELb0ES3_jPKiPS6_PKS6_NS0_5tupleIJPiS6_EEENSE_IJSB_SB_EEENS0_18inequality_wrapperIN6hipcub16HIPCUB_304000_NS8EqualityEEEPlJS6_EEE10hipError_tPvRmT3_T4_T5_T6_T7_T9_mT8_P12ihipStream_tbDpT10_ENKUlT_T0_E_clISt17integral_constantIbLb0EES17_EEDaS12_S13_EUlS12_E_NS1_11comp_targetILNS1_3genE9ELNS1_11target_archE1100ELNS1_3gpuE3ELNS1_3repE0EEENS1_30default_config_static_selectorELNS0_4arch9wavefront6targetE1EEEvT1_
	.globl	_ZN7rocprim17ROCPRIM_400000_NS6detail17trampoline_kernelINS0_14default_configENS1_25partition_config_selectorILNS1_17partition_subalgoE8EiNS0_10empty_typeEbEEZZNS1_14partition_implILS5_8ELb0ES3_jPKiPS6_PKS6_NS0_5tupleIJPiS6_EEENSE_IJSB_SB_EEENS0_18inequality_wrapperIN6hipcub16HIPCUB_304000_NS8EqualityEEEPlJS6_EEE10hipError_tPvRmT3_T4_T5_T6_T7_T9_mT8_P12ihipStream_tbDpT10_ENKUlT_T0_E_clISt17integral_constantIbLb0EES17_EEDaS12_S13_EUlS12_E_NS1_11comp_targetILNS1_3genE9ELNS1_11target_archE1100ELNS1_3gpuE3ELNS1_3repE0EEENS1_30default_config_static_selectorELNS0_4arch9wavefront6targetE1EEEvT1_
	.p2align	8
	.type	_ZN7rocprim17ROCPRIM_400000_NS6detail17trampoline_kernelINS0_14default_configENS1_25partition_config_selectorILNS1_17partition_subalgoE8EiNS0_10empty_typeEbEEZZNS1_14partition_implILS5_8ELb0ES3_jPKiPS6_PKS6_NS0_5tupleIJPiS6_EEENSE_IJSB_SB_EEENS0_18inequality_wrapperIN6hipcub16HIPCUB_304000_NS8EqualityEEEPlJS6_EEE10hipError_tPvRmT3_T4_T5_T6_T7_T9_mT8_P12ihipStream_tbDpT10_ENKUlT_T0_E_clISt17integral_constantIbLb0EES17_EEDaS12_S13_EUlS12_E_NS1_11comp_targetILNS1_3genE9ELNS1_11target_archE1100ELNS1_3gpuE3ELNS1_3repE0EEENS1_30default_config_static_selectorELNS0_4arch9wavefront6targetE1EEEvT1_,@function
_ZN7rocprim17ROCPRIM_400000_NS6detail17trampoline_kernelINS0_14default_configENS1_25partition_config_selectorILNS1_17partition_subalgoE8EiNS0_10empty_typeEbEEZZNS1_14partition_implILS5_8ELb0ES3_jPKiPS6_PKS6_NS0_5tupleIJPiS6_EEENSE_IJSB_SB_EEENS0_18inequality_wrapperIN6hipcub16HIPCUB_304000_NS8EqualityEEEPlJS6_EEE10hipError_tPvRmT3_T4_T5_T6_T7_T9_mT8_P12ihipStream_tbDpT10_ENKUlT_T0_E_clISt17integral_constantIbLb0EES17_EEDaS12_S13_EUlS12_E_NS1_11comp_targetILNS1_3genE9ELNS1_11target_archE1100ELNS1_3gpuE3ELNS1_3repE0EEENS1_30default_config_static_selectorELNS0_4arch9wavefront6targetE1EEEvT1_: ; @_ZN7rocprim17ROCPRIM_400000_NS6detail17trampoline_kernelINS0_14default_configENS1_25partition_config_selectorILNS1_17partition_subalgoE8EiNS0_10empty_typeEbEEZZNS1_14partition_implILS5_8ELb0ES3_jPKiPS6_PKS6_NS0_5tupleIJPiS6_EEENSE_IJSB_SB_EEENS0_18inequality_wrapperIN6hipcub16HIPCUB_304000_NS8EqualityEEEPlJS6_EEE10hipError_tPvRmT3_T4_T5_T6_T7_T9_mT8_P12ihipStream_tbDpT10_ENKUlT_T0_E_clISt17integral_constantIbLb0EES17_EEDaS12_S13_EUlS12_E_NS1_11comp_targetILNS1_3genE9ELNS1_11target_archE1100ELNS1_3gpuE3ELNS1_3repE0EEENS1_30default_config_static_selectorELNS0_4arch9wavefront6targetE1EEEvT1_
; %bb.0:
	.section	.rodata,"a",@progbits
	.p2align	6, 0x0
	.amdhsa_kernel _ZN7rocprim17ROCPRIM_400000_NS6detail17trampoline_kernelINS0_14default_configENS1_25partition_config_selectorILNS1_17partition_subalgoE8EiNS0_10empty_typeEbEEZZNS1_14partition_implILS5_8ELb0ES3_jPKiPS6_PKS6_NS0_5tupleIJPiS6_EEENSE_IJSB_SB_EEENS0_18inequality_wrapperIN6hipcub16HIPCUB_304000_NS8EqualityEEEPlJS6_EEE10hipError_tPvRmT3_T4_T5_T6_T7_T9_mT8_P12ihipStream_tbDpT10_ENKUlT_T0_E_clISt17integral_constantIbLb0EES17_EEDaS12_S13_EUlS12_E_NS1_11comp_targetILNS1_3genE9ELNS1_11target_archE1100ELNS1_3gpuE3ELNS1_3repE0EEENS1_30default_config_static_selectorELNS0_4arch9wavefront6targetE1EEEvT1_
		.amdhsa_group_segment_fixed_size 0
		.amdhsa_private_segment_fixed_size 0
		.amdhsa_kernarg_size 112
		.amdhsa_user_sgpr_count 2
		.amdhsa_user_sgpr_dispatch_ptr 0
		.amdhsa_user_sgpr_queue_ptr 0
		.amdhsa_user_sgpr_kernarg_segment_ptr 1
		.amdhsa_user_sgpr_dispatch_id 0
		.amdhsa_user_sgpr_kernarg_preload_length 0
		.amdhsa_user_sgpr_kernarg_preload_offset 0
		.amdhsa_user_sgpr_private_segment_size 0
		.amdhsa_uses_dynamic_stack 0
		.amdhsa_enable_private_segment 0
		.amdhsa_system_sgpr_workgroup_id_x 1
		.amdhsa_system_sgpr_workgroup_id_y 0
		.amdhsa_system_sgpr_workgroup_id_z 0
		.amdhsa_system_sgpr_workgroup_info 0
		.amdhsa_system_vgpr_workitem_id 0
		.amdhsa_next_free_vgpr 1
		.amdhsa_next_free_sgpr 0
		.amdhsa_accum_offset 4
		.amdhsa_reserve_vcc 0
		.amdhsa_float_round_mode_32 0
		.amdhsa_float_round_mode_16_64 0
		.amdhsa_float_denorm_mode_32 3
		.amdhsa_float_denorm_mode_16_64 3
		.amdhsa_dx10_clamp 1
		.amdhsa_ieee_mode 1
		.amdhsa_fp16_overflow 0
		.amdhsa_tg_split 0
		.amdhsa_exception_fp_ieee_invalid_op 0
		.amdhsa_exception_fp_denorm_src 0
		.amdhsa_exception_fp_ieee_div_zero 0
		.amdhsa_exception_fp_ieee_overflow 0
		.amdhsa_exception_fp_ieee_underflow 0
		.amdhsa_exception_fp_ieee_inexact 0
		.amdhsa_exception_int_div_zero 0
	.end_amdhsa_kernel
	.section	.text._ZN7rocprim17ROCPRIM_400000_NS6detail17trampoline_kernelINS0_14default_configENS1_25partition_config_selectorILNS1_17partition_subalgoE8EiNS0_10empty_typeEbEEZZNS1_14partition_implILS5_8ELb0ES3_jPKiPS6_PKS6_NS0_5tupleIJPiS6_EEENSE_IJSB_SB_EEENS0_18inequality_wrapperIN6hipcub16HIPCUB_304000_NS8EqualityEEEPlJS6_EEE10hipError_tPvRmT3_T4_T5_T6_T7_T9_mT8_P12ihipStream_tbDpT10_ENKUlT_T0_E_clISt17integral_constantIbLb0EES17_EEDaS12_S13_EUlS12_E_NS1_11comp_targetILNS1_3genE9ELNS1_11target_archE1100ELNS1_3gpuE3ELNS1_3repE0EEENS1_30default_config_static_selectorELNS0_4arch9wavefront6targetE1EEEvT1_,"axG",@progbits,_ZN7rocprim17ROCPRIM_400000_NS6detail17trampoline_kernelINS0_14default_configENS1_25partition_config_selectorILNS1_17partition_subalgoE8EiNS0_10empty_typeEbEEZZNS1_14partition_implILS5_8ELb0ES3_jPKiPS6_PKS6_NS0_5tupleIJPiS6_EEENSE_IJSB_SB_EEENS0_18inequality_wrapperIN6hipcub16HIPCUB_304000_NS8EqualityEEEPlJS6_EEE10hipError_tPvRmT3_T4_T5_T6_T7_T9_mT8_P12ihipStream_tbDpT10_ENKUlT_T0_E_clISt17integral_constantIbLb0EES17_EEDaS12_S13_EUlS12_E_NS1_11comp_targetILNS1_3genE9ELNS1_11target_archE1100ELNS1_3gpuE3ELNS1_3repE0EEENS1_30default_config_static_selectorELNS0_4arch9wavefront6targetE1EEEvT1_,comdat
.Lfunc_end184:
	.size	_ZN7rocprim17ROCPRIM_400000_NS6detail17trampoline_kernelINS0_14default_configENS1_25partition_config_selectorILNS1_17partition_subalgoE8EiNS0_10empty_typeEbEEZZNS1_14partition_implILS5_8ELb0ES3_jPKiPS6_PKS6_NS0_5tupleIJPiS6_EEENSE_IJSB_SB_EEENS0_18inequality_wrapperIN6hipcub16HIPCUB_304000_NS8EqualityEEEPlJS6_EEE10hipError_tPvRmT3_T4_T5_T6_T7_T9_mT8_P12ihipStream_tbDpT10_ENKUlT_T0_E_clISt17integral_constantIbLb0EES17_EEDaS12_S13_EUlS12_E_NS1_11comp_targetILNS1_3genE9ELNS1_11target_archE1100ELNS1_3gpuE3ELNS1_3repE0EEENS1_30default_config_static_selectorELNS0_4arch9wavefront6targetE1EEEvT1_, .Lfunc_end184-_ZN7rocprim17ROCPRIM_400000_NS6detail17trampoline_kernelINS0_14default_configENS1_25partition_config_selectorILNS1_17partition_subalgoE8EiNS0_10empty_typeEbEEZZNS1_14partition_implILS5_8ELb0ES3_jPKiPS6_PKS6_NS0_5tupleIJPiS6_EEENSE_IJSB_SB_EEENS0_18inequality_wrapperIN6hipcub16HIPCUB_304000_NS8EqualityEEEPlJS6_EEE10hipError_tPvRmT3_T4_T5_T6_T7_T9_mT8_P12ihipStream_tbDpT10_ENKUlT_T0_E_clISt17integral_constantIbLb0EES17_EEDaS12_S13_EUlS12_E_NS1_11comp_targetILNS1_3genE9ELNS1_11target_archE1100ELNS1_3gpuE3ELNS1_3repE0EEENS1_30default_config_static_selectorELNS0_4arch9wavefront6targetE1EEEvT1_
                                        ; -- End function
	.section	.AMDGPU.csdata,"",@progbits
; Kernel info:
; codeLenInByte = 0
; NumSgprs: 6
; NumVgprs: 0
; NumAgprs: 0
; TotalNumVgprs: 0
; ScratchSize: 0
; MemoryBound: 0
; FloatMode: 240
; IeeeMode: 1
; LDSByteSize: 0 bytes/workgroup (compile time only)
; SGPRBlocks: 0
; VGPRBlocks: 0
; NumSGPRsForWavesPerEU: 6
; NumVGPRsForWavesPerEU: 1
; AccumOffset: 4
; Occupancy: 8
; WaveLimiterHint : 0
; COMPUTE_PGM_RSRC2:SCRATCH_EN: 0
; COMPUTE_PGM_RSRC2:USER_SGPR: 2
; COMPUTE_PGM_RSRC2:TRAP_HANDLER: 0
; COMPUTE_PGM_RSRC2:TGID_X_EN: 1
; COMPUTE_PGM_RSRC2:TGID_Y_EN: 0
; COMPUTE_PGM_RSRC2:TGID_Z_EN: 0
; COMPUTE_PGM_RSRC2:TIDIG_COMP_CNT: 0
; COMPUTE_PGM_RSRC3_GFX90A:ACCUM_OFFSET: 0
; COMPUTE_PGM_RSRC3_GFX90A:TG_SPLIT: 0
	.section	.text._ZN7rocprim17ROCPRIM_400000_NS6detail17trampoline_kernelINS0_14default_configENS1_25partition_config_selectorILNS1_17partition_subalgoE8EiNS0_10empty_typeEbEEZZNS1_14partition_implILS5_8ELb0ES3_jPKiPS6_PKS6_NS0_5tupleIJPiS6_EEENSE_IJSB_SB_EEENS0_18inequality_wrapperIN6hipcub16HIPCUB_304000_NS8EqualityEEEPlJS6_EEE10hipError_tPvRmT3_T4_T5_T6_T7_T9_mT8_P12ihipStream_tbDpT10_ENKUlT_T0_E_clISt17integral_constantIbLb0EES17_EEDaS12_S13_EUlS12_E_NS1_11comp_targetILNS1_3genE8ELNS1_11target_archE1030ELNS1_3gpuE2ELNS1_3repE0EEENS1_30default_config_static_selectorELNS0_4arch9wavefront6targetE1EEEvT1_,"axG",@progbits,_ZN7rocprim17ROCPRIM_400000_NS6detail17trampoline_kernelINS0_14default_configENS1_25partition_config_selectorILNS1_17partition_subalgoE8EiNS0_10empty_typeEbEEZZNS1_14partition_implILS5_8ELb0ES3_jPKiPS6_PKS6_NS0_5tupleIJPiS6_EEENSE_IJSB_SB_EEENS0_18inequality_wrapperIN6hipcub16HIPCUB_304000_NS8EqualityEEEPlJS6_EEE10hipError_tPvRmT3_T4_T5_T6_T7_T9_mT8_P12ihipStream_tbDpT10_ENKUlT_T0_E_clISt17integral_constantIbLb0EES17_EEDaS12_S13_EUlS12_E_NS1_11comp_targetILNS1_3genE8ELNS1_11target_archE1030ELNS1_3gpuE2ELNS1_3repE0EEENS1_30default_config_static_selectorELNS0_4arch9wavefront6targetE1EEEvT1_,comdat
	.protected	_ZN7rocprim17ROCPRIM_400000_NS6detail17trampoline_kernelINS0_14default_configENS1_25partition_config_selectorILNS1_17partition_subalgoE8EiNS0_10empty_typeEbEEZZNS1_14partition_implILS5_8ELb0ES3_jPKiPS6_PKS6_NS0_5tupleIJPiS6_EEENSE_IJSB_SB_EEENS0_18inequality_wrapperIN6hipcub16HIPCUB_304000_NS8EqualityEEEPlJS6_EEE10hipError_tPvRmT3_T4_T5_T6_T7_T9_mT8_P12ihipStream_tbDpT10_ENKUlT_T0_E_clISt17integral_constantIbLb0EES17_EEDaS12_S13_EUlS12_E_NS1_11comp_targetILNS1_3genE8ELNS1_11target_archE1030ELNS1_3gpuE2ELNS1_3repE0EEENS1_30default_config_static_selectorELNS0_4arch9wavefront6targetE1EEEvT1_ ; -- Begin function _ZN7rocprim17ROCPRIM_400000_NS6detail17trampoline_kernelINS0_14default_configENS1_25partition_config_selectorILNS1_17partition_subalgoE8EiNS0_10empty_typeEbEEZZNS1_14partition_implILS5_8ELb0ES3_jPKiPS6_PKS6_NS0_5tupleIJPiS6_EEENSE_IJSB_SB_EEENS0_18inequality_wrapperIN6hipcub16HIPCUB_304000_NS8EqualityEEEPlJS6_EEE10hipError_tPvRmT3_T4_T5_T6_T7_T9_mT8_P12ihipStream_tbDpT10_ENKUlT_T0_E_clISt17integral_constantIbLb0EES17_EEDaS12_S13_EUlS12_E_NS1_11comp_targetILNS1_3genE8ELNS1_11target_archE1030ELNS1_3gpuE2ELNS1_3repE0EEENS1_30default_config_static_selectorELNS0_4arch9wavefront6targetE1EEEvT1_
	.globl	_ZN7rocprim17ROCPRIM_400000_NS6detail17trampoline_kernelINS0_14default_configENS1_25partition_config_selectorILNS1_17partition_subalgoE8EiNS0_10empty_typeEbEEZZNS1_14partition_implILS5_8ELb0ES3_jPKiPS6_PKS6_NS0_5tupleIJPiS6_EEENSE_IJSB_SB_EEENS0_18inequality_wrapperIN6hipcub16HIPCUB_304000_NS8EqualityEEEPlJS6_EEE10hipError_tPvRmT3_T4_T5_T6_T7_T9_mT8_P12ihipStream_tbDpT10_ENKUlT_T0_E_clISt17integral_constantIbLb0EES17_EEDaS12_S13_EUlS12_E_NS1_11comp_targetILNS1_3genE8ELNS1_11target_archE1030ELNS1_3gpuE2ELNS1_3repE0EEENS1_30default_config_static_selectorELNS0_4arch9wavefront6targetE1EEEvT1_
	.p2align	8
	.type	_ZN7rocprim17ROCPRIM_400000_NS6detail17trampoline_kernelINS0_14default_configENS1_25partition_config_selectorILNS1_17partition_subalgoE8EiNS0_10empty_typeEbEEZZNS1_14partition_implILS5_8ELb0ES3_jPKiPS6_PKS6_NS0_5tupleIJPiS6_EEENSE_IJSB_SB_EEENS0_18inequality_wrapperIN6hipcub16HIPCUB_304000_NS8EqualityEEEPlJS6_EEE10hipError_tPvRmT3_T4_T5_T6_T7_T9_mT8_P12ihipStream_tbDpT10_ENKUlT_T0_E_clISt17integral_constantIbLb0EES17_EEDaS12_S13_EUlS12_E_NS1_11comp_targetILNS1_3genE8ELNS1_11target_archE1030ELNS1_3gpuE2ELNS1_3repE0EEENS1_30default_config_static_selectorELNS0_4arch9wavefront6targetE1EEEvT1_,@function
_ZN7rocprim17ROCPRIM_400000_NS6detail17trampoline_kernelINS0_14default_configENS1_25partition_config_selectorILNS1_17partition_subalgoE8EiNS0_10empty_typeEbEEZZNS1_14partition_implILS5_8ELb0ES3_jPKiPS6_PKS6_NS0_5tupleIJPiS6_EEENSE_IJSB_SB_EEENS0_18inequality_wrapperIN6hipcub16HIPCUB_304000_NS8EqualityEEEPlJS6_EEE10hipError_tPvRmT3_T4_T5_T6_T7_T9_mT8_P12ihipStream_tbDpT10_ENKUlT_T0_E_clISt17integral_constantIbLb0EES17_EEDaS12_S13_EUlS12_E_NS1_11comp_targetILNS1_3genE8ELNS1_11target_archE1030ELNS1_3gpuE2ELNS1_3repE0EEENS1_30default_config_static_selectorELNS0_4arch9wavefront6targetE1EEEvT1_: ; @_ZN7rocprim17ROCPRIM_400000_NS6detail17trampoline_kernelINS0_14default_configENS1_25partition_config_selectorILNS1_17partition_subalgoE8EiNS0_10empty_typeEbEEZZNS1_14partition_implILS5_8ELb0ES3_jPKiPS6_PKS6_NS0_5tupleIJPiS6_EEENSE_IJSB_SB_EEENS0_18inequality_wrapperIN6hipcub16HIPCUB_304000_NS8EqualityEEEPlJS6_EEE10hipError_tPvRmT3_T4_T5_T6_T7_T9_mT8_P12ihipStream_tbDpT10_ENKUlT_T0_E_clISt17integral_constantIbLb0EES17_EEDaS12_S13_EUlS12_E_NS1_11comp_targetILNS1_3genE8ELNS1_11target_archE1030ELNS1_3gpuE2ELNS1_3repE0EEENS1_30default_config_static_selectorELNS0_4arch9wavefront6targetE1EEEvT1_
; %bb.0:
	.section	.rodata,"a",@progbits
	.p2align	6, 0x0
	.amdhsa_kernel _ZN7rocprim17ROCPRIM_400000_NS6detail17trampoline_kernelINS0_14default_configENS1_25partition_config_selectorILNS1_17partition_subalgoE8EiNS0_10empty_typeEbEEZZNS1_14partition_implILS5_8ELb0ES3_jPKiPS6_PKS6_NS0_5tupleIJPiS6_EEENSE_IJSB_SB_EEENS0_18inequality_wrapperIN6hipcub16HIPCUB_304000_NS8EqualityEEEPlJS6_EEE10hipError_tPvRmT3_T4_T5_T6_T7_T9_mT8_P12ihipStream_tbDpT10_ENKUlT_T0_E_clISt17integral_constantIbLb0EES17_EEDaS12_S13_EUlS12_E_NS1_11comp_targetILNS1_3genE8ELNS1_11target_archE1030ELNS1_3gpuE2ELNS1_3repE0EEENS1_30default_config_static_selectorELNS0_4arch9wavefront6targetE1EEEvT1_
		.amdhsa_group_segment_fixed_size 0
		.amdhsa_private_segment_fixed_size 0
		.amdhsa_kernarg_size 112
		.amdhsa_user_sgpr_count 2
		.amdhsa_user_sgpr_dispatch_ptr 0
		.amdhsa_user_sgpr_queue_ptr 0
		.amdhsa_user_sgpr_kernarg_segment_ptr 1
		.amdhsa_user_sgpr_dispatch_id 0
		.amdhsa_user_sgpr_kernarg_preload_length 0
		.amdhsa_user_sgpr_kernarg_preload_offset 0
		.amdhsa_user_sgpr_private_segment_size 0
		.amdhsa_uses_dynamic_stack 0
		.amdhsa_enable_private_segment 0
		.amdhsa_system_sgpr_workgroup_id_x 1
		.amdhsa_system_sgpr_workgroup_id_y 0
		.amdhsa_system_sgpr_workgroup_id_z 0
		.amdhsa_system_sgpr_workgroup_info 0
		.amdhsa_system_vgpr_workitem_id 0
		.amdhsa_next_free_vgpr 1
		.amdhsa_next_free_sgpr 0
		.amdhsa_accum_offset 4
		.amdhsa_reserve_vcc 0
		.amdhsa_float_round_mode_32 0
		.amdhsa_float_round_mode_16_64 0
		.amdhsa_float_denorm_mode_32 3
		.amdhsa_float_denorm_mode_16_64 3
		.amdhsa_dx10_clamp 1
		.amdhsa_ieee_mode 1
		.amdhsa_fp16_overflow 0
		.amdhsa_tg_split 0
		.amdhsa_exception_fp_ieee_invalid_op 0
		.amdhsa_exception_fp_denorm_src 0
		.amdhsa_exception_fp_ieee_div_zero 0
		.amdhsa_exception_fp_ieee_overflow 0
		.amdhsa_exception_fp_ieee_underflow 0
		.amdhsa_exception_fp_ieee_inexact 0
		.amdhsa_exception_int_div_zero 0
	.end_amdhsa_kernel
	.section	.text._ZN7rocprim17ROCPRIM_400000_NS6detail17trampoline_kernelINS0_14default_configENS1_25partition_config_selectorILNS1_17partition_subalgoE8EiNS0_10empty_typeEbEEZZNS1_14partition_implILS5_8ELb0ES3_jPKiPS6_PKS6_NS0_5tupleIJPiS6_EEENSE_IJSB_SB_EEENS0_18inequality_wrapperIN6hipcub16HIPCUB_304000_NS8EqualityEEEPlJS6_EEE10hipError_tPvRmT3_T4_T5_T6_T7_T9_mT8_P12ihipStream_tbDpT10_ENKUlT_T0_E_clISt17integral_constantIbLb0EES17_EEDaS12_S13_EUlS12_E_NS1_11comp_targetILNS1_3genE8ELNS1_11target_archE1030ELNS1_3gpuE2ELNS1_3repE0EEENS1_30default_config_static_selectorELNS0_4arch9wavefront6targetE1EEEvT1_,"axG",@progbits,_ZN7rocprim17ROCPRIM_400000_NS6detail17trampoline_kernelINS0_14default_configENS1_25partition_config_selectorILNS1_17partition_subalgoE8EiNS0_10empty_typeEbEEZZNS1_14partition_implILS5_8ELb0ES3_jPKiPS6_PKS6_NS0_5tupleIJPiS6_EEENSE_IJSB_SB_EEENS0_18inequality_wrapperIN6hipcub16HIPCUB_304000_NS8EqualityEEEPlJS6_EEE10hipError_tPvRmT3_T4_T5_T6_T7_T9_mT8_P12ihipStream_tbDpT10_ENKUlT_T0_E_clISt17integral_constantIbLb0EES17_EEDaS12_S13_EUlS12_E_NS1_11comp_targetILNS1_3genE8ELNS1_11target_archE1030ELNS1_3gpuE2ELNS1_3repE0EEENS1_30default_config_static_selectorELNS0_4arch9wavefront6targetE1EEEvT1_,comdat
.Lfunc_end185:
	.size	_ZN7rocprim17ROCPRIM_400000_NS6detail17trampoline_kernelINS0_14default_configENS1_25partition_config_selectorILNS1_17partition_subalgoE8EiNS0_10empty_typeEbEEZZNS1_14partition_implILS5_8ELb0ES3_jPKiPS6_PKS6_NS0_5tupleIJPiS6_EEENSE_IJSB_SB_EEENS0_18inequality_wrapperIN6hipcub16HIPCUB_304000_NS8EqualityEEEPlJS6_EEE10hipError_tPvRmT3_T4_T5_T6_T7_T9_mT8_P12ihipStream_tbDpT10_ENKUlT_T0_E_clISt17integral_constantIbLb0EES17_EEDaS12_S13_EUlS12_E_NS1_11comp_targetILNS1_3genE8ELNS1_11target_archE1030ELNS1_3gpuE2ELNS1_3repE0EEENS1_30default_config_static_selectorELNS0_4arch9wavefront6targetE1EEEvT1_, .Lfunc_end185-_ZN7rocprim17ROCPRIM_400000_NS6detail17trampoline_kernelINS0_14default_configENS1_25partition_config_selectorILNS1_17partition_subalgoE8EiNS0_10empty_typeEbEEZZNS1_14partition_implILS5_8ELb0ES3_jPKiPS6_PKS6_NS0_5tupleIJPiS6_EEENSE_IJSB_SB_EEENS0_18inequality_wrapperIN6hipcub16HIPCUB_304000_NS8EqualityEEEPlJS6_EEE10hipError_tPvRmT3_T4_T5_T6_T7_T9_mT8_P12ihipStream_tbDpT10_ENKUlT_T0_E_clISt17integral_constantIbLb0EES17_EEDaS12_S13_EUlS12_E_NS1_11comp_targetILNS1_3genE8ELNS1_11target_archE1030ELNS1_3gpuE2ELNS1_3repE0EEENS1_30default_config_static_selectorELNS0_4arch9wavefront6targetE1EEEvT1_
                                        ; -- End function
	.section	.AMDGPU.csdata,"",@progbits
; Kernel info:
; codeLenInByte = 0
; NumSgprs: 6
; NumVgprs: 0
; NumAgprs: 0
; TotalNumVgprs: 0
; ScratchSize: 0
; MemoryBound: 0
; FloatMode: 240
; IeeeMode: 1
; LDSByteSize: 0 bytes/workgroup (compile time only)
; SGPRBlocks: 0
; VGPRBlocks: 0
; NumSGPRsForWavesPerEU: 6
; NumVGPRsForWavesPerEU: 1
; AccumOffset: 4
; Occupancy: 8
; WaveLimiterHint : 0
; COMPUTE_PGM_RSRC2:SCRATCH_EN: 0
; COMPUTE_PGM_RSRC2:USER_SGPR: 2
; COMPUTE_PGM_RSRC2:TRAP_HANDLER: 0
; COMPUTE_PGM_RSRC2:TGID_X_EN: 1
; COMPUTE_PGM_RSRC2:TGID_Y_EN: 0
; COMPUTE_PGM_RSRC2:TGID_Z_EN: 0
; COMPUTE_PGM_RSRC2:TIDIG_COMP_CNT: 0
; COMPUTE_PGM_RSRC3_GFX90A:ACCUM_OFFSET: 0
; COMPUTE_PGM_RSRC3_GFX90A:TG_SPLIT: 0
	.section	.text._ZN7rocprim17ROCPRIM_400000_NS6detail17trampoline_kernelINS0_14default_configENS1_25transform_config_selectorImLb1EEEZNS1_14transform_implILb1ES3_S5_PmPlNS0_8identityIvEEEE10hipError_tT2_T3_mT4_P12ihipStream_tbEUlT_E_NS1_11comp_targetILNS1_3genE0ELNS1_11target_archE4294967295ELNS1_3gpuE0ELNS1_3repE0EEENS1_30default_config_static_selectorELNS0_4arch9wavefront6targetE1EEEvT1_,"axG",@progbits,_ZN7rocprim17ROCPRIM_400000_NS6detail17trampoline_kernelINS0_14default_configENS1_25transform_config_selectorImLb1EEEZNS1_14transform_implILb1ES3_S5_PmPlNS0_8identityIvEEEE10hipError_tT2_T3_mT4_P12ihipStream_tbEUlT_E_NS1_11comp_targetILNS1_3genE0ELNS1_11target_archE4294967295ELNS1_3gpuE0ELNS1_3repE0EEENS1_30default_config_static_selectorELNS0_4arch9wavefront6targetE1EEEvT1_,comdat
	.protected	_ZN7rocprim17ROCPRIM_400000_NS6detail17trampoline_kernelINS0_14default_configENS1_25transform_config_selectorImLb1EEEZNS1_14transform_implILb1ES3_S5_PmPlNS0_8identityIvEEEE10hipError_tT2_T3_mT4_P12ihipStream_tbEUlT_E_NS1_11comp_targetILNS1_3genE0ELNS1_11target_archE4294967295ELNS1_3gpuE0ELNS1_3repE0EEENS1_30default_config_static_selectorELNS0_4arch9wavefront6targetE1EEEvT1_ ; -- Begin function _ZN7rocprim17ROCPRIM_400000_NS6detail17trampoline_kernelINS0_14default_configENS1_25transform_config_selectorImLb1EEEZNS1_14transform_implILb1ES3_S5_PmPlNS0_8identityIvEEEE10hipError_tT2_T3_mT4_P12ihipStream_tbEUlT_E_NS1_11comp_targetILNS1_3genE0ELNS1_11target_archE4294967295ELNS1_3gpuE0ELNS1_3repE0EEENS1_30default_config_static_selectorELNS0_4arch9wavefront6targetE1EEEvT1_
	.globl	_ZN7rocprim17ROCPRIM_400000_NS6detail17trampoline_kernelINS0_14default_configENS1_25transform_config_selectorImLb1EEEZNS1_14transform_implILb1ES3_S5_PmPlNS0_8identityIvEEEE10hipError_tT2_T3_mT4_P12ihipStream_tbEUlT_E_NS1_11comp_targetILNS1_3genE0ELNS1_11target_archE4294967295ELNS1_3gpuE0ELNS1_3repE0EEENS1_30default_config_static_selectorELNS0_4arch9wavefront6targetE1EEEvT1_
	.p2align	8
	.type	_ZN7rocprim17ROCPRIM_400000_NS6detail17trampoline_kernelINS0_14default_configENS1_25transform_config_selectorImLb1EEEZNS1_14transform_implILb1ES3_S5_PmPlNS0_8identityIvEEEE10hipError_tT2_T3_mT4_P12ihipStream_tbEUlT_E_NS1_11comp_targetILNS1_3genE0ELNS1_11target_archE4294967295ELNS1_3gpuE0ELNS1_3repE0EEENS1_30default_config_static_selectorELNS0_4arch9wavefront6targetE1EEEvT1_,@function
_ZN7rocprim17ROCPRIM_400000_NS6detail17trampoline_kernelINS0_14default_configENS1_25transform_config_selectorImLb1EEEZNS1_14transform_implILb1ES3_S5_PmPlNS0_8identityIvEEEE10hipError_tT2_T3_mT4_P12ihipStream_tbEUlT_E_NS1_11comp_targetILNS1_3genE0ELNS1_11target_archE4294967295ELNS1_3gpuE0ELNS1_3repE0EEENS1_30default_config_static_selectorELNS0_4arch9wavefront6targetE1EEEvT1_: ; @_ZN7rocprim17ROCPRIM_400000_NS6detail17trampoline_kernelINS0_14default_configENS1_25transform_config_selectorImLb1EEEZNS1_14transform_implILb1ES3_S5_PmPlNS0_8identityIvEEEE10hipError_tT2_T3_mT4_P12ihipStream_tbEUlT_E_NS1_11comp_targetILNS1_3genE0ELNS1_11target_archE4294967295ELNS1_3gpuE0ELNS1_3repE0EEENS1_30default_config_static_selectorELNS0_4arch9wavefront6targetE1EEEvT1_
; %bb.0:
	.section	.rodata,"a",@progbits
	.p2align	6, 0x0
	.amdhsa_kernel _ZN7rocprim17ROCPRIM_400000_NS6detail17trampoline_kernelINS0_14default_configENS1_25transform_config_selectorImLb1EEEZNS1_14transform_implILb1ES3_S5_PmPlNS0_8identityIvEEEE10hipError_tT2_T3_mT4_P12ihipStream_tbEUlT_E_NS1_11comp_targetILNS1_3genE0ELNS1_11target_archE4294967295ELNS1_3gpuE0ELNS1_3repE0EEENS1_30default_config_static_selectorELNS0_4arch9wavefront6targetE1EEEvT1_
		.amdhsa_group_segment_fixed_size 0
		.amdhsa_private_segment_fixed_size 0
		.amdhsa_kernarg_size 40
		.amdhsa_user_sgpr_count 2
		.amdhsa_user_sgpr_dispatch_ptr 0
		.amdhsa_user_sgpr_queue_ptr 0
		.amdhsa_user_sgpr_kernarg_segment_ptr 1
		.amdhsa_user_sgpr_dispatch_id 0
		.amdhsa_user_sgpr_kernarg_preload_length 0
		.amdhsa_user_sgpr_kernarg_preload_offset 0
		.amdhsa_user_sgpr_private_segment_size 0
		.amdhsa_uses_dynamic_stack 0
		.amdhsa_enable_private_segment 0
		.amdhsa_system_sgpr_workgroup_id_x 1
		.amdhsa_system_sgpr_workgroup_id_y 0
		.amdhsa_system_sgpr_workgroup_id_z 0
		.amdhsa_system_sgpr_workgroup_info 0
		.amdhsa_system_vgpr_workitem_id 0
		.amdhsa_next_free_vgpr 1
		.amdhsa_next_free_sgpr 0
		.amdhsa_accum_offset 4
		.amdhsa_reserve_vcc 0
		.amdhsa_float_round_mode_32 0
		.amdhsa_float_round_mode_16_64 0
		.amdhsa_float_denorm_mode_32 3
		.amdhsa_float_denorm_mode_16_64 3
		.amdhsa_dx10_clamp 1
		.amdhsa_ieee_mode 1
		.amdhsa_fp16_overflow 0
		.amdhsa_tg_split 0
		.amdhsa_exception_fp_ieee_invalid_op 0
		.amdhsa_exception_fp_denorm_src 0
		.amdhsa_exception_fp_ieee_div_zero 0
		.amdhsa_exception_fp_ieee_overflow 0
		.amdhsa_exception_fp_ieee_underflow 0
		.amdhsa_exception_fp_ieee_inexact 0
		.amdhsa_exception_int_div_zero 0
	.end_amdhsa_kernel
	.section	.text._ZN7rocprim17ROCPRIM_400000_NS6detail17trampoline_kernelINS0_14default_configENS1_25transform_config_selectorImLb1EEEZNS1_14transform_implILb1ES3_S5_PmPlNS0_8identityIvEEEE10hipError_tT2_T3_mT4_P12ihipStream_tbEUlT_E_NS1_11comp_targetILNS1_3genE0ELNS1_11target_archE4294967295ELNS1_3gpuE0ELNS1_3repE0EEENS1_30default_config_static_selectorELNS0_4arch9wavefront6targetE1EEEvT1_,"axG",@progbits,_ZN7rocprim17ROCPRIM_400000_NS6detail17trampoline_kernelINS0_14default_configENS1_25transform_config_selectorImLb1EEEZNS1_14transform_implILb1ES3_S5_PmPlNS0_8identityIvEEEE10hipError_tT2_T3_mT4_P12ihipStream_tbEUlT_E_NS1_11comp_targetILNS1_3genE0ELNS1_11target_archE4294967295ELNS1_3gpuE0ELNS1_3repE0EEENS1_30default_config_static_selectorELNS0_4arch9wavefront6targetE1EEEvT1_,comdat
.Lfunc_end186:
	.size	_ZN7rocprim17ROCPRIM_400000_NS6detail17trampoline_kernelINS0_14default_configENS1_25transform_config_selectorImLb1EEEZNS1_14transform_implILb1ES3_S5_PmPlNS0_8identityIvEEEE10hipError_tT2_T3_mT4_P12ihipStream_tbEUlT_E_NS1_11comp_targetILNS1_3genE0ELNS1_11target_archE4294967295ELNS1_3gpuE0ELNS1_3repE0EEENS1_30default_config_static_selectorELNS0_4arch9wavefront6targetE1EEEvT1_, .Lfunc_end186-_ZN7rocprim17ROCPRIM_400000_NS6detail17trampoline_kernelINS0_14default_configENS1_25transform_config_selectorImLb1EEEZNS1_14transform_implILb1ES3_S5_PmPlNS0_8identityIvEEEE10hipError_tT2_T3_mT4_P12ihipStream_tbEUlT_E_NS1_11comp_targetILNS1_3genE0ELNS1_11target_archE4294967295ELNS1_3gpuE0ELNS1_3repE0EEENS1_30default_config_static_selectorELNS0_4arch9wavefront6targetE1EEEvT1_
                                        ; -- End function
	.section	.AMDGPU.csdata,"",@progbits
; Kernel info:
; codeLenInByte = 0
; NumSgprs: 6
; NumVgprs: 0
; NumAgprs: 0
; TotalNumVgprs: 0
; ScratchSize: 0
; MemoryBound: 0
; FloatMode: 240
; IeeeMode: 1
; LDSByteSize: 0 bytes/workgroup (compile time only)
; SGPRBlocks: 0
; VGPRBlocks: 0
; NumSGPRsForWavesPerEU: 6
; NumVGPRsForWavesPerEU: 1
; AccumOffset: 4
; Occupancy: 8
; WaveLimiterHint : 0
; COMPUTE_PGM_RSRC2:SCRATCH_EN: 0
; COMPUTE_PGM_RSRC2:USER_SGPR: 2
; COMPUTE_PGM_RSRC2:TRAP_HANDLER: 0
; COMPUTE_PGM_RSRC2:TGID_X_EN: 1
; COMPUTE_PGM_RSRC2:TGID_Y_EN: 0
; COMPUTE_PGM_RSRC2:TGID_Z_EN: 0
; COMPUTE_PGM_RSRC2:TIDIG_COMP_CNT: 0
; COMPUTE_PGM_RSRC3_GFX90A:ACCUM_OFFSET: 0
; COMPUTE_PGM_RSRC3_GFX90A:TG_SPLIT: 0
	.section	.text._ZN7rocprim17ROCPRIM_400000_NS6detail17trampoline_kernelINS0_14default_configENS1_25transform_config_selectorImLb1EEEZNS1_14transform_implILb1ES3_S5_PmPlNS0_8identityIvEEEE10hipError_tT2_T3_mT4_P12ihipStream_tbEUlT_E_NS1_11comp_targetILNS1_3genE10ELNS1_11target_archE1201ELNS1_3gpuE5ELNS1_3repE0EEENS1_30default_config_static_selectorELNS0_4arch9wavefront6targetE1EEEvT1_,"axG",@progbits,_ZN7rocprim17ROCPRIM_400000_NS6detail17trampoline_kernelINS0_14default_configENS1_25transform_config_selectorImLb1EEEZNS1_14transform_implILb1ES3_S5_PmPlNS0_8identityIvEEEE10hipError_tT2_T3_mT4_P12ihipStream_tbEUlT_E_NS1_11comp_targetILNS1_3genE10ELNS1_11target_archE1201ELNS1_3gpuE5ELNS1_3repE0EEENS1_30default_config_static_selectorELNS0_4arch9wavefront6targetE1EEEvT1_,comdat
	.protected	_ZN7rocprim17ROCPRIM_400000_NS6detail17trampoline_kernelINS0_14default_configENS1_25transform_config_selectorImLb1EEEZNS1_14transform_implILb1ES3_S5_PmPlNS0_8identityIvEEEE10hipError_tT2_T3_mT4_P12ihipStream_tbEUlT_E_NS1_11comp_targetILNS1_3genE10ELNS1_11target_archE1201ELNS1_3gpuE5ELNS1_3repE0EEENS1_30default_config_static_selectorELNS0_4arch9wavefront6targetE1EEEvT1_ ; -- Begin function _ZN7rocprim17ROCPRIM_400000_NS6detail17trampoline_kernelINS0_14default_configENS1_25transform_config_selectorImLb1EEEZNS1_14transform_implILb1ES3_S5_PmPlNS0_8identityIvEEEE10hipError_tT2_T3_mT4_P12ihipStream_tbEUlT_E_NS1_11comp_targetILNS1_3genE10ELNS1_11target_archE1201ELNS1_3gpuE5ELNS1_3repE0EEENS1_30default_config_static_selectorELNS0_4arch9wavefront6targetE1EEEvT1_
	.globl	_ZN7rocprim17ROCPRIM_400000_NS6detail17trampoline_kernelINS0_14default_configENS1_25transform_config_selectorImLb1EEEZNS1_14transform_implILb1ES3_S5_PmPlNS0_8identityIvEEEE10hipError_tT2_T3_mT4_P12ihipStream_tbEUlT_E_NS1_11comp_targetILNS1_3genE10ELNS1_11target_archE1201ELNS1_3gpuE5ELNS1_3repE0EEENS1_30default_config_static_selectorELNS0_4arch9wavefront6targetE1EEEvT1_
	.p2align	8
	.type	_ZN7rocprim17ROCPRIM_400000_NS6detail17trampoline_kernelINS0_14default_configENS1_25transform_config_selectorImLb1EEEZNS1_14transform_implILb1ES3_S5_PmPlNS0_8identityIvEEEE10hipError_tT2_T3_mT4_P12ihipStream_tbEUlT_E_NS1_11comp_targetILNS1_3genE10ELNS1_11target_archE1201ELNS1_3gpuE5ELNS1_3repE0EEENS1_30default_config_static_selectorELNS0_4arch9wavefront6targetE1EEEvT1_,@function
_ZN7rocprim17ROCPRIM_400000_NS6detail17trampoline_kernelINS0_14default_configENS1_25transform_config_selectorImLb1EEEZNS1_14transform_implILb1ES3_S5_PmPlNS0_8identityIvEEEE10hipError_tT2_T3_mT4_P12ihipStream_tbEUlT_E_NS1_11comp_targetILNS1_3genE10ELNS1_11target_archE1201ELNS1_3gpuE5ELNS1_3repE0EEENS1_30default_config_static_selectorELNS0_4arch9wavefront6targetE1EEEvT1_: ; @_ZN7rocprim17ROCPRIM_400000_NS6detail17trampoline_kernelINS0_14default_configENS1_25transform_config_selectorImLb1EEEZNS1_14transform_implILb1ES3_S5_PmPlNS0_8identityIvEEEE10hipError_tT2_T3_mT4_P12ihipStream_tbEUlT_E_NS1_11comp_targetILNS1_3genE10ELNS1_11target_archE1201ELNS1_3gpuE5ELNS1_3repE0EEENS1_30default_config_static_selectorELNS0_4arch9wavefront6targetE1EEEvT1_
; %bb.0:
	.section	.rodata,"a",@progbits
	.p2align	6, 0x0
	.amdhsa_kernel _ZN7rocprim17ROCPRIM_400000_NS6detail17trampoline_kernelINS0_14default_configENS1_25transform_config_selectorImLb1EEEZNS1_14transform_implILb1ES3_S5_PmPlNS0_8identityIvEEEE10hipError_tT2_T3_mT4_P12ihipStream_tbEUlT_E_NS1_11comp_targetILNS1_3genE10ELNS1_11target_archE1201ELNS1_3gpuE5ELNS1_3repE0EEENS1_30default_config_static_selectorELNS0_4arch9wavefront6targetE1EEEvT1_
		.amdhsa_group_segment_fixed_size 0
		.amdhsa_private_segment_fixed_size 0
		.amdhsa_kernarg_size 40
		.amdhsa_user_sgpr_count 2
		.amdhsa_user_sgpr_dispatch_ptr 0
		.amdhsa_user_sgpr_queue_ptr 0
		.amdhsa_user_sgpr_kernarg_segment_ptr 1
		.amdhsa_user_sgpr_dispatch_id 0
		.amdhsa_user_sgpr_kernarg_preload_length 0
		.amdhsa_user_sgpr_kernarg_preload_offset 0
		.amdhsa_user_sgpr_private_segment_size 0
		.amdhsa_uses_dynamic_stack 0
		.amdhsa_enable_private_segment 0
		.amdhsa_system_sgpr_workgroup_id_x 1
		.amdhsa_system_sgpr_workgroup_id_y 0
		.amdhsa_system_sgpr_workgroup_id_z 0
		.amdhsa_system_sgpr_workgroup_info 0
		.amdhsa_system_vgpr_workitem_id 0
		.amdhsa_next_free_vgpr 1
		.amdhsa_next_free_sgpr 0
		.amdhsa_accum_offset 4
		.amdhsa_reserve_vcc 0
		.amdhsa_float_round_mode_32 0
		.amdhsa_float_round_mode_16_64 0
		.amdhsa_float_denorm_mode_32 3
		.amdhsa_float_denorm_mode_16_64 3
		.amdhsa_dx10_clamp 1
		.amdhsa_ieee_mode 1
		.amdhsa_fp16_overflow 0
		.amdhsa_tg_split 0
		.amdhsa_exception_fp_ieee_invalid_op 0
		.amdhsa_exception_fp_denorm_src 0
		.amdhsa_exception_fp_ieee_div_zero 0
		.amdhsa_exception_fp_ieee_overflow 0
		.amdhsa_exception_fp_ieee_underflow 0
		.amdhsa_exception_fp_ieee_inexact 0
		.amdhsa_exception_int_div_zero 0
	.end_amdhsa_kernel
	.section	.text._ZN7rocprim17ROCPRIM_400000_NS6detail17trampoline_kernelINS0_14default_configENS1_25transform_config_selectorImLb1EEEZNS1_14transform_implILb1ES3_S5_PmPlNS0_8identityIvEEEE10hipError_tT2_T3_mT4_P12ihipStream_tbEUlT_E_NS1_11comp_targetILNS1_3genE10ELNS1_11target_archE1201ELNS1_3gpuE5ELNS1_3repE0EEENS1_30default_config_static_selectorELNS0_4arch9wavefront6targetE1EEEvT1_,"axG",@progbits,_ZN7rocprim17ROCPRIM_400000_NS6detail17trampoline_kernelINS0_14default_configENS1_25transform_config_selectorImLb1EEEZNS1_14transform_implILb1ES3_S5_PmPlNS0_8identityIvEEEE10hipError_tT2_T3_mT4_P12ihipStream_tbEUlT_E_NS1_11comp_targetILNS1_3genE10ELNS1_11target_archE1201ELNS1_3gpuE5ELNS1_3repE0EEENS1_30default_config_static_selectorELNS0_4arch9wavefront6targetE1EEEvT1_,comdat
.Lfunc_end187:
	.size	_ZN7rocprim17ROCPRIM_400000_NS6detail17trampoline_kernelINS0_14default_configENS1_25transform_config_selectorImLb1EEEZNS1_14transform_implILb1ES3_S5_PmPlNS0_8identityIvEEEE10hipError_tT2_T3_mT4_P12ihipStream_tbEUlT_E_NS1_11comp_targetILNS1_3genE10ELNS1_11target_archE1201ELNS1_3gpuE5ELNS1_3repE0EEENS1_30default_config_static_selectorELNS0_4arch9wavefront6targetE1EEEvT1_, .Lfunc_end187-_ZN7rocprim17ROCPRIM_400000_NS6detail17trampoline_kernelINS0_14default_configENS1_25transform_config_selectorImLb1EEEZNS1_14transform_implILb1ES3_S5_PmPlNS0_8identityIvEEEE10hipError_tT2_T3_mT4_P12ihipStream_tbEUlT_E_NS1_11comp_targetILNS1_3genE10ELNS1_11target_archE1201ELNS1_3gpuE5ELNS1_3repE0EEENS1_30default_config_static_selectorELNS0_4arch9wavefront6targetE1EEEvT1_
                                        ; -- End function
	.section	.AMDGPU.csdata,"",@progbits
; Kernel info:
; codeLenInByte = 0
; NumSgprs: 6
; NumVgprs: 0
; NumAgprs: 0
; TotalNumVgprs: 0
; ScratchSize: 0
; MemoryBound: 0
; FloatMode: 240
; IeeeMode: 1
; LDSByteSize: 0 bytes/workgroup (compile time only)
; SGPRBlocks: 0
; VGPRBlocks: 0
; NumSGPRsForWavesPerEU: 6
; NumVGPRsForWavesPerEU: 1
; AccumOffset: 4
; Occupancy: 8
; WaveLimiterHint : 0
; COMPUTE_PGM_RSRC2:SCRATCH_EN: 0
; COMPUTE_PGM_RSRC2:USER_SGPR: 2
; COMPUTE_PGM_RSRC2:TRAP_HANDLER: 0
; COMPUTE_PGM_RSRC2:TGID_X_EN: 1
; COMPUTE_PGM_RSRC2:TGID_Y_EN: 0
; COMPUTE_PGM_RSRC2:TGID_Z_EN: 0
; COMPUTE_PGM_RSRC2:TIDIG_COMP_CNT: 0
; COMPUTE_PGM_RSRC3_GFX90A:ACCUM_OFFSET: 0
; COMPUTE_PGM_RSRC3_GFX90A:TG_SPLIT: 0
	.section	.text._ZN7rocprim17ROCPRIM_400000_NS6detail17trampoline_kernelINS0_14default_configENS1_25transform_config_selectorImLb1EEEZNS1_14transform_implILb1ES3_S5_PmPlNS0_8identityIvEEEE10hipError_tT2_T3_mT4_P12ihipStream_tbEUlT_E_NS1_11comp_targetILNS1_3genE5ELNS1_11target_archE942ELNS1_3gpuE9ELNS1_3repE0EEENS1_30default_config_static_selectorELNS0_4arch9wavefront6targetE1EEEvT1_,"axG",@progbits,_ZN7rocprim17ROCPRIM_400000_NS6detail17trampoline_kernelINS0_14default_configENS1_25transform_config_selectorImLb1EEEZNS1_14transform_implILb1ES3_S5_PmPlNS0_8identityIvEEEE10hipError_tT2_T3_mT4_P12ihipStream_tbEUlT_E_NS1_11comp_targetILNS1_3genE5ELNS1_11target_archE942ELNS1_3gpuE9ELNS1_3repE0EEENS1_30default_config_static_selectorELNS0_4arch9wavefront6targetE1EEEvT1_,comdat
	.protected	_ZN7rocprim17ROCPRIM_400000_NS6detail17trampoline_kernelINS0_14default_configENS1_25transform_config_selectorImLb1EEEZNS1_14transform_implILb1ES3_S5_PmPlNS0_8identityIvEEEE10hipError_tT2_T3_mT4_P12ihipStream_tbEUlT_E_NS1_11comp_targetILNS1_3genE5ELNS1_11target_archE942ELNS1_3gpuE9ELNS1_3repE0EEENS1_30default_config_static_selectorELNS0_4arch9wavefront6targetE1EEEvT1_ ; -- Begin function _ZN7rocprim17ROCPRIM_400000_NS6detail17trampoline_kernelINS0_14default_configENS1_25transform_config_selectorImLb1EEEZNS1_14transform_implILb1ES3_S5_PmPlNS0_8identityIvEEEE10hipError_tT2_T3_mT4_P12ihipStream_tbEUlT_E_NS1_11comp_targetILNS1_3genE5ELNS1_11target_archE942ELNS1_3gpuE9ELNS1_3repE0EEENS1_30default_config_static_selectorELNS0_4arch9wavefront6targetE1EEEvT1_
	.globl	_ZN7rocprim17ROCPRIM_400000_NS6detail17trampoline_kernelINS0_14default_configENS1_25transform_config_selectorImLb1EEEZNS1_14transform_implILb1ES3_S5_PmPlNS0_8identityIvEEEE10hipError_tT2_T3_mT4_P12ihipStream_tbEUlT_E_NS1_11comp_targetILNS1_3genE5ELNS1_11target_archE942ELNS1_3gpuE9ELNS1_3repE0EEENS1_30default_config_static_selectorELNS0_4arch9wavefront6targetE1EEEvT1_
	.p2align	8
	.type	_ZN7rocprim17ROCPRIM_400000_NS6detail17trampoline_kernelINS0_14default_configENS1_25transform_config_selectorImLb1EEEZNS1_14transform_implILb1ES3_S5_PmPlNS0_8identityIvEEEE10hipError_tT2_T3_mT4_P12ihipStream_tbEUlT_E_NS1_11comp_targetILNS1_3genE5ELNS1_11target_archE942ELNS1_3gpuE9ELNS1_3repE0EEENS1_30default_config_static_selectorELNS0_4arch9wavefront6targetE1EEEvT1_,@function
_ZN7rocprim17ROCPRIM_400000_NS6detail17trampoline_kernelINS0_14default_configENS1_25transform_config_selectorImLb1EEEZNS1_14transform_implILb1ES3_S5_PmPlNS0_8identityIvEEEE10hipError_tT2_T3_mT4_P12ihipStream_tbEUlT_E_NS1_11comp_targetILNS1_3genE5ELNS1_11target_archE942ELNS1_3gpuE9ELNS1_3repE0EEENS1_30default_config_static_selectorELNS0_4arch9wavefront6targetE1EEEvT1_: ; @_ZN7rocprim17ROCPRIM_400000_NS6detail17trampoline_kernelINS0_14default_configENS1_25transform_config_selectorImLb1EEEZNS1_14transform_implILb1ES3_S5_PmPlNS0_8identityIvEEEE10hipError_tT2_T3_mT4_P12ihipStream_tbEUlT_E_NS1_11comp_targetILNS1_3genE5ELNS1_11target_archE942ELNS1_3gpuE9ELNS1_3repE0EEENS1_30default_config_static_selectorELNS0_4arch9wavefront6targetE1EEEvT1_
; %bb.0:
	s_load_dwordx8 s[4:11], s[0:1], 0x0
	s_load_dword s3, s[0:1], 0x28
	s_waitcnt lgkmcnt(0)
	s_lshl_b64 s[0:1], s[6:7], 3
	s_add_u32 s6, s4, s0
	s_addc_u32 s7, s5, s1
	s_add_u32 s9, s10, s0
	s_addc_u32 s10, s11, s1
	s_lshl_b32 s0, s2, 10
	s_mov_b32 s1, 0
	s_add_i32 s3, s3, -1
	s_lshl_b64 s[4:5], s[0:1], 3
	s_add_u32 s6, s6, s4
	s_addc_u32 s7, s7, s5
	s_cmp_lg_u32 s2, s3
	s_mov_b64 s[2:3], -1
	s_cbranch_scc0 .LBB188_2
; %bb.1:
	v_lshlrev_b32_e32 v1, 4, v0
	global_load_dwordx4 v[2:5], v1, s[6:7] nt
	s_add_u32 s2, s9, s4
	s_addc_u32 s3, s10, s5
	s_waitcnt vmcnt(0)
	global_store_dwordx4 v1, v[2:5], s[2:3]
	s_mov_b64 s[2:3], 0
.LBB188_2:
	s_andn2_b64 vcc, exec, s[2:3]
	s_cbranch_vccnz .LBB188_11
; %bb.3:
	s_sub_i32 s2, s8, s0
	v_cmp_gt_u32_e32 vcc, s2, v0
	v_lshlrev_b32_e32 v6, 3, v0
                                        ; implicit-def: $vgpr2_vgpr3_vgpr4_vgpr5
	s_and_saveexec_b64 s[0:1], vcc
	s_cbranch_execz .LBB188_5
; %bb.4:
	global_load_dwordx2 v[2:3], v6, s[6:7]
.LBB188_5:
	s_or_b64 exec, exec, s[0:1]
	v_or_b32_e32 v0, 0x200, v0
	v_cmp_gt_u32_e64 s[0:1], s2, v0
	s_and_saveexec_b64 s[2:3], s[0:1]
	s_cbranch_execz .LBB188_7
; %bb.6:
	v_lshlrev_b32_e32 v0, 3, v0
	global_load_dwordx2 v[4:5], v0, s[6:7]
.LBB188_7:
	s_or_b64 exec, exec, s[2:3]
	s_add_u32 s2, s9, s4
	s_addc_u32 s3, s10, s5
	v_mov_b32_e32 v7, 0
	v_lshl_add_u64 v[0:1], s[2:3], 0, v[6:7]
	s_and_saveexec_b64 s[2:3], vcc
	s_cbranch_execz .LBB188_9
; %bb.8:
	s_waitcnt vmcnt(0)
	global_store_dwordx2 v[0:1], v[2:3], off
.LBB188_9:
	s_or_b64 exec, exec, s[2:3]
	s_and_saveexec_b64 s[2:3], s[0:1]
	s_cbranch_execz .LBB188_11
; %bb.10:
	v_add_co_u32_e32 v0, vcc, 0x1000, v0
	s_nop 1
	v_addc_co_u32_e32 v1, vcc, 0, v1, vcc
	s_waitcnt vmcnt(0)
	global_store_dwordx2 v[0:1], v[4:5], off
.LBB188_11:
	s_endpgm
	.section	.rodata,"a",@progbits
	.p2align	6, 0x0
	.amdhsa_kernel _ZN7rocprim17ROCPRIM_400000_NS6detail17trampoline_kernelINS0_14default_configENS1_25transform_config_selectorImLb1EEEZNS1_14transform_implILb1ES3_S5_PmPlNS0_8identityIvEEEE10hipError_tT2_T3_mT4_P12ihipStream_tbEUlT_E_NS1_11comp_targetILNS1_3genE5ELNS1_11target_archE942ELNS1_3gpuE9ELNS1_3repE0EEENS1_30default_config_static_selectorELNS0_4arch9wavefront6targetE1EEEvT1_
		.amdhsa_group_segment_fixed_size 0
		.amdhsa_private_segment_fixed_size 0
		.amdhsa_kernarg_size 296
		.amdhsa_user_sgpr_count 2
		.amdhsa_user_sgpr_dispatch_ptr 0
		.amdhsa_user_sgpr_queue_ptr 0
		.amdhsa_user_sgpr_kernarg_segment_ptr 1
		.amdhsa_user_sgpr_dispatch_id 0
		.amdhsa_user_sgpr_kernarg_preload_length 0
		.amdhsa_user_sgpr_kernarg_preload_offset 0
		.amdhsa_user_sgpr_private_segment_size 0
		.amdhsa_uses_dynamic_stack 0
		.amdhsa_enable_private_segment 0
		.amdhsa_system_sgpr_workgroup_id_x 1
		.amdhsa_system_sgpr_workgroup_id_y 0
		.amdhsa_system_sgpr_workgroup_id_z 0
		.amdhsa_system_sgpr_workgroup_info 0
		.amdhsa_system_vgpr_workitem_id 0
		.amdhsa_next_free_vgpr 8
		.amdhsa_next_free_sgpr 12
		.amdhsa_accum_offset 8
		.amdhsa_reserve_vcc 1
		.amdhsa_float_round_mode_32 0
		.amdhsa_float_round_mode_16_64 0
		.amdhsa_float_denorm_mode_32 3
		.amdhsa_float_denorm_mode_16_64 3
		.amdhsa_dx10_clamp 1
		.amdhsa_ieee_mode 1
		.amdhsa_fp16_overflow 0
		.amdhsa_tg_split 0
		.amdhsa_exception_fp_ieee_invalid_op 0
		.amdhsa_exception_fp_denorm_src 0
		.amdhsa_exception_fp_ieee_div_zero 0
		.amdhsa_exception_fp_ieee_overflow 0
		.amdhsa_exception_fp_ieee_underflow 0
		.amdhsa_exception_fp_ieee_inexact 0
		.amdhsa_exception_int_div_zero 0
	.end_amdhsa_kernel
	.section	.text._ZN7rocprim17ROCPRIM_400000_NS6detail17trampoline_kernelINS0_14default_configENS1_25transform_config_selectorImLb1EEEZNS1_14transform_implILb1ES3_S5_PmPlNS0_8identityIvEEEE10hipError_tT2_T3_mT4_P12ihipStream_tbEUlT_E_NS1_11comp_targetILNS1_3genE5ELNS1_11target_archE942ELNS1_3gpuE9ELNS1_3repE0EEENS1_30default_config_static_selectorELNS0_4arch9wavefront6targetE1EEEvT1_,"axG",@progbits,_ZN7rocprim17ROCPRIM_400000_NS6detail17trampoline_kernelINS0_14default_configENS1_25transform_config_selectorImLb1EEEZNS1_14transform_implILb1ES3_S5_PmPlNS0_8identityIvEEEE10hipError_tT2_T3_mT4_P12ihipStream_tbEUlT_E_NS1_11comp_targetILNS1_3genE5ELNS1_11target_archE942ELNS1_3gpuE9ELNS1_3repE0EEENS1_30default_config_static_selectorELNS0_4arch9wavefront6targetE1EEEvT1_,comdat
.Lfunc_end188:
	.size	_ZN7rocprim17ROCPRIM_400000_NS6detail17trampoline_kernelINS0_14default_configENS1_25transform_config_selectorImLb1EEEZNS1_14transform_implILb1ES3_S5_PmPlNS0_8identityIvEEEE10hipError_tT2_T3_mT4_P12ihipStream_tbEUlT_E_NS1_11comp_targetILNS1_3genE5ELNS1_11target_archE942ELNS1_3gpuE9ELNS1_3repE0EEENS1_30default_config_static_selectorELNS0_4arch9wavefront6targetE1EEEvT1_, .Lfunc_end188-_ZN7rocprim17ROCPRIM_400000_NS6detail17trampoline_kernelINS0_14default_configENS1_25transform_config_selectorImLb1EEEZNS1_14transform_implILb1ES3_S5_PmPlNS0_8identityIvEEEE10hipError_tT2_T3_mT4_P12ihipStream_tbEUlT_E_NS1_11comp_targetILNS1_3genE5ELNS1_11target_archE942ELNS1_3gpuE9ELNS1_3repE0EEENS1_30default_config_static_selectorELNS0_4arch9wavefront6targetE1EEEvT1_
                                        ; -- End function
	.section	.AMDGPU.csdata,"",@progbits
; Kernel info:
; codeLenInByte = 276
; NumSgprs: 18
; NumVgprs: 8
; NumAgprs: 0
; TotalNumVgprs: 8
; ScratchSize: 0
; MemoryBound: 1
; FloatMode: 240
; IeeeMode: 1
; LDSByteSize: 0 bytes/workgroup (compile time only)
; SGPRBlocks: 2
; VGPRBlocks: 0
; NumSGPRsForWavesPerEU: 18
; NumVGPRsForWavesPerEU: 8
; AccumOffset: 8
; Occupancy: 8
; WaveLimiterHint : 0
; COMPUTE_PGM_RSRC2:SCRATCH_EN: 0
; COMPUTE_PGM_RSRC2:USER_SGPR: 2
; COMPUTE_PGM_RSRC2:TRAP_HANDLER: 0
; COMPUTE_PGM_RSRC2:TGID_X_EN: 1
; COMPUTE_PGM_RSRC2:TGID_Y_EN: 0
; COMPUTE_PGM_RSRC2:TGID_Z_EN: 0
; COMPUTE_PGM_RSRC2:TIDIG_COMP_CNT: 0
; COMPUTE_PGM_RSRC3_GFX90A:ACCUM_OFFSET: 1
; COMPUTE_PGM_RSRC3_GFX90A:TG_SPLIT: 0
	.section	.text._ZN7rocprim17ROCPRIM_400000_NS6detail17trampoline_kernelINS0_14default_configENS1_25transform_config_selectorImLb1EEEZNS1_14transform_implILb1ES3_S5_PmPlNS0_8identityIvEEEE10hipError_tT2_T3_mT4_P12ihipStream_tbEUlT_E_NS1_11comp_targetILNS1_3genE4ELNS1_11target_archE910ELNS1_3gpuE8ELNS1_3repE0EEENS1_30default_config_static_selectorELNS0_4arch9wavefront6targetE1EEEvT1_,"axG",@progbits,_ZN7rocprim17ROCPRIM_400000_NS6detail17trampoline_kernelINS0_14default_configENS1_25transform_config_selectorImLb1EEEZNS1_14transform_implILb1ES3_S5_PmPlNS0_8identityIvEEEE10hipError_tT2_T3_mT4_P12ihipStream_tbEUlT_E_NS1_11comp_targetILNS1_3genE4ELNS1_11target_archE910ELNS1_3gpuE8ELNS1_3repE0EEENS1_30default_config_static_selectorELNS0_4arch9wavefront6targetE1EEEvT1_,comdat
	.protected	_ZN7rocprim17ROCPRIM_400000_NS6detail17trampoline_kernelINS0_14default_configENS1_25transform_config_selectorImLb1EEEZNS1_14transform_implILb1ES3_S5_PmPlNS0_8identityIvEEEE10hipError_tT2_T3_mT4_P12ihipStream_tbEUlT_E_NS1_11comp_targetILNS1_3genE4ELNS1_11target_archE910ELNS1_3gpuE8ELNS1_3repE0EEENS1_30default_config_static_selectorELNS0_4arch9wavefront6targetE1EEEvT1_ ; -- Begin function _ZN7rocprim17ROCPRIM_400000_NS6detail17trampoline_kernelINS0_14default_configENS1_25transform_config_selectorImLb1EEEZNS1_14transform_implILb1ES3_S5_PmPlNS0_8identityIvEEEE10hipError_tT2_T3_mT4_P12ihipStream_tbEUlT_E_NS1_11comp_targetILNS1_3genE4ELNS1_11target_archE910ELNS1_3gpuE8ELNS1_3repE0EEENS1_30default_config_static_selectorELNS0_4arch9wavefront6targetE1EEEvT1_
	.globl	_ZN7rocprim17ROCPRIM_400000_NS6detail17trampoline_kernelINS0_14default_configENS1_25transform_config_selectorImLb1EEEZNS1_14transform_implILb1ES3_S5_PmPlNS0_8identityIvEEEE10hipError_tT2_T3_mT4_P12ihipStream_tbEUlT_E_NS1_11comp_targetILNS1_3genE4ELNS1_11target_archE910ELNS1_3gpuE8ELNS1_3repE0EEENS1_30default_config_static_selectorELNS0_4arch9wavefront6targetE1EEEvT1_
	.p2align	8
	.type	_ZN7rocprim17ROCPRIM_400000_NS6detail17trampoline_kernelINS0_14default_configENS1_25transform_config_selectorImLb1EEEZNS1_14transform_implILb1ES3_S5_PmPlNS0_8identityIvEEEE10hipError_tT2_T3_mT4_P12ihipStream_tbEUlT_E_NS1_11comp_targetILNS1_3genE4ELNS1_11target_archE910ELNS1_3gpuE8ELNS1_3repE0EEENS1_30default_config_static_selectorELNS0_4arch9wavefront6targetE1EEEvT1_,@function
_ZN7rocprim17ROCPRIM_400000_NS6detail17trampoline_kernelINS0_14default_configENS1_25transform_config_selectorImLb1EEEZNS1_14transform_implILb1ES3_S5_PmPlNS0_8identityIvEEEE10hipError_tT2_T3_mT4_P12ihipStream_tbEUlT_E_NS1_11comp_targetILNS1_3genE4ELNS1_11target_archE910ELNS1_3gpuE8ELNS1_3repE0EEENS1_30default_config_static_selectorELNS0_4arch9wavefront6targetE1EEEvT1_: ; @_ZN7rocprim17ROCPRIM_400000_NS6detail17trampoline_kernelINS0_14default_configENS1_25transform_config_selectorImLb1EEEZNS1_14transform_implILb1ES3_S5_PmPlNS0_8identityIvEEEE10hipError_tT2_T3_mT4_P12ihipStream_tbEUlT_E_NS1_11comp_targetILNS1_3genE4ELNS1_11target_archE910ELNS1_3gpuE8ELNS1_3repE0EEENS1_30default_config_static_selectorELNS0_4arch9wavefront6targetE1EEEvT1_
; %bb.0:
	.section	.rodata,"a",@progbits
	.p2align	6, 0x0
	.amdhsa_kernel _ZN7rocprim17ROCPRIM_400000_NS6detail17trampoline_kernelINS0_14default_configENS1_25transform_config_selectorImLb1EEEZNS1_14transform_implILb1ES3_S5_PmPlNS0_8identityIvEEEE10hipError_tT2_T3_mT4_P12ihipStream_tbEUlT_E_NS1_11comp_targetILNS1_3genE4ELNS1_11target_archE910ELNS1_3gpuE8ELNS1_3repE0EEENS1_30default_config_static_selectorELNS0_4arch9wavefront6targetE1EEEvT1_
		.amdhsa_group_segment_fixed_size 0
		.amdhsa_private_segment_fixed_size 0
		.amdhsa_kernarg_size 40
		.amdhsa_user_sgpr_count 2
		.amdhsa_user_sgpr_dispatch_ptr 0
		.amdhsa_user_sgpr_queue_ptr 0
		.amdhsa_user_sgpr_kernarg_segment_ptr 1
		.amdhsa_user_sgpr_dispatch_id 0
		.amdhsa_user_sgpr_kernarg_preload_length 0
		.amdhsa_user_sgpr_kernarg_preload_offset 0
		.amdhsa_user_sgpr_private_segment_size 0
		.amdhsa_uses_dynamic_stack 0
		.amdhsa_enable_private_segment 0
		.amdhsa_system_sgpr_workgroup_id_x 1
		.amdhsa_system_sgpr_workgroup_id_y 0
		.amdhsa_system_sgpr_workgroup_id_z 0
		.amdhsa_system_sgpr_workgroup_info 0
		.amdhsa_system_vgpr_workitem_id 0
		.amdhsa_next_free_vgpr 1
		.amdhsa_next_free_sgpr 0
		.amdhsa_accum_offset 4
		.amdhsa_reserve_vcc 0
		.amdhsa_float_round_mode_32 0
		.amdhsa_float_round_mode_16_64 0
		.amdhsa_float_denorm_mode_32 3
		.amdhsa_float_denorm_mode_16_64 3
		.amdhsa_dx10_clamp 1
		.amdhsa_ieee_mode 1
		.amdhsa_fp16_overflow 0
		.amdhsa_tg_split 0
		.amdhsa_exception_fp_ieee_invalid_op 0
		.amdhsa_exception_fp_denorm_src 0
		.amdhsa_exception_fp_ieee_div_zero 0
		.amdhsa_exception_fp_ieee_overflow 0
		.amdhsa_exception_fp_ieee_underflow 0
		.amdhsa_exception_fp_ieee_inexact 0
		.amdhsa_exception_int_div_zero 0
	.end_amdhsa_kernel
	.section	.text._ZN7rocprim17ROCPRIM_400000_NS6detail17trampoline_kernelINS0_14default_configENS1_25transform_config_selectorImLb1EEEZNS1_14transform_implILb1ES3_S5_PmPlNS0_8identityIvEEEE10hipError_tT2_T3_mT4_P12ihipStream_tbEUlT_E_NS1_11comp_targetILNS1_3genE4ELNS1_11target_archE910ELNS1_3gpuE8ELNS1_3repE0EEENS1_30default_config_static_selectorELNS0_4arch9wavefront6targetE1EEEvT1_,"axG",@progbits,_ZN7rocprim17ROCPRIM_400000_NS6detail17trampoline_kernelINS0_14default_configENS1_25transform_config_selectorImLb1EEEZNS1_14transform_implILb1ES3_S5_PmPlNS0_8identityIvEEEE10hipError_tT2_T3_mT4_P12ihipStream_tbEUlT_E_NS1_11comp_targetILNS1_3genE4ELNS1_11target_archE910ELNS1_3gpuE8ELNS1_3repE0EEENS1_30default_config_static_selectorELNS0_4arch9wavefront6targetE1EEEvT1_,comdat
.Lfunc_end189:
	.size	_ZN7rocprim17ROCPRIM_400000_NS6detail17trampoline_kernelINS0_14default_configENS1_25transform_config_selectorImLb1EEEZNS1_14transform_implILb1ES3_S5_PmPlNS0_8identityIvEEEE10hipError_tT2_T3_mT4_P12ihipStream_tbEUlT_E_NS1_11comp_targetILNS1_3genE4ELNS1_11target_archE910ELNS1_3gpuE8ELNS1_3repE0EEENS1_30default_config_static_selectorELNS0_4arch9wavefront6targetE1EEEvT1_, .Lfunc_end189-_ZN7rocprim17ROCPRIM_400000_NS6detail17trampoline_kernelINS0_14default_configENS1_25transform_config_selectorImLb1EEEZNS1_14transform_implILb1ES3_S5_PmPlNS0_8identityIvEEEE10hipError_tT2_T3_mT4_P12ihipStream_tbEUlT_E_NS1_11comp_targetILNS1_3genE4ELNS1_11target_archE910ELNS1_3gpuE8ELNS1_3repE0EEENS1_30default_config_static_selectorELNS0_4arch9wavefront6targetE1EEEvT1_
                                        ; -- End function
	.section	.AMDGPU.csdata,"",@progbits
; Kernel info:
; codeLenInByte = 0
; NumSgprs: 6
; NumVgprs: 0
; NumAgprs: 0
; TotalNumVgprs: 0
; ScratchSize: 0
; MemoryBound: 0
; FloatMode: 240
; IeeeMode: 1
; LDSByteSize: 0 bytes/workgroup (compile time only)
; SGPRBlocks: 0
; VGPRBlocks: 0
; NumSGPRsForWavesPerEU: 6
; NumVGPRsForWavesPerEU: 1
; AccumOffset: 4
; Occupancy: 8
; WaveLimiterHint : 0
; COMPUTE_PGM_RSRC2:SCRATCH_EN: 0
; COMPUTE_PGM_RSRC2:USER_SGPR: 2
; COMPUTE_PGM_RSRC2:TRAP_HANDLER: 0
; COMPUTE_PGM_RSRC2:TGID_X_EN: 1
; COMPUTE_PGM_RSRC2:TGID_Y_EN: 0
; COMPUTE_PGM_RSRC2:TGID_Z_EN: 0
; COMPUTE_PGM_RSRC2:TIDIG_COMP_CNT: 0
; COMPUTE_PGM_RSRC3_GFX90A:ACCUM_OFFSET: 0
; COMPUTE_PGM_RSRC3_GFX90A:TG_SPLIT: 0
	.section	.text._ZN7rocprim17ROCPRIM_400000_NS6detail17trampoline_kernelINS0_14default_configENS1_25transform_config_selectorImLb1EEEZNS1_14transform_implILb1ES3_S5_PmPlNS0_8identityIvEEEE10hipError_tT2_T3_mT4_P12ihipStream_tbEUlT_E_NS1_11comp_targetILNS1_3genE3ELNS1_11target_archE908ELNS1_3gpuE7ELNS1_3repE0EEENS1_30default_config_static_selectorELNS0_4arch9wavefront6targetE1EEEvT1_,"axG",@progbits,_ZN7rocprim17ROCPRIM_400000_NS6detail17trampoline_kernelINS0_14default_configENS1_25transform_config_selectorImLb1EEEZNS1_14transform_implILb1ES3_S5_PmPlNS0_8identityIvEEEE10hipError_tT2_T3_mT4_P12ihipStream_tbEUlT_E_NS1_11comp_targetILNS1_3genE3ELNS1_11target_archE908ELNS1_3gpuE7ELNS1_3repE0EEENS1_30default_config_static_selectorELNS0_4arch9wavefront6targetE1EEEvT1_,comdat
	.protected	_ZN7rocprim17ROCPRIM_400000_NS6detail17trampoline_kernelINS0_14default_configENS1_25transform_config_selectorImLb1EEEZNS1_14transform_implILb1ES3_S5_PmPlNS0_8identityIvEEEE10hipError_tT2_T3_mT4_P12ihipStream_tbEUlT_E_NS1_11comp_targetILNS1_3genE3ELNS1_11target_archE908ELNS1_3gpuE7ELNS1_3repE0EEENS1_30default_config_static_selectorELNS0_4arch9wavefront6targetE1EEEvT1_ ; -- Begin function _ZN7rocprim17ROCPRIM_400000_NS6detail17trampoline_kernelINS0_14default_configENS1_25transform_config_selectorImLb1EEEZNS1_14transform_implILb1ES3_S5_PmPlNS0_8identityIvEEEE10hipError_tT2_T3_mT4_P12ihipStream_tbEUlT_E_NS1_11comp_targetILNS1_3genE3ELNS1_11target_archE908ELNS1_3gpuE7ELNS1_3repE0EEENS1_30default_config_static_selectorELNS0_4arch9wavefront6targetE1EEEvT1_
	.globl	_ZN7rocprim17ROCPRIM_400000_NS6detail17trampoline_kernelINS0_14default_configENS1_25transform_config_selectorImLb1EEEZNS1_14transform_implILb1ES3_S5_PmPlNS0_8identityIvEEEE10hipError_tT2_T3_mT4_P12ihipStream_tbEUlT_E_NS1_11comp_targetILNS1_3genE3ELNS1_11target_archE908ELNS1_3gpuE7ELNS1_3repE0EEENS1_30default_config_static_selectorELNS0_4arch9wavefront6targetE1EEEvT1_
	.p2align	8
	.type	_ZN7rocprim17ROCPRIM_400000_NS6detail17trampoline_kernelINS0_14default_configENS1_25transform_config_selectorImLb1EEEZNS1_14transform_implILb1ES3_S5_PmPlNS0_8identityIvEEEE10hipError_tT2_T3_mT4_P12ihipStream_tbEUlT_E_NS1_11comp_targetILNS1_3genE3ELNS1_11target_archE908ELNS1_3gpuE7ELNS1_3repE0EEENS1_30default_config_static_selectorELNS0_4arch9wavefront6targetE1EEEvT1_,@function
_ZN7rocprim17ROCPRIM_400000_NS6detail17trampoline_kernelINS0_14default_configENS1_25transform_config_selectorImLb1EEEZNS1_14transform_implILb1ES3_S5_PmPlNS0_8identityIvEEEE10hipError_tT2_T3_mT4_P12ihipStream_tbEUlT_E_NS1_11comp_targetILNS1_3genE3ELNS1_11target_archE908ELNS1_3gpuE7ELNS1_3repE0EEENS1_30default_config_static_selectorELNS0_4arch9wavefront6targetE1EEEvT1_: ; @_ZN7rocprim17ROCPRIM_400000_NS6detail17trampoline_kernelINS0_14default_configENS1_25transform_config_selectorImLb1EEEZNS1_14transform_implILb1ES3_S5_PmPlNS0_8identityIvEEEE10hipError_tT2_T3_mT4_P12ihipStream_tbEUlT_E_NS1_11comp_targetILNS1_3genE3ELNS1_11target_archE908ELNS1_3gpuE7ELNS1_3repE0EEENS1_30default_config_static_selectorELNS0_4arch9wavefront6targetE1EEEvT1_
; %bb.0:
	.section	.rodata,"a",@progbits
	.p2align	6, 0x0
	.amdhsa_kernel _ZN7rocprim17ROCPRIM_400000_NS6detail17trampoline_kernelINS0_14default_configENS1_25transform_config_selectorImLb1EEEZNS1_14transform_implILb1ES3_S5_PmPlNS0_8identityIvEEEE10hipError_tT2_T3_mT4_P12ihipStream_tbEUlT_E_NS1_11comp_targetILNS1_3genE3ELNS1_11target_archE908ELNS1_3gpuE7ELNS1_3repE0EEENS1_30default_config_static_selectorELNS0_4arch9wavefront6targetE1EEEvT1_
		.amdhsa_group_segment_fixed_size 0
		.amdhsa_private_segment_fixed_size 0
		.amdhsa_kernarg_size 40
		.amdhsa_user_sgpr_count 2
		.amdhsa_user_sgpr_dispatch_ptr 0
		.amdhsa_user_sgpr_queue_ptr 0
		.amdhsa_user_sgpr_kernarg_segment_ptr 1
		.amdhsa_user_sgpr_dispatch_id 0
		.amdhsa_user_sgpr_kernarg_preload_length 0
		.amdhsa_user_sgpr_kernarg_preload_offset 0
		.amdhsa_user_sgpr_private_segment_size 0
		.amdhsa_uses_dynamic_stack 0
		.amdhsa_enable_private_segment 0
		.amdhsa_system_sgpr_workgroup_id_x 1
		.amdhsa_system_sgpr_workgroup_id_y 0
		.amdhsa_system_sgpr_workgroup_id_z 0
		.amdhsa_system_sgpr_workgroup_info 0
		.amdhsa_system_vgpr_workitem_id 0
		.amdhsa_next_free_vgpr 1
		.amdhsa_next_free_sgpr 0
		.amdhsa_accum_offset 4
		.amdhsa_reserve_vcc 0
		.amdhsa_float_round_mode_32 0
		.amdhsa_float_round_mode_16_64 0
		.amdhsa_float_denorm_mode_32 3
		.amdhsa_float_denorm_mode_16_64 3
		.amdhsa_dx10_clamp 1
		.amdhsa_ieee_mode 1
		.amdhsa_fp16_overflow 0
		.amdhsa_tg_split 0
		.amdhsa_exception_fp_ieee_invalid_op 0
		.amdhsa_exception_fp_denorm_src 0
		.amdhsa_exception_fp_ieee_div_zero 0
		.amdhsa_exception_fp_ieee_overflow 0
		.amdhsa_exception_fp_ieee_underflow 0
		.amdhsa_exception_fp_ieee_inexact 0
		.amdhsa_exception_int_div_zero 0
	.end_amdhsa_kernel
	.section	.text._ZN7rocprim17ROCPRIM_400000_NS6detail17trampoline_kernelINS0_14default_configENS1_25transform_config_selectorImLb1EEEZNS1_14transform_implILb1ES3_S5_PmPlNS0_8identityIvEEEE10hipError_tT2_T3_mT4_P12ihipStream_tbEUlT_E_NS1_11comp_targetILNS1_3genE3ELNS1_11target_archE908ELNS1_3gpuE7ELNS1_3repE0EEENS1_30default_config_static_selectorELNS0_4arch9wavefront6targetE1EEEvT1_,"axG",@progbits,_ZN7rocprim17ROCPRIM_400000_NS6detail17trampoline_kernelINS0_14default_configENS1_25transform_config_selectorImLb1EEEZNS1_14transform_implILb1ES3_S5_PmPlNS0_8identityIvEEEE10hipError_tT2_T3_mT4_P12ihipStream_tbEUlT_E_NS1_11comp_targetILNS1_3genE3ELNS1_11target_archE908ELNS1_3gpuE7ELNS1_3repE0EEENS1_30default_config_static_selectorELNS0_4arch9wavefront6targetE1EEEvT1_,comdat
.Lfunc_end190:
	.size	_ZN7rocprim17ROCPRIM_400000_NS6detail17trampoline_kernelINS0_14default_configENS1_25transform_config_selectorImLb1EEEZNS1_14transform_implILb1ES3_S5_PmPlNS0_8identityIvEEEE10hipError_tT2_T3_mT4_P12ihipStream_tbEUlT_E_NS1_11comp_targetILNS1_3genE3ELNS1_11target_archE908ELNS1_3gpuE7ELNS1_3repE0EEENS1_30default_config_static_selectorELNS0_4arch9wavefront6targetE1EEEvT1_, .Lfunc_end190-_ZN7rocprim17ROCPRIM_400000_NS6detail17trampoline_kernelINS0_14default_configENS1_25transform_config_selectorImLb1EEEZNS1_14transform_implILb1ES3_S5_PmPlNS0_8identityIvEEEE10hipError_tT2_T3_mT4_P12ihipStream_tbEUlT_E_NS1_11comp_targetILNS1_3genE3ELNS1_11target_archE908ELNS1_3gpuE7ELNS1_3repE0EEENS1_30default_config_static_selectorELNS0_4arch9wavefront6targetE1EEEvT1_
                                        ; -- End function
	.section	.AMDGPU.csdata,"",@progbits
; Kernel info:
; codeLenInByte = 0
; NumSgprs: 6
; NumVgprs: 0
; NumAgprs: 0
; TotalNumVgprs: 0
; ScratchSize: 0
; MemoryBound: 0
; FloatMode: 240
; IeeeMode: 1
; LDSByteSize: 0 bytes/workgroup (compile time only)
; SGPRBlocks: 0
; VGPRBlocks: 0
; NumSGPRsForWavesPerEU: 6
; NumVGPRsForWavesPerEU: 1
; AccumOffset: 4
; Occupancy: 8
; WaveLimiterHint : 0
; COMPUTE_PGM_RSRC2:SCRATCH_EN: 0
; COMPUTE_PGM_RSRC2:USER_SGPR: 2
; COMPUTE_PGM_RSRC2:TRAP_HANDLER: 0
; COMPUTE_PGM_RSRC2:TGID_X_EN: 1
; COMPUTE_PGM_RSRC2:TGID_Y_EN: 0
; COMPUTE_PGM_RSRC2:TGID_Z_EN: 0
; COMPUTE_PGM_RSRC2:TIDIG_COMP_CNT: 0
; COMPUTE_PGM_RSRC3_GFX90A:ACCUM_OFFSET: 0
; COMPUTE_PGM_RSRC3_GFX90A:TG_SPLIT: 0
	.section	.text._ZN7rocprim17ROCPRIM_400000_NS6detail17trampoline_kernelINS0_14default_configENS1_25transform_config_selectorImLb1EEEZNS1_14transform_implILb1ES3_S5_PmPlNS0_8identityIvEEEE10hipError_tT2_T3_mT4_P12ihipStream_tbEUlT_E_NS1_11comp_targetILNS1_3genE2ELNS1_11target_archE906ELNS1_3gpuE6ELNS1_3repE0EEENS1_30default_config_static_selectorELNS0_4arch9wavefront6targetE1EEEvT1_,"axG",@progbits,_ZN7rocprim17ROCPRIM_400000_NS6detail17trampoline_kernelINS0_14default_configENS1_25transform_config_selectorImLb1EEEZNS1_14transform_implILb1ES3_S5_PmPlNS0_8identityIvEEEE10hipError_tT2_T3_mT4_P12ihipStream_tbEUlT_E_NS1_11comp_targetILNS1_3genE2ELNS1_11target_archE906ELNS1_3gpuE6ELNS1_3repE0EEENS1_30default_config_static_selectorELNS0_4arch9wavefront6targetE1EEEvT1_,comdat
	.protected	_ZN7rocprim17ROCPRIM_400000_NS6detail17trampoline_kernelINS0_14default_configENS1_25transform_config_selectorImLb1EEEZNS1_14transform_implILb1ES3_S5_PmPlNS0_8identityIvEEEE10hipError_tT2_T3_mT4_P12ihipStream_tbEUlT_E_NS1_11comp_targetILNS1_3genE2ELNS1_11target_archE906ELNS1_3gpuE6ELNS1_3repE0EEENS1_30default_config_static_selectorELNS0_4arch9wavefront6targetE1EEEvT1_ ; -- Begin function _ZN7rocprim17ROCPRIM_400000_NS6detail17trampoline_kernelINS0_14default_configENS1_25transform_config_selectorImLb1EEEZNS1_14transform_implILb1ES3_S5_PmPlNS0_8identityIvEEEE10hipError_tT2_T3_mT4_P12ihipStream_tbEUlT_E_NS1_11comp_targetILNS1_3genE2ELNS1_11target_archE906ELNS1_3gpuE6ELNS1_3repE0EEENS1_30default_config_static_selectorELNS0_4arch9wavefront6targetE1EEEvT1_
	.globl	_ZN7rocprim17ROCPRIM_400000_NS6detail17trampoline_kernelINS0_14default_configENS1_25transform_config_selectorImLb1EEEZNS1_14transform_implILb1ES3_S5_PmPlNS0_8identityIvEEEE10hipError_tT2_T3_mT4_P12ihipStream_tbEUlT_E_NS1_11comp_targetILNS1_3genE2ELNS1_11target_archE906ELNS1_3gpuE6ELNS1_3repE0EEENS1_30default_config_static_selectorELNS0_4arch9wavefront6targetE1EEEvT1_
	.p2align	8
	.type	_ZN7rocprim17ROCPRIM_400000_NS6detail17trampoline_kernelINS0_14default_configENS1_25transform_config_selectorImLb1EEEZNS1_14transform_implILb1ES3_S5_PmPlNS0_8identityIvEEEE10hipError_tT2_T3_mT4_P12ihipStream_tbEUlT_E_NS1_11comp_targetILNS1_3genE2ELNS1_11target_archE906ELNS1_3gpuE6ELNS1_3repE0EEENS1_30default_config_static_selectorELNS0_4arch9wavefront6targetE1EEEvT1_,@function
_ZN7rocprim17ROCPRIM_400000_NS6detail17trampoline_kernelINS0_14default_configENS1_25transform_config_selectorImLb1EEEZNS1_14transform_implILb1ES3_S5_PmPlNS0_8identityIvEEEE10hipError_tT2_T3_mT4_P12ihipStream_tbEUlT_E_NS1_11comp_targetILNS1_3genE2ELNS1_11target_archE906ELNS1_3gpuE6ELNS1_3repE0EEENS1_30default_config_static_selectorELNS0_4arch9wavefront6targetE1EEEvT1_: ; @_ZN7rocprim17ROCPRIM_400000_NS6detail17trampoline_kernelINS0_14default_configENS1_25transform_config_selectorImLb1EEEZNS1_14transform_implILb1ES3_S5_PmPlNS0_8identityIvEEEE10hipError_tT2_T3_mT4_P12ihipStream_tbEUlT_E_NS1_11comp_targetILNS1_3genE2ELNS1_11target_archE906ELNS1_3gpuE6ELNS1_3repE0EEENS1_30default_config_static_selectorELNS0_4arch9wavefront6targetE1EEEvT1_
; %bb.0:
	.section	.rodata,"a",@progbits
	.p2align	6, 0x0
	.amdhsa_kernel _ZN7rocprim17ROCPRIM_400000_NS6detail17trampoline_kernelINS0_14default_configENS1_25transform_config_selectorImLb1EEEZNS1_14transform_implILb1ES3_S5_PmPlNS0_8identityIvEEEE10hipError_tT2_T3_mT4_P12ihipStream_tbEUlT_E_NS1_11comp_targetILNS1_3genE2ELNS1_11target_archE906ELNS1_3gpuE6ELNS1_3repE0EEENS1_30default_config_static_selectorELNS0_4arch9wavefront6targetE1EEEvT1_
		.amdhsa_group_segment_fixed_size 0
		.amdhsa_private_segment_fixed_size 0
		.amdhsa_kernarg_size 40
		.amdhsa_user_sgpr_count 2
		.amdhsa_user_sgpr_dispatch_ptr 0
		.amdhsa_user_sgpr_queue_ptr 0
		.amdhsa_user_sgpr_kernarg_segment_ptr 1
		.amdhsa_user_sgpr_dispatch_id 0
		.amdhsa_user_sgpr_kernarg_preload_length 0
		.amdhsa_user_sgpr_kernarg_preload_offset 0
		.amdhsa_user_sgpr_private_segment_size 0
		.amdhsa_uses_dynamic_stack 0
		.amdhsa_enable_private_segment 0
		.amdhsa_system_sgpr_workgroup_id_x 1
		.amdhsa_system_sgpr_workgroup_id_y 0
		.amdhsa_system_sgpr_workgroup_id_z 0
		.amdhsa_system_sgpr_workgroup_info 0
		.amdhsa_system_vgpr_workitem_id 0
		.amdhsa_next_free_vgpr 1
		.amdhsa_next_free_sgpr 0
		.amdhsa_accum_offset 4
		.amdhsa_reserve_vcc 0
		.amdhsa_float_round_mode_32 0
		.amdhsa_float_round_mode_16_64 0
		.amdhsa_float_denorm_mode_32 3
		.amdhsa_float_denorm_mode_16_64 3
		.amdhsa_dx10_clamp 1
		.amdhsa_ieee_mode 1
		.amdhsa_fp16_overflow 0
		.amdhsa_tg_split 0
		.amdhsa_exception_fp_ieee_invalid_op 0
		.amdhsa_exception_fp_denorm_src 0
		.amdhsa_exception_fp_ieee_div_zero 0
		.amdhsa_exception_fp_ieee_overflow 0
		.amdhsa_exception_fp_ieee_underflow 0
		.amdhsa_exception_fp_ieee_inexact 0
		.amdhsa_exception_int_div_zero 0
	.end_amdhsa_kernel
	.section	.text._ZN7rocprim17ROCPRIM_400000_NS6detail17trampoline_kernelINS0_14default_configENS1_25transform_config_selectorImLb1EEEZNS1_14transform_implILb1ES3_S5_PmPlNS0_8identityIvEEEE10hipError_tT2_T3_mT4_P12ihipStream_tbEUlT_E_NS1_11comp_targetILNS1_3genE2ELNS1_11target_archE906ELNS1_3gpuE6ELNS1_3repE0EEENS1_30default_config_static_selectorELNS0_4arch9wavefront6targetE1EEEvT1_,"axG",@progbits,_ZN7rocprim17ROCPRIM_400000_NS6detail17trampoline_kernelINS0_14default_configENS1_25transform_config_selectorImLb1EEEZNS1_14transform_implILb1ES3_S5_PmPlNS0_8identityIvEEEE10hipError_tT2_T3_mT4_P12ihipStream_tbEUlT_E_NS1_11comp_targetILNS1_3genE2ELNS1_11target_archE906ELNS1_3gpuE6ELNS1_3repE0EEENS1_30default_config_static_selectorELNS0_4arch9wavefront6targetE1EEEvT1_,comdat
.Lfunc_end191:
	.size	_ZN7rocprim17ROCPRIM_400000_NS6detail17trampoline_kernelINS0_14default_configENS1_25transform_config_selectorImLb1EEEZNS1_14transform_implILb1ES3_S5_PmPlNS0_8identityIvEEEE10hipError_tT2_T3_mT4_P12ihipStream_tbEUlT_E_NS1_11comp_targetILNS1_3genE2ELNS1_11target_archE906ELNS1_3gpuE6ELNS1_3repE0EEENS1_30default_config_static_selectorELNS0_4arch9wavefront6targetE1EEEvT1_, .Lfunc_end191-_ZN7rocprim17ROCPRIM_400000_NS6detail17trampoline_kernelINS0_14default_configENS1_25transform_config_selectorImLb1EEEZNS1_14transform_implILb1ES3_S5_PmPlNS0_8identityIvEEEE10hipError_tT2_T3_mT4_P12ihipStream_tbEUlT_E_NS1_11comp_targetILNS1_3genE2ELNS1_11target_archE906ELNS1_3gpuE6ELNS1_3repE0EEENS1_30default_config_static_selectorELNS0_4arch9wavefront6targetE1EEEvT1_
                                        ; -- End function
	.section	.AMDGPU.csdata,"",@progbits
; Kernel info:
; codeLenInByte = 0
; NumSgprs: 6
; NumVgprs: 0
; NumAgprs: 0
; TotalNumVgprs: 0
; ScratchSize: 0
; MemoryBound: 0
; FloatMode: 240
; IeeeMode: 1
; LDSByteSize: 0 bytes/workgroup (compile time only)
; SGPRBlocks: 0
; VGPRBlocks: 0
; NumSGPRsForWavesPerEU: 6
; NumVGPRsForWavesPerEU: 1
; AccumOffset: 4
; Occupancy: 8
; WaveLimiterHint : 0
; COMPUTE_PGM_RSRC2:SCRATCH_EN: 0
; COMPUTE_PGM_RSRC2:USER_SGPR: 2
; COMPUTE_PGM_RSRC2:TRAP_HANDLER: 0
; COMPUTE_PGM_RSRC2:TGID_X_EN: 1
; COMPUTE_PGM_RSRC2:TGID_Y_EN: 0
; COMPUTE_PGM_RSRC2:TGID_Z_EN: 0
; COMPUTE_PGM_RSRC2:TIDIG_COMP_CNT: 0
; COMPUTE_PGM_RSRC3_GFX90A:ACCUM_OFFSET: 0
; COMPUTE_PGM_RSRC3_GFX90A:TG_SPLIT: 0
	.section	.text._ZN7rocprim17ROCPRIM_400000_NS6detail17trampoline_kernelINS0_14default_configENS1_25transform_config_selectorImLb1EEEZNS1_14transform_implILb1ES3_S5_PmPlNS0_8identityIvEEEE10hipError_tT2_T3_mT4_P12ihipStream_tbEUlT_E_NS1_11comp_targetILNS1_3genE9ELNS1_11target_archE1100ELNS1_3gpuE3ELNS1_3repE0EEENS1_30default_config_static_selectorELNS0_4arch9wavefront6targetE1EEEvT1_,"axG",@progbits,_ZN7rocprim17ROCPRIM_400000_NS6detail17trampoline_kernelINS0_14default_configENS1_25transform_config_selectorImLb1EEEZNS1_14transform_implILb1ES3_S5_PmPlNS0_8identityIvEEEE10hipError_tT2_T3_mT4_P12ihipStream_tbEUlT_E_NS1_11comp_targetILNS1_3genE9ELNS1_11target_archE1100ELNS1_3gpuE3ELNS1_3repE0EEENS1_30default_config_static_selectorELNS0_4arch9wavefront6targetE1EEEvT1_,comdat
	.protected	_ZN7rocprim17ROCPRIM_400000_NS6detail17trampoline_kernelINS0_14default_configENS1_25transform_config_selectorImLb1EEEZNS1_14transform_implILb1ES3_S5_PmPlNS0_8identityIvEEEE10hipError_tT2_T3_mT4_P12ihipStream_tbEUlT_E_NS1_11comp_targetILNS1_3genE9ELNS1_11target_archE1100ELNS1_3gpuE3ELNS1_3repE0EEENS1_30default_config_static_selectorELNS0_4arch9wavefront6targetE1EEEvT1_ ; -- Begin function _ZN7rocprim17ROCPRIM_400000_NS6detail17trampoline_kernelINS0_14default_configENS1_25transform_config_selectorImLb1EEEZNS1_14transform_implILb1ES3_S5_PmPlNS0_8identityIvEEEE10hipError_tT2_T3_mT4_P12ihipStream_tbEUlT_E_NS1_11comp_targetILNS1_3genE9ELNS1_11target_archE1100ELNS1_3gpuE3ELNS1_3repE0EEENS1_30default_config_static_selectorELNS0_4arch9wavefront6targetE1EEEvT1_
	.globl	_ZN7rocprim17ROCPRIM_400000_NS6detail17trampoline_kernelINS0_14default_configENS1_25transform_config_selectorImLb1EEEZNS1_14transform_implILb1ES3_S5_PmPlNS0_8identityIvEEEE10hipError_tT2_T3_mT4_P12ihipStream_tbEUlT_E_NS1_11comp_targetILNS1_3genE9ELNS1_11target_archE1100ELNS1_3gpuE3ELNS1_3repE0EEENS1_30default_config_static_selectorELNS0_4arch9wavefront6targetE1EEEvT1_
	.p2align	8
	.type	_ZN7rocprim17ROCPRIM_400000_NS6detail17trampoline_kernelINS0_14default_configENS1_25transform_config_selectorImLb1EEEZNS1_14transform_implILb1ES3_S5_PmPlNS0_8identityIvEEEE10hipError_tT2_T3_mT4_P12ihipStream_tbEUlT_E_NS1_11comp_targetILNS1_3genE9ELNS1_11target_archE1100ELNS1_3gpuE3ELNS1_3repE0EEENS1_30default_config_static_selectorELNS0_4arch9wavefront6targetE1EEEvT1_,@function
_ZN7rocprim17ROCPRIM_400000_NS6detail17trampoline_kernelINS0_14default_configENS1_25transform_config_selectorImLb1EEEZNS1_14transform_implILb1ES3_S5_PmPlNS0_8identityIvEEEE10hipError_tT2_T3_mT4_P12ihipStream_tbEUlT_E_NS1_11comp_targetILNS1_3genE9ELNS1_11target_archE1100ELNS1_3gpuE3ELNS1_3repE0EEENS1_30default_config_static_selectorELNS0_4arch9wavefront6targetE1EEEvT1_: ; @_ZN7rocprim17ROCPRIM_400000_NS6detail17trampoline_kernelINS0_14default_configENS1_25transform_config_selectorImLb1EEEZNS1_14transform_implILb1ES3_S5_PmPlNS0_8identityIvEEEE10hipError_tT2_T3_mT4_P12ihipStream_tbEUlT_E_NS1_11comp_targetILNS1_3genE9ELNS1_11target_archE1100ELNS1_3gpuE3ELNS1_3repE0EEENS1_30default_config_static_selectorELNS0_4arch9wavefront6targetE1EEEvT1_
; %bb.0:
	.section	.rodata,"a",@progbits
	.p2align	6, 0x0
	.amdhsa_kernel _ZN7rocprim17ROCPRIM_400000_NS6detail17trampoline_kernelINS0_14default_configENS1_25transform_config_selectorImLb1EEEZNS1_14transform_implILb1ES3_S5_PmPlNS0_8identityIvEEEE10hipError_tT2_T3_mT4_P12ihipStream_tbEUlT_E_NS1_11comp_targetILNS1_3genE9ELNS1_11target_archE1100ELNS1_3gpuE3ELNS1_3repE0EEENS1_30default_config_static_selectorELNS0_4arch9wavefront6targetE1EEEvT1_
		.amdhsa_group_segment_fixed_size 0
		.amdhsa_private_segment_fixed_size 0
		.amdhsa_kernarg_size 40
		.amdhsa_user_sgpr_count 2
		.amdhsa_user_sgpr_dispatch_ptr 0
		.amdhsa_user_sgpr_queue_ptr 0
		.amdhsa_user_sgpr_kernarg_segment_ptr 1
		.amdhsa_user_sgpr_dispatch_id 0
		.amdhsa_user_sgpr_kernarg_preload_length 0
		.amdhsa_user_sgpr_kernarg_preload_offset 0
		.amdhsa_user_sgpr_private_segment_size 0
		.amdhsa_uses_dynamic_stack 0
		.amdhsa_enable_private_segment 0
		.amdhsa_system_sgpr_workgroup_id_x 1
		.amdhsa_system_sgpr_workgroup_id_y 0
		.amdhsa_system_sgpr_workgroup_id_z 0
		.amdhsa_system_sgpr_workgroup_info 0
		.amdhsa_system_vgpr_workitem_id 0
		.amdhsa_next_free_vgpr 1
		.amdhsa_next_free_sgpr 0
		.amdhsa_accum_offset 4
		.amdhsa_reserve_vcc 0
		.amdhsa_float_round_mode_32 0
		.amdhsa_float_round_mode_16_64 0
		.amdhsa_float_denorm_mode_32 3
		.amdhsa_float_denorm_mode_16_64 3
		.amdhsa_dx10_clamp 1
		.amdhsa_ieee_mode 1
		.amdhsa_fp16_overflow 0
		.amdhsa_tg_split 0
		.amdhsa_exception_fp_ieee_invalid_op 0
		.amdhsa_exception_fp_denorm_src 0
		.amdhsa_exception_fp_ieee_div_zero 0
		.amdhsa_exception_fp_ieee_overflow 0
		.amdhsa_exception_fp_ieee_underflow 0
		.amdhsa_exception_fp_ieee_inexact 0
		.amdhsa_exception_int_div_zero 0
	.end_amdhsa_kernel
	.section	.text._ZN7rocprim17ROCPRIM_400000_NS6detail17trampoline_kernelINS0_14default_configENS1_25transform_config_selectorImLb1EEEZNS1_14transform_implILb1ES3_S5_PmPlNS0_8identityIvEEEE10hipError_tT2_T3_mT4_P12ihipStream_tbEUlT_E_NS1_11comp_targetILNS1_3genE9ELNS1_11target_archE1100ELNS1_3gpuE3ELNS1_3repE0EEENS1_30default_config_static_selectorELNS0_4arch9wavefront6targetE1EEEvT1_,"axG",@progbits,_ZN7rocprim17ROCPRIM_400000_NS6detail17trampoline_kernelINS0_14default_configENS1_25transform_config_selectorImLb1EEEZNS1_14transform_implILb1ES3_S5_PmPlNS0_8identityIvEEEE10hipError_tT2_T3_mT4_P12ihipStream_tbEUlT_E_NS1_11comp_targetILNS1_3genE9ELNS1_11target_archE1100ELNS1_3gpuE3ELNS1_3repE0EEENS1_30default_config_static_selectorELNS0_4arch9wavefront6targetE1EEEvT1_,comdat
.Lfunc_end192:
	.size	_ZN7rocprim17ROCPRIM_400000_NS6detail17trampoline_kernelINS0_14default_configENS1_25transform_config_selectorImLb1EEEZNS1_14transform_implILb1ES3_S5_PmPlNS0_8identityIvEEEE10hipError_tT2_T3_mT4_P12ihipStream_tbEUlT_E_NS1_11comp_targetILNS1_3genE9ELNS1_11target_archE1100ELNS1_3gpuE3ELNS1_3repE0EEENS1_30default_config_static_selectorELNS0_4arch9wavefront6targetE1EEEvT1_, .Lfunc_end192-_ZN7rocprim17ROCPRIM_400000_NS6detail17trampoline_kernelINS0_14default_configENS1_25transform_config_selectorImLb1EEEZNS1_14transform_implILb1ES3_S5_PmPlNS0_8identityIvEEEE10hipError_tT2_T3_mT4_P12ihipStream_tbEUlT_E_NS1_11comp_targetILNS1_3genE9ELNS1_11target_archE1100ELNS1_3gpuE3ELNS1_3repE0EEENS1_30default_config_static_selectorELNS0_4arch9wavefront6targetE1EEEvT1_
                                        ; -- End function
	.section	.AMDGPU.csdata,"",@progbits
; Kernel info:
; codeLenInByte = 0
; NumSgprs: 6
; NumVgprs: 0
; NumAgprs: 0
; TotalNumVgprs: 0
; ScratchSize: 0
; MemoryBound: 0
; FloatMode: 240
; IeeeMode: 1
; LDSByteSize: 0 bytes/workgroup (compile time only)
; SGPRBlocks: 0
; VGPRBlocks: 0
; NumSGPRsForWavesPerEU: 6
; NumVGPRsForWavesPerEU: 1
; AccumOffset: 4
; Occupancy: 8
; WaveLimiterHint : 0
; COMPUTE_PGM_RSRC2:SCRATCH_EN: 0
; COMPUTE_PGM_RSRC2:USER_SGPR: 2
; COMPUTE_PGM_RSRC2:TRAP_HANDLER: 0
; COMPUTE_PGM_RSRC2:TGID_X_EN: 1
; COMPUTE_PGM_RSRC2:TGID_Y_EN: 0
; COMPUTE_PGM_RSRC2:TGID_Z_EN: 0
; COMPUTE_PGM_RSRC2:TIDIG_COMP_CNT: 0
; COMPUTE_PGM_RSRC3_GFX90A:ACCUM_OFFSET: 0
; COMPUTE_PGM_RSRC3_GFX90A:TG_SPLIT: 0
	.section	.text._ZN7rocprim17ROCPRIM_400000_NS6detail17trampoline_kernelINS0_14default_configENS1_25transform_config_selectorImLb1EEEZNS1_14transform_implILb1ES3_S5_PmPlNS0_8identityIvEEEE10hipError_tT2_T3_mT4_P12ihipStream_tbEUlT_E_NS1_11comp_targetILNS1_3genE8ELNS1_11target_archE1030ELNS1_3gpuE2ELNS1_3repE0EEENS1_30default_config_static_selectorELNS0_4arch9wavefront6targetE1EEEvT1_,"axG",@progbits,_ZN7rocprim17ROCPRIM_400000_NS6detail17trampoline_kernelINS0_14default_configENS1_25transform_config_selectorImLb1EEEZNS1_14transform_implILb1ES3_S5_PmPlNS0_8identityIvEEEE10hipError_tT2_T3_mT4_P12ihipStream_tbEUlT_E_NS1_11comp_targetILNS1_3genE8ELNS1_11target_archE1030ELNS1_3gpuE2ELNS1_3repE0EEENS1_30default_config_static_selectorELNS0_4arch9wavefront6targetE1EEEvT1_,comdat
	.protected	_ZN7rocprim17ROCPRIM_400000_NS6detail17trampoline_kernelINS0_14default_configENS1_25transform_config_selectorImLb1EEEZNS1_14transform_implILb1ES3_S5_PmPlNS0_8identityIvEEEE10hipError_tT2_T3_mT4_P12ihipStream_tbEUlT_E_NS1_11comp_targetILNS1_3genE8ELNS1_11target_archE1030ELNS1_3gpuE2ELNS1_3repE0EEENS1_30default_config_static_selectorELNS0_4arch9wavefront6targetE1EEEvT1_ ; -- Begin function _ZN7rocprim17ROCPRIM_400000_NS6detail17trampoline_kernelINS0_14default_configENS1_25transform_config_selectorImLb1EEEZNS1_14transform_implILb1ES3_S5_PmPlNS0_8identityIvEEEE10hipError_tT2_T3_mT4_P12ihipStream_tbEUlT_E_NS1_11comp_targetILNS1_3genE8ELNS1_11target_archE1030ELNS1_3gpuE2ELNS1_3repE0EEENS1_30default_config_static_selectorELNS0_4arch9wavefront6targetE1EEEvT1_
	.globl	_ZN7rocprim17ROCPRIM_400000_NS6detail17trampoline_kernelINS0_14default_configENS1_25transform_config_selectorImLb1EEEZNS1_14transform_implILb1ES3_S5_PmPlNS0_8identityIvEEEE10hipError_tT2_T3_mT4_P12ihipStream_tbEUlT_E_NS1_11comp_targetILNS1_3genE8ELNS1_11target_archE1030ELNS1_3gpuE2ELNS1_3repE0EEENS1_30default_config_static_selectorELNS0_4arch9wavefront6targetE1EEEvT1_
	.p2align	8
	.type	_ZN7rocprim17ROCPRIM_400000_NS6detail17trampoline_kernelINS0_14default_configENS1_25transform_config_selectorImLb1EEEZNS1_14transform_implILb1ES3_S5_PmPlNS0_8identityIvEEEE10hipError_tT2_T3_mT4_P12ihipStream_tbEUlT_E_NS1_11comp_targetILNS1_3genE8ELNS1_11target_archE1030ELNS1_3gpuE2ELNS1_3repE0EEENS1_30default_config_static_selectorELNS0_4arch9wavefront6targetE1EEEvT1_,@function
_ZN7rocprim17ROCPRIM_400000_NS6detail17trampoline_kernelINS0_14default_configENS1_25transform_config_selectorImLb1EEEZNS1_14transform_implILb1ES3_S5_PmPlNS0_8identityIvEEEE10hipError_tT2_T3_mT4_P12ihipStream_tbEUlT_E_NS1_11comp_targetILNS1_3genE8ELNS1_11target_archE1030ELNS1_3gpuE2ELNS1_3repE0EEENS1_30default_config_static_selectorELNS0_4arch9wavefront6targetE1EEEvT1_: ; @_ZN7rocprim17ROCPRIM_400000_NS6detail17trampoline_kernelINS0_14default_configENS1_25transform_config_selectorImLb1EEEZNS1_14transform_implILb1ES3_S5_PmPlNS0_8identityIvEEEE10hipError_tT2_T3_mT4_P12ihipStream_tbEUlT_E_NS1_11comp_targetILNS1_3genE8ELNS1_11target_archE1030ELNS1_3gpuE2ELNS1_3repE0EEENS1_30default_config_static_selectorELNS0_4arch9wavefront6targetE1EEEvT1_
; %bb.0:
	.section	.rodata,"a",@progbits
	.p2align	6, 0x0
	.amdhsa_kernel _ZN7rocprim17ROCPRIM_400000_NS6detail17trampoline_kernelINS0_14default_configENS1_25transform_config_selectorImLb1EEEZNS1_14transform_implILb1ES3_S5_PmPlNS0_8identityIvEEEE10hipError_tT2_T3_mT4_P12ihipStream_tbEUlT_E_NS1_11comp_targetILNS1_3genE8ELNS1_11target_archE1030ELNS1_3gpuE2ELNS1_3repE0EEENS1_30default_config_static_selectorELNS0_4arch9wavefront6targetE1EEEvT1_
		.amdhsa_group_segment_fixed_size 0
		.amdhsa_private_segment_fixed_size 0
		.amdhsa_kernarg_size 40
		.amdhsa_user_sgpr_count 2
		.amdhsa_user_sgpr_dispatch_ptr 0
		.amdhsa_user_sgpr_queue_ptr 0
		.amdhsa_user_sgpr_kernarg_segment_ptr 1
		.amdhsa_user_sgpr_dispatch_id 0
		.amdhsa_user_sgpr_kernarg_preload_length 0
		.amdhsa_user_sgpr_kernarg_preload_offset 0
		.amdhsa_user_sgpr_private_segment_size 0
		.amdhsa_uses_dynamic_stack 0
		.amdhsa_enable_private_segment 0
		.amdhsa_system_sgpr_workgroup_id_x 1
		.amdhsa_system_sgpr_workgroup_id_y 0
		.amdhsa_system_sgpr_workgroup_id_z 0
		.amdhsa_system_sgpr_workgroup_info 0
		.amdhsa_system_vgpr_workitem_id 0
		.amdhsa_next_free_vgpr 1
		.amdhsa_next_free_sgpr 0
		.amdhsa_accum_offset 4
		.amdhsa_reserve_vcc 0
		.amdhsa_float_round_mode_32 0
		.amdhsa_float_round_mode_16_64 0
		.amdhsa_float_denorm_mode_32 3
		.amdhsa_float_denorm_mode_16_64 3
		.amdhsa_dx10_clamp 1
		.amdhsa_ieee_mode 1
		.amdhsa_fp16_overflow 0
		.amdhsa_tg_split 0
		.amdhsa_exception_fp_ieee_invalid_op 0
		.amdhsa_exception_fp_denorm_src 0
		.amdhsa_exception_fp_ieee_div_zero 0
		.amdhsa_exception_fp_ieee_overflow 0
		.amdhsa_exception_fp_ieee_underflow 0
		.amdhsa_exception_fp_ieee_inexact 0
		.amdhsa_exception_int_div_zero 0
	.end_amdhsa_kernel
	.section	.text._ZN7rocprim17ROCPRIM_400000_NS6detail17trampoline_kernelINS0_14default_configENS1_25transform_config_selectorImLb1EEEZNS1_14transform_implILb1ES3_S5_PmPlNS0_8identityIvEEEE10hipError_tT2_T3_mT4_P12ihipStream_tbEUlT_E_NS1_11comp_targetILNS1_3genE8ELNS1_11target_archE1030ELNS1_3gpuE2ELNS1_3repE0EEENS1_30default_config_static_selectorELNS0_4arch9wavefront6targetE1EEEvT1_,"axG",@progbits,_ZN7rocprim17ROCPRIM_400000_NS6detail17trampoline_kernelINS0_14default_configENS1_25transform_config_selectorImLb1EEEZNS1_14transform_implILb1ES3_S5_PmPlNS0_8identityIvEEEE10hipError_tT2_T3_mT4_P12ihipStream_tbEUlT_E_NS1_11comp_targetILNS1_3genE8ELNS1_11target_archE1030ELNS1_3gpuE2ELNS1_3repE0EEENS1_30default_config_static_selectorELNS0_4arch9wavefront6targetE1EEEvT1_,comdat
.Lfunc_end193:
	.size	_ZN7rocprim17ROCPRIM_400000_NS6detail17trampoline_kernelINS0_14default_configENS1_25transform_config_selectorImLb1EEEZNS1_14transform_implILb1ES3_S5_PmPlNS0_8identityIvEEEE10hipError_tT2_T3_mT4_P12ihipStream_tbEUlT_E_NS1_11comp_targetILNS1_3genE8ELNS1_11target_archE1030ELNS1_3gpuE2ELNS1_3repE0EEENS1_30default_config_static_selectorELNS0_4arch9wavefront6targetE1EEEvT1_, .Lfunc_end193-_ZN7rocprim17ROCPRIM_400000_NS6detail17trampoline_kernelINS0_14default_configENS1_25transform_config_selectorImLb1EEEZNS1_14transform_implILb1ES3_S5_PmPlNS0_8identityIvEEEE10hipError_tT2_T3_mT4_P12ihipStream_tbEUlT_E_NS1_11comp_targetILNS1_3genE8ELNS1_11target_archE1030ELNS1_3gpuE2ELNS1_3repE0EEENS1_30default_config_static_selectorELNS0_4arch9wavefront6targetE1EEEvT1_
                                        ; -- End function
	.section	.AMDGPU.csdata,"",@progbits
; Kernel info:
; codeLenInByte = 0
; NumSgprs: 6
; NumVgprs: 0
; NumAgprs: 0
; TotalNumVgprs: 0
; ScratchSize: 0
; MemoryBound: 0
; FloatMode: 240
; IeeeMode: 1
; LDSByteSize: 0 bytes/workgroup (compile time only)
; SGPRBlocks: 0
; VGPRBlocks: 0
; NumSGPRsForWavesPerEU: 6
; NumVGPRsForWavesPerEU: 1
; AccumOffset: 4
; Occupancy: 8
; WaveLimiterHint : 0
; COMPUTE_PGM_RSRC2:SCRATCH_EN: 0
; COMPUTE_PGM_RSRC2:USER_SGPR: 2
; COMPUTE_PGM_RSRC2:TRAP_HANDLER: 0
; COMPUTE_PGM_RSRC2:TGID_X_EN: 1
; COMPUTE_PGM_RSRC2:TGID_Y_EN: 0
; COMPUTE_PGM_RSRC2:TGID_Z_EN: 0
; COMPUTE_PGM_RSRC2:TIDIG_COMP_CNT: 0
; COMPUTE_PGM_RSRC3_GFX90A:ACCUM_OFFSET: 0
; COMPUTE_PGM_RSRC3_GFX90A:TG_SPLIT: 0
	.section	.text._ZN7rocprim17ROCPRIM_400000_NS6detail31init_lookback_scan_state_kernelINS1_19lookback_scan_stateIjLb1ELb1EEENS1_16block_id_wrapperIjLb1EEEEEvT_jT0_jPNS7_10value_typeE,"axG",@progbits,_ZN7rocprim17ROCPRIM_400000_NS6detail31init_lookback_scan_state_kernelINS1_19lookback_scan_stateIjLb1ELb1EEENS1_16block_id_wrapperIjLb1EEEEEvT_jT0_jPNS7_10value_typeE,comdat
	.protected	_ZN7rocprim17ROCPRIM_400000_NS6detail31init_lookback_scan_state_kernelINS1_19lookback_scan_stateIjLb1ELb1EEENS1_16block_id_wrapperIjLb1EEEEEvT_jT0_jPNS7_10value_typeE ; -- Begin function _ZN7rocprim17ROCPRIM_400000_NS6detail31init_lookback_scan_state_kernelINS1_19lookback_scan_stateIjLb1ELb1EEENS1_16block_id_wrapperIjLb1EEEEEvT_jT0_jPNS7_10value_typeE
	.globl	_ZN7rocprim17ROCPRIM_400000_NS6detail31init_lookback_scan_state_kernelINS1_19lookback_scan_stateIjLb1ELb1EEENS1_16block_id_wrapperIjLb1EEEEEvT_jT0_jPNS7_10value_typeE
	.p2align	8
	.type	_ZN7rocprim17ROCPRIM_400000_NS6detail31init_lookback_scan_state_kernelINS1_19lookback_scan_stateIjLb1ELb1EEENS1_16block_id_wrapperIjLb1EEEEEvT_jT0_jPNS7_10value_typeE,@function
_ZN7rocprim17ROCPRIM_400000_NS6detail31init_lookback_scan_state_kernelINS1_19lookback_scan_stateIjLb1ELb1EEENS1_16block_id_wrapperIjLb1EEEEEvT_jT0_jPNS7_10value_typeE: ; @_ZN7rocprim17ROCPRIM_400000_NS6detail31init_lookback_scan_state_kernelINS1_19lookback_scan_stateIjLb1ELb1EEENS1_16block_id_wrapperIjLb1EEEEEvT_jT0_jPNS7_10value_typeE
; %bb.0:
	s_load_dword s3, s[0:1], 0x34
	s_load_dwordx2 s[6:7], s[0:1], 0x20
	s_load_dwordx2 s[4:5], s[0:1], 0x0
	s_load_dword s10, s[0:1], 0x8
	s_waitcnt lgkmcnt(0)
	s_and_b32 s3, s3, 0xffff
	s_mul_i32 s2, s2, s3
	s_cmp_eq_u64 s[6:7], 0
	v_add_u32_e32 v0, s2, v0
	s_cbranch_scc1 .LBB194_9
; %bb.1:
	s_load_dword s8, s[0:1], 0x18
	s_mov_b32 s9, 0
	s_waitcnt lgkmcnt(0)
	s_cmp_lt_u32 s8, s10
	s_cselect_b32 s2, s8, 0
	v_cmp_eq_u32_e32 vcc, s2, v0
	s_and_saveexec_b64 s[2:3], vcc
	s_cbranch_execz .LBB194_8
; %bb.2:
	s_add_i32 s8, s8, 64
	s_lshl_b64 s[8:9], s[8:9], 3
	s_add_u32 s8, s4, s8
	s_addc_u32 s9, s5, s9
	v_mov_b32_e32 v2, 0
	global_load_dwordx2 v[4:5], v2, s[8:9] sc1
	s_waitcnt vmcnt(0)
	v_and_b32_e32 v3, 0xff, v5
	v_cmp_ne_u64_e32 vcc, 0, v[2:3]
	s_cbranch_vccnz .LBB194_7
; %bb.3:
	s_mov_b32 s11, 1
.LBB194_4:                              ; =>This Loop Header: Depth=1
                                        ;     Child Loop BB194_5 Depth 2
	s_max_u32 s12, s11, 1
.LBB194_5:                              ;   Parent Loop BB194_4 Depth=1
                                        ; =>  This Inner Loop Header: Depth=2
	s_add_i32 s12, s12, -1
	s_cmp_eq_u32 s12, 0
	s_sleep 1
	s_cbranch_scc0 .LBB194_5
; %bb.6:                                ;   in Loop: Header=BB194_4 Depth=1
	global_load_dwordx2 v[4:5], v2, s[8:9] sc1
	s_cmp_lt_u32 s11, 32
	s_cselect_b64 s[12:13], -1, 0
	s_cmp_lg_u64 s[12:13], 0
	s_addc_u32 s11, s11, 0
	s_waitcnt vmcnt(0)
	v_and_b32_e32 v3, 0xff, v5
	v_cmp_ne_u64_e32 vcc, 0, v[2:3]
	s_cbranch_vccz .LBB194_4
.LBB194_7:
	v_mov_b32_e32 v1, 0
	global_store_dword v1, v4, s[6:7]
.LBB194_8:
	s_or_b64 exec, exec, s[2:3]
.LBB194_9:
	v_cmp_eq_u32_e32 vcc, 0, v0
	s_and_saveexec_b64 s[2:3], vcc
	s_cbranch_execnz .LBB194_13
; %bb.10:
	s_or_b64 exec, exec, s[2:3]
	v_cmp_gt_u32_e32 vcc, s10, v0
	s_and_saveexec_b64 s[0:1], vcc
	s_cbranch_execnz .LBB194_14
.LBB194_11:
	s_or_b64 exec, exec, s[0:1]
	v_cmp_gt_u32_e32 vcc, 64, v0
	s_and_saveexec_b64 s[0:1], vcc
	s_cbranch_execnz .LBB194_15
.LBB194_12:
	s_endpgm
.LBB194_13:
	s_load_dwordx2 s[0:1], s[0:1], 0x10
	v_mov_b32_e32 v1, 0
	s_waitcnt lgkmcnt(0)
	global_store_dword v1, v1, s[0:1]
	s_or_b64 exec, exec, s[2:3]
	v_cmp_gt_u32_e32 vcc, s10, v0
	s_and_saveexec_b64 s[0:1], vcc
	s_cbranch_execz .LBB194_11
.LBB194_14:
	v_add_u32_e32 v2, 64, v0
	v_mov_b32_e32 v3, 0
	v_lshl_add_u64 v[4:5], v[2:3], 3, s[4:5]
	v_mov_b32_e32 v2, v3
	global_store_dwordx2 v[4:5], v[2:3], off
	s_or_b64 exec, exec, s[0:1]
	v_cmp_gt_u32_e32 vcc, 64, v0
	s_and_saveexec_b64 s[0:1], vcc
	s_cbranch_execz .LBB194_12
.LBB194_15:
	v_mov_b32_e32 v1, 0
	v_lshl_add_u64 v[2:3], v[0:1], 3, s[4:5]
	v_mov_b32_e32 v5, 0xff
	v_mov_b32_e32 v4, v1
	global_store_dwordx2 v[2:3], v[4:5], off
	s_endpgm
	.section	.rodata,"a",@progbits
	.p2align	6, 0x0
	.amdhsa_kernel _ZN7rocprim17ROCPRIM_400000_NS6detail31init_lookback_scan_state_kernelINS1_19lookback_scan_stateIjLb1ELb1EEENS1_16block_id_wrapperIjLb1EEEEEvT_jT0_jPNS7_10value_typeE
		.amdhsa_group_segment_fixed_size 0
		.amdhsa_private_segment_fixed_size 0
		.amdhsa_kernarg_size 296
		.amdhsa_user_sgpr_count 2
		.amdhsa_user_sgpr_dispatch_ptr 0
		.amdhsa_user_sgpr_queue_ptr 0
		.amdhsa_user_sgpr_kernarg_segment_ptr 1
		.amdhsa_user_sgpr_dispatch_id 0
		.amdhsa_user_sgpr_kernarg_preload_length 0
		.amdhsa_user_sgpr_kernarg_preload_offset 0
		.amdhsa_user_sgpr_private_segment_size 0
		.amdhsa_uses_dynamic_stack 0
		.amdhsa_enable_private_segment 0
		.amdhsa_system_sgpr_workgroup_id_x 1
		.amdhsa_system_sgpr_workgroup_id_y 0
		.amdhsa_system_sgpr_workgroup_id_z 0
		.amdhsa_system_sgpr_workgroup_info 0
		.amdhsa_system_vgpr_workitem_id 0
		.amdhsa_next_free_vgpr 6
		.amdhsa_next_free_sgpr 14
		.amdhsa_accum_offset 8
		.amdhsa_reserve_vcc 1
		.amdhsa_float_round_mode_32 0
		.amdhsa_float_round_mode_16_64 0
		.amdhsa_float_denorm_mode_32 3
		.amdhsa_float_denorm_mode_16_64 3
		.amdhsa_dx10_clamp 1
		.amdhsa_ieee_mode 1
		.amdhsa_fp16_overflow 0
		.amdhsa_tg_split 0
		.amdhsa_exception_fp_ieee_invalid_op 0
		.amdhsa_exception_fp_denorm_src 0
		.amdhsa_exception_fp_ieee_div_zero 0
		.amdhsa_exception_fp_ieee_overflow 0
		.amdhsa_exception_fp_ieee_underflow 0
		.amdhsa_exception_fp_ieee_inexact 0
		.amdhsa_exception_int_div_zero 0
	.end_amdhsa_kernel
	.section	.text._ZN7rocprim17ROCPRIM_400000_NS6detail31init_lookback_scan_state_kernelINS1_19lookback_scan_stateIjLb1ELb1EEENS1_16block_id_wrapperIjLb1EEEEEvT_jT0_jPNS7_10value_typeE,"axG",@progbits,_ZN7rocprim17ROCPRIM_400000_NS6detail31init_lookback_scan_state_kernelINS1_19lookback_scan_stateIjLb1ELb1EEENS1_16block_id_wrapperIjLb1EEEEEvT_jT0_jPNS7_10value_typeE,comdat
.Lfunc_end194:
	.size	_ZN7rocprim17ROCPRIM_400000_NS6detail31init_lookback_scan_state_kernelINS1_19lookback_scan_stateIjLb1ELb1EEENS1_16block_id_wrapperIjLb1EEEEEvT_jT0_jPNS7_10value_typeE, .Lfunc_end194-_ZN7rocprim17ROCPRIM_400000_NS6detail31init_lookback_scan_state_kernelINS1_19lookback_scan_stateIjLb1ELb1EEENS1_16block_id_wrapperIjLb1EEEEEvT_jT0_jPNS7_10value_typeE
                                        ; -- End function
	.section	.AMDGPU.csdata,"",@progbits
; Kernel info:
; codeLenInByte = 396
; NumSgprs: 20
; NumVgprs: 6
; NumAgprs: 0
; TotalNumVgprs: 6
; ScratchSize: 0
; MemoryBound: 0
; FloatMode: 240
; IeeeMode: 1
; LDSByteSize: 0 bytes/workgroup (compile time only)
; SGPRBlocks: 2
; VGPRBlocks: 0
; NumSGPRsForWavesPerEU: 20
; NumVGPRsForWavesPerEU: 6
; AccumOffset: 8
; Occupancy: 8
; WaveLimiterHint : 0
; COMPUTE_PGM_RSRC2:SCRATCH_EN: 0
; COMPUTE_PGM_RSRC2:USER_SGPR: 2
; COMPUTE_PGM_RSRC2:TRAP_HANDLER: 0
; COMPUTE_PGM_RSRC2:TGID_X_EN: 1
; COMPUTE_PGM_RSRC2:TGID_Y_EN: 0
; COMPUTE_PGM_RSRC2:TGID_Z_EN: 0
; COMPUTE_PGM_RSRC2:TIDIG_COMP_CNT: 0
; COMPUTE_PGM_RSRC3_GFX90A:ACCUM_OFFSET: 1
; COMPUTE_PGM_RSRC3_GFX90A:TG_SPLIT: 0
	.section	.text._ZN7rocprim17ROCPRIM_400000_NS6detail17trampoline_kernelINS0_14default_configENS1_25partition_config_selectorILNS1_17partition_subalgoE8EiNS0_10empty_typeEbEEZZNS1_14partition_implILS5_8ELb0ES3_jPKiPS6_PKS6_NS0_5tupleIJPiS6_EEENSE_IJSB_SB_EEENS0_18inequality_wrapperIN6hipcub16HIPCUB_304000_NS8EqualityEEEPlJS6_EEE10hipError_tPvRmT3_T4_T5_T6_T7_T9_mT8_P12ihipStream_tbDpT10_ENKUlT_T0_E_clISt17integral_constantIbLb1EES17_EEDaS12_S13_EUlS12_E_NS1_11comp_targetILNS1_3genE0ELNS1_11target_archE4294967295ELNS1_3gpuE0ELNS1_3repE0EEENS1_30default_config_static_selectorELNS0_4arch9wavefront6targetE1EEEvT1_,"axG",@progbits,_ZN7rocprim17ROCPRIM_400000_NS6detail17trampoline_kernelINS0_14default_configENS1_25partition_config_selectorILNS1_17partition_subalgoE8EiNS0_10empty_typeEbEEZZNS1_14partition_implILS5_8ELb0ES3_jPKiPS6_PKS6_NS0_5tupleIJPiS6_EEENSE_IJSB_SB_EEENS0_18inequality_wrapperIN6hipcub16HIPCUB_304000_NS8EqualityEEEPlJS6_EEE10hipError_tPvRmT3_T4_T5_T6_T7_T9_mT8_P12ihipStream_tbDpT10_ENKUlT_T0_E_clISt17integral_constantIbLb1EES17_EEDaS12_S13_EUlS12_E_NS1_11comp_targetILNS1_3genE0ELNS1_11target_archE4294967295ELNS1_3gpuE0ELNS1_3repE0EEENS1_30default_config_static_selectorELNS0_4arch9wavefront6targetE1EEEvT1_,comdat
	.protected	_ZN7rocprim17ROCPRIM_400000_NS6detail17trampoline_kernelINS0_14default_configENS1_25partition_config_selectorILNS1_17partition_subalgoE8EiNS0_10empty_typeEbEEZZNS1_14partition_implILS5_8ELb0ES3_jPKiPS6_PKS6_NS0_5tupleIJPiS6_EEENSE_IJSB_SB_EEENS0_18inequality_wrapperIN6hipcub16HIPCUB_304000_NS8EqualityEEEPlJS6_EEE10hipError_tPvRmT3_T4_T5_T6_T7_T9_mT8_P12ihipStream_tbDpT10_ENKUlT_T0_E_clISt17integral_constantIbLb1EES17_EEDaS12_S13_EUlS12_E_NS1_11comp_targetILNS1_3genE0ELNS1_11target_archE4294967295ELNS1_3gpuE0ELNS1_3repE0EEENS1_30default_config_static_selectorELNS0_4arch9wavefront6targetE1EEEvT1_ ; -- Begin function _ZN7rocprim17ROCPRIM_400000_NS6detail17trampoline_kernelINS0_14default_configENS1_25partition_config_selectorILNS1_17partition_subalgoE8EiNS0_10empty_typeEbEEZZNS1_14partition_implILS5_8ELb0ES3_jPKiPS6_PKS6_NS0_5tupleIJPiS6_EEENSE_IJSB_SB_EEENS0_18inequality_wrapperIN6hipcub16HIPCUB_304000_NS8EqualityEEEPlJS6_EEE10hipError_tPvRmT3_T4_T5_T6_T7_T9_mT8_P12ihipStream_tbDpT10_ENKUlT_T0_E_clISt17integral_constantIbLb1EES17_EEDaS12_S13_EUlS12_E_NS1_11comp_targetILNS1_3genE0ELNS1_11target_archE4294967295ELNS1_3gpuE0ELNS1_3repE0EEENS1_30default_config_static_selectorELNS0_4arch9wavefront6targetE1EEEvT1_
	.globl	_ZN7rocprim17ROCPRIM_400000_NS6detail17trampoline_kernelINS0_14default_configENS1_25partition_config_selectorILNS1_17partition_subalgoE8EiNS0_10empty_typeEbEEZZNS1_14partition_implILS5_8ELb0ES3_jPKiPS6_PKS6_NS0_5tupleIJPiS6_EEENSE_IJSB_SB_EEENS0_18inequality_wrapperIN6hipcub16HIPCUB_304000_NS8EqualityEEEPlJS6_EEE10hipError_tPvRmT3_T4_T5_T6_T7_T9_mT8_P12ihipStream_tbDpT10_ENKUlT_T0_E_clISt17integral_constantIbLb1EES17_EEDaS12_S13_EUlS12_E_NS1_11comp_targetILNS1_3genE0ELNS1_11target_archE4294967295ELNS1_3gpuE0ELNS1_3repE0EEENS1_30default_config_static_selectorELNS0_4arch9wavefront6targetE1EEEvT1_
	.p2align	8
	.type	_ZN7rocprim17ROCPRIM_400000_NS6detail17trampoline_kernelINS0_14default_configENS1_25partition_config_selectorILNS1_17partition_subalgoE8EiNS0_10empty_typeEbEEZZNS1_14partition_implILS5_8ELb0ES3_jPKiPS6_PKS6_NS0_5tupleIJPiS6_EEENSE_IJSB_SB_EEENS0_18inequality_wrapperIN6hipcub16HIPCUB_304000_NS8EqualityEEEPlJS6_EEE10hipError_tPvRmT3_T4_T5_T6_T7_T9_mT8_P12ihipStream_tbDpT10_ENKUlT_T0_E_clISt17integral_constantIbLb1EES17_EEDaS12_S13_EUlS12_E_NS1_11comp_targetILNS1_3genE0ELNS1_11target_archE4294967295ELNS1_3gpuE0ELNS1_3repE0EEENS1_30default_config_static_selectorELNS0_4arch9wavefront6targetE1EEEvT1_,@function
_ZN7rocprim17ROCPRIM_400000_NS6detail17trampoline_kernelINS0_14default_configENS1_25partition_config_selectorILNS1_17partition_subalgoE8EiNS0_10empty_typeEbEEZZNS1_14partition_implILS5_8ELb0ES3_jPKiPS6_PKS6_NS0_5tupleIJPiS6_EEENSE_IJSB_SB_EEENS0_18inequality_wrapperIN6hipcub16HIPCUB_304000_NS8EqualityEEEPlJS6_EEE10hipError_tPvRmT3_T4_T5_T6_T7_T9_mT8_P12ihipStream_tbDpT10_ENKUlT_T0_E_clISt17integral_constantIbLb1EES17_EEDaS12_S13_EUlS12_E_NS1_11comp_targetILNS1_3genE0ELNS1_11target_archE4294967295ELNS1_3gpuE0ELNS1_3repE0EEENS1_30default_config_static_selectorELNS0_4arch9wavefront6targetE1EEEvT1_: ; @_ZN7rocprim17ROCPRIM_400000_NS6detail17trampoline_kernelINS0_14default_configENS1_25partition_config_selectorILNS1_17partition_subalgoE8EiNS0_10empty_typeEbEEZZNS1_14partition_implILS5_8ELb0ES3_jPKiPS6_PKS6_NS0_5tupleIJPiS6_EEENSE_IJSB_SB_EEENS0_18inequality_wrapperIN6hipcub16HIPCUB_304000_NS8EqualityEEEPlJS6_EEE10hipError_tPvRmT3_T4_T5_T6_T7_T9_mT8_P12ihipStream_tbDpT10_ENKUlT_T0_E_clISt17integral_constantIbLb1EES17_EEDaS12_S13_EUlS12_E_NS1_11comp_targetILNS1_3genE0ELNS1_11target_archE4294967295ELNS1_3gpuE0ELNS1_3repE0EEENS1_30default_config_static_selectorELNS0_4arch9wavefront6targetE1EEEvT1_
; %bb.0:
	.section	.rodata,"a",@progbits
	.p2align	6, 0x0
	.amdhsa_kernel _ZN7rocprim17ROCPRIM_400000_NS6detail17trampoline_kernelINS0_14default_configENS1_25partition_config_selectorILNS1_17partition_subalgoE8EiNS0_10empty_typeEbEEZZNS1_14partition_implILS5_8ELb0ES3_jPKiPS6_PKS6_NS0_5tupleIJPiS6_EEENSE_IJSB_SB_EEENS0_18inequality_wrapperIN6hipcub16HIPCUB_304000_NS8EqualityEEEPlJS6_EEE10hipError_tPvRmT3_T4_T5_T6_T7_T9_mT8_P12ihipStream_tbDpT10_ENKUlT_T0_E_clISt17integral_constantIbLb1EES17_EEDaS12_S13_EUlS12_E_NS1_11comp_targetILNS1_3genE0ELNS1_11target_archE4294967295ELNS1_3gpuE0ELNS1_3repE0EEENS1_30default_config_static_selectorELNS0_4arch9wavefront6targetE1EEEvT1_
		.amdhsa_group_segment_fixed_size 0
		.amdhsa_private_segment_fixed_size 0
		.amdhsa_kernarg_size 128
		.amdhsa_user_sgpr_count 2
		.amdhsa_user_sgpr_dispatch_ptr 0
		.amdhsa_user_sgpr_queue_ptr 0
		.amdhsa_user_sgpr_kernarg_segment_ptr 1
		.amdhsa_user_sgpr_dispatch_id 0
		.amdhsa_user_sgpr_kernarg_preload_length 0
		.amdhsa_user_sgpr_kernarg_preload_offset 0
		.amdhsa_user_sgpr_private_segment_size 0
		.amdhsa_uses_dynamic_stack 0
		.amdhsa_enable_private_segment 0
		.amdhsa_system_sgpr_workgroup_id_x 1
		.amdhsa_system_sgpr_workgroup_id_y 0
		.amdhsa_system_sgpr_workgroup_id_z 0
		.amdhsa_system_sgpr_workgroup_info 0
		.amdhsa_system_vgpr_workitem_id 0
		.amdhsa_next_free_vgpr 1
		.amdhsa_next_free_sgpr 0
		.amdhsa_accum_offset 4
		.amdhsa_reserve_vcc 0
		.amdhsa_float_round_mode_32 0
		.amdhsa_float_round_mode_16_64 0
		.amdhsa_float_denorm_mode_32 3
		.amdhsa_float_denorm_mode_16_64 3
		.amdhsa_dx10_clamp 1
		.amdhsa_ieee_mode 1
		.amdhsa_fp16_overflow 0
		.amdhsa_tg_split 0
		.amdhsa_exception_fp_ieee_invalid_op 0
		.amdhsa_exception_fp_denorm_src 0
		.amdhsa_exception_fp_ieee_div_zero 0
		.amdhsa_exception_fp_ieee_overflow 0
		.amdhsa_exception_fp_ieee_underflow 0
		.amdhsa_exception_fp_ieee_inexact 0
		.amdhsa_exception_int_div_zero 0
	.end_amdhsa_kernel
	.section	.text._ZN7rocprim17ROCPRIM_400000_NS6detail17trampoline_kernelINS0_14default_configENS1_25partition_config_selectorILNS1_17partition_subalgoE8EiNS0_10empty_typeEbEEZZNS1_14partition_implILS5_8ELb0ES3_jPKiPS6_PKS6_NS0_5tupleIJPiS6_EEENSE_IJSB_SB_EEENS0_18inequality_wrapperIN6hipcub16HIPCUB_304000_NS8EqualityEEEPlJS6_EEE10hipError_tPvRmT3_T4_T5_T6_T7_T9_mT8_P12ihipStream_tbDpT10_ENKUlT_T0_E_clISt17integral_constantIbLb1EES17_EEDaS12_S13_EUlS12_E_NS1_11comp_targetILNS1_3genE0ELNS1_11target_archE4294967295ELNS1_3gpuE0ELNS1_3repE0EEENS1_30default_config_static_selectorELNS0_4arch9wavefront6targetE1EEEvT1_,"axG",@progbits,_ZN7rocprim17ROCPRIM_400000_NS6detail17trampoline_kernelINS0_14default_configENS1_25partition_config_selectorILNS1_17partition_subalgoE8EiNS0_10empty_typeEbEEZZNS1_14partition_implILS5_8ELb0ES3_jPKiPS6_PKS6_NS0_5tupleIJPiS6_EEENSE_IJSB_SB_EEENS0_18inequality_wrapperIN6hipcub16HIPCUB_304000_NS8EqualityEEEPlJS6_EEE10hipError_tPvRmT3_T4_T5_T6_T7_T9_mT8_P12ihipStream_tbDpT10_ENKUlT_T0_E_clISt17integral_constantIbLb1EES17_EEDaS12_S13_EUlS12_E_NS1_11comp_targetILNS1_3genE0ELNS1_11target_archE4294967295ELNS1_3gpuE0ELNS1_3repE0EEENS1_30default_config_static_selectorELNS0_4arch9wavefront6targetE1EEEvT1_,comdat
.Lfunc_end195:
	.size	_ZN7rocprim17ROCPRIM_400000_NS6detail17trampoline_kernelINS0_14default_configENS1_25partition_config_selectorILNS1_17partition_subalgoE8EiNS0_10empty_typeEbEEZZNS1_14partition_implILS5_8ELb0ES3_jPKiPS6_PKS6_NS0_5tupleIJPiS6_EEENSE_IJSB_SB_EEENS0_18inequality_wrapperIN6hipcub16HIPCUB_304000_NS8EqualityEEEPlJS6_EEE10hipError_tPvRmT3_T4_T5_T6_T7_T9_mT8_P12ihipStream_tbDpT10_ENKUlT_T0_E_clISt17integral_constantIbLb1EES17_EEDaS12_S13_EUlS12_E_NS1_11comp_targetILNS1_3genE0ELNS1_11target_archE4294967295ELNS1_3gpuE0ELNS1_3repE0EEENS1_30default_config_static_selectorELNS0_4arch9wavefront6targetE1EEEvT1_, .Lfunc_end195-_ZN7rocprim17ROCPRIM_400000_NS6detail17trampoline_kernelINS0_14default_configENS1_25partition_config_selectorILNS1_17partition_subalgoE8EiNS0_10empty_typeEbEEZZNS1_14partition_implILS5_8ELb0ES3_jPKiPS6_PKS6_NS0_5tupleIJPiS6_EEENSE_IJSB_SB_EEENS0_18inequality_wrapperIN6hipcub16HIPCUB_304000_NS8EqualityEEEPlJS6_EEE10hipError_tPvRmT3_T4_T5_T6_T7_T9_mT8_P12ihipStream_tbDpT10_ENKUlT_T0_E_clISt17integral_constantIbLb1EES17_EEDaS12_S13_EUlS12_E_NS1_11comp_targetILNS1_3genE0ELNS1_11target_archE4294967295ELNS1_3gpuE0ELNS1_3repE0EEENS1_30default_config_static_selectorELNS0_4arch9wavefront6targetE1EEEvT1_
                                        ; -- End function
	.section	.AMDGPU.csdata,"",@progbits
; Kernel info:
; codeLenInByte = 0
; NumSgprs: 6
; NumVgprs: 0
; NumAgprs: 0
; TotalNumVgprs: 0
; ScratchSize: 0
; MemoryBound: 0
; FloatMode: 240
; IeeeMode: 1
; LDSByteSize: 0 bytes/workgroup (compile time only)
; SGPRBlocks: 0
; VGPRBlocks: 0
; NumSGPRsForWavesPerEU: 6
; NumVGPRsForWavesPerEU: 1
; AccumOffset: 4
; Occupancy: 8
; WaveLimiterHint : 0
; COMPUTE_PGM_RSRC2:SCRATCH_EN: 0
; COMPUTE_PGM_RSRC2:USER_SGPR: 2
; COMPUTE_PGM_RSRC2:TRAP_HANDLER: 0
; COMPUTE_PGM_RSRC2:TGID_X_EN: 1
; COMPUTE_PGM_RSRC2:TGID_Y_EN: 0
; COMPUTE_PGM_RSRC2:TGID_Z_EN: 0
; COMPUTE_PGM_RSRC2:TIDIG_COMP_CNT: 0
; COMPUTE_PGM_RSRC3_GFX90A:ACCUM_OFFSET: 0
; COMPUTE_PGM_RSRC3_GFX90A:TG_SPLIT: 0
	.section	.text._ZN7rocprim17ROCPRIM_400000_NS6detail17trampoline_kernelINS0_14default_configENS1_25partition_config_selectorILNS1_17partition_subalgoE8EiNS0_10empty_typeEbEEZZNS1_14partition_implILS5_8ELb0ES3_jPKiPS6_PKS6_NS0_5tupleIJPiS6_EEENSE_IJSB_SB_EEENS0_18inequality_wrapperIN6hipcub16HIPCUB_304000_NS8EqualityEEEPlJS6_EEE10hipError_tPvRmT3_T4_T5_T6_T7_T9_mT8_P12ihipStream_tbDpT10_ENKUlT_T0_E_clISt17integral_constantIbLb1EES17_EEDaS12_S13_EUlS12_E_NS1_11comp_targetILNS1_3genE5ELNS1_11target_archE942ELNS1_3gpuE9ELNS1_3repE0EEENS1_30default_config_static_selectorELNS0_4arch9wavefront6targetE1EEEvT1_,"axG",@progbits,_ZN7rocprim17ROCPRIM_400000_NS6detail17trampoline_kernelINS0_14default_configENS1_25partition_config_selectorILNS1_17partition_subalgoE8EiNS0_10empty_typeEbEEZZNS1_14partition_implILS5_8ELb0ES3_jPKiPS6_PKS6_NS0_5tupleIJPiS6_EEENSE_IJSB_SB_EEENS0_18inequality_wrapperIN6hipcub16HIPCUB_304000_NS8EqualityEEEPlJS6_EEE10hipError_tPvRmT3_T4_T5_T6_T7_T9_mT8_P12ihipStream_tbDpT10_ENKUlT_T0_E_clISt17integral_constantIbLb1EES17_EEDaS12_S13_EUlS12_E_NS1_11comp_targetILNS1_3genE5ELNS1_11target_archE942ELNS1_3gpuE9ELNS1_3repE0EEENS1_30default_config_static_selectorELNS0_4arch9wavefront6targetE1EEEvT1_,comdat
	.protected	_ZN7rocprim17ROCPRIM_400000_NS6detail17trampoline_kernelINS0_14default_configENS1_25partition_config_selectorILNS1_17partition_subalgoE8EiNS0_10empty_typeEbEEZZNS1_14partition_implILS5_8ELb0ES3_jPKiPS6_PKS6_NS0_5tupleIJPiS6_EEENSE_IJSB_SB_EEENS0_18inequality_wrapperIN6hipcub16HIPCUB_304000_NS8EqualityEEEPlJS6_EEE10hipError_tPvRmT3_T4_T5_T6_T7_T9_mT8_P12ihipStream_tbDpT10_ENKUlT_T0_E_clISt17integral_constantIbLb1EES17_EEDaS12_S13_EUlS12_E_NS1_11comp_targetILNS1_3genE5ELNS1_11target_archE942ELNS1_3gpuE9ELNS1_3repE0EEENS1_30default_config_static_selectorELNS0_4arch9wavefront6targetE1EEEvT1_ ; -- Begin function _ZN7rocprim17ROCPRIM_400000_NS6detail17trampoline_kernelINS0_14default_configENS1_25partition_config_selectorILNS1_17partition_subalgoE8EiNS0_10empty_typeEbEEZZNS1_14partition_implILS5_8ELb0ES3_jPKiPS6_PKS6_NS0_5tupleIJPiS6_EEENSE_IJSB_SB_EEENS0_18inequality_wrapperIN6hipcub16HIPCUB_304000_NS8EqualityEEEPlJS6_EEE10hipError_tPvRmT3_T4_T5_T6_T7_T9_mT8_P12ihipStream_tbDpT10_ENKUlT_T0_E_clISt17integral_constantIbLb1EES17_EEDaS12_S13_EUlS12_E_NS1_11comp_targetILNS1_3genE5ELNS1_11target_archE942ELNS1_3gpuE9ELNS1_3repE0EEENS1_30default_config_static_selectorELNS0_4arch9wavefront6targetE1EEEvT1_
	.globl	_ZN7rocprim17ROCPRIM_400000_NS6detail17trampoline_kernelINS0_14default_configENS1_25partition_config_selectorILNS1_17partition_subalgoE8EiNS0_10empty_typeEbEEZZNS1_14partition_implILS5_8ELb0ES3_jPKiPS6_PKS6_NS0_5tupleIJPiS6_EEENSE_IJSB_SB_EEENS0_18inequality_wrapperIN6hipcub16HIPCUB_304000_NS8EqualityEEEPlJS6_EEE10hipError_tPvRmT3_T4_T5_T6_T7_T9_mT8_P12ihipStream_tbDpT10_ENKUlT_T0_E_clISt17integral_constantIbLb1EES17_EEDaS12_S13_EUlS12_E_NS1_11comp_targetILNS1_3genE5ELNS1_11target_archE942ELNS1_3gpuE9ELNS1_3repE0EEENS1_30default_config_static_selectorELNS0_4arch9wavefront6targetE1EEEvT1_
	.p2align	8
	.type	_ZN7rocprim17ROCPRIM_400000_NS6detail17trampoline_kernelINS0_14default_configENS1_25partition_config_selectorILNS1_17partition_subalgoE8EiNS0_10empty_typeEbEEZZNS1_14partition_implILS5_8ELb0ES3_jPKiPS6_PKS6_NS0_5tupleIJPiS6_EEENSE_IJSB_SB_EEENS0_18inequality_wrapperIN6hipcub16HIPCUB_304000_NS8EqualityEEEPlJS6_EEE10hipError_tPvRmT3_T4_T5_T6_T7_T9_mT8_P12ihipStream_tbDpT10_ENKUlT_T0_E_clISt17integral_constantIbLb1EES17_EEDaS12_S13_EUlS12_E_NS1_11comp_targetILNS1_3genE5ELNS1_11target_archE942ELNS1_3gpuE9ELNS1_3repE0EEENS1_30default_config_static_selectorELNS0_4arch9wavefront6targetE1EEEvT1_,@function
_ZN7rocprim17ROCPRIM_400000_NS6detail17trampoline_kernelINS0_14default_configENS1_25partition_config_selectorILNS1_17partition_subalgoE8EiNS0_10empty_typeEbEEZZNS1_14partition_implILS5_8ELb0ES3_jPKiPS6_PKS6_NS0_5tupleIJPiS6_EEENSE_IJSB_SB_EEENS0_18inequality_wrapperIN6hipcub16HIPCUB_304000_NS8EqualityEEEPlJS6_EEE10hipError_tPvRmT3_T4_T5_T6_T7_T9_mT8_P12ihipStream_tbDpT10_ENKUlT_T0_E_clISt17integral_constantIbLb1EES17_EEDaS12_S13_EUlS12_E_NS1_11comp_targetILNS1_3genE5ELNS1_11target_archE942ELNS1_3gpuE9ELNS1_3repE0EEENS1_30default_config_static_selectorELNS0_4arch9wavefront6targetE1EEEvT1_: ; @_ZN7rocprim17ROCPRIM_400000_NS6detail17trampoline_kernelINS0_14default_configENS1_25partition_config_selectorILNS1_17partition_subalgoE8EiNS0_10empty_typeEbEEZZNS1_14partition_implILS5_8ELb0ES3_jPKiPS6_PKS6_NS0_5tupleIJPiS6_EEENSE_IJSB_SB_EEENS0_18inequality_wrapperIN6hipcub16HIPCUB_304000_NS8EqualityEEEPlJS6_EEE10hipError_tPvRmT3_T4_T5_T6_T7_T9_mT8_P12ihipStream_tbDpT10_ENKUlT_T0_E_clISt17integral_constantIbLb1EES17_EEDaS12_S13_EUlS12_E_NS1_11comp_targetILNS1_3genE5ELNS1_11target_archE942ELNS1_3gpuE9ELNS1_3repE0EEENS1_30default_config_static_selectorELNS0_4arch9wavefront6targetE1EEEvT1_
; %bb.0:
	s_load_dwordx4 s[36:39], s[0:1], 0x40
	s_load_dwordx2 s[8:9], s[0:1], 0x50
	s_load_dwordx2 s[42:43], s[0:1], 0x60
	v_cmp_ne_u32_e64 s[2:3], 0, v0
	v_cmp_eq_u32_e64 s[18:19], 0, v0
	s_and_saveexec_b64 s[4:5], s[18:19]
	s_cbranch_execz .LBB196_4
; %bb.1:
	s_mov_b64 s[10:11], exec
	v_mbcnt_lo_u32_b32 v1, s10, 0
	v_mbcnt_hi_u32_b32 v1, s11, v1
	v_cmp_eq_u32_e32 vcc, 0, v1
                                        ; implicit-def: $vgpr2
	s_and_saveexec_b64 s[6:7], vcc
	s_cbranch_execz .LBB196_3
; %bb.2:
	s_load_dwordx2 s[12:13], s[0:1], 0x70
	s_bcnt1_i32_b64 s10, s[10:11]
	v_mov_b32_e32 v2, 0
	v_mov_b32_e32 v3, s10
	s_waitcnt lgkmcnt(0)
	global_atomic_add v2, v2, v3, s[12:13] sc0
.LBB196_3:
	s_or_b64 exec, exec, s[6:7]
	s_waitcnt vmcnt(0)
	v_readfirstlane_b32 s6, v2
	v_mov_b32_e32 v2, 0
	s_nop 0
	v_add_u32_e32 v1, s6, v1
	ds_write_b32 v2, v1
.LBB196_4:
	s_or_b64 exec, exec, s[4:5]
	v_mov_b32_e32 v3, 0
	s_load_dwordx4 s[4:7], s[0:1], 0x8
	s_load_dwordx2 s[40:41], s[0:1], 0x28
	s_load_dword s10, s[0:1], 0x68
	s_waitcnt lgkmcnt(0)
	s_barrier
	ds_read_b32 v1, v3
	s_waitcnt lgkmcnt(0)
	s_barrier
	global_load_dwordx2 v[18:19], v3, s[38:39]
	s_lshl_b64 s[0:1], s[6:7], 2
	s_add_u32 s4, s4, s0
	s_movk_i32 s0, 0x1e00
	v_mul_lo_u32 v2, v1, s0
	s_mul_i32 s0, s10, 0x1e00
	s_addc_u32 s5, s5, s1
	s_add_i32 s1, s0, s6
	v_mov_b32_e32 v5, s9
	s_add_i32 s9, s10, -1
	s_sub_i32 s50, s8, s1
	s_add_u32 s0, s6, s0
	v_readfirstlane_b32 s33, v1
	s_addc_u32 s1, s7, 0
	v_mov_b32_e32 v4, s8
	s_cmp_eq_u32 s33, s9
	v_cmp_ge_u64_e32 vcc, s[0:1], v[4:5]
	s_cselect_b64 s[34:35], -1, 0
	s_and_b64 s[44:45], vcc, s[34:35]
	s_xor_b64 s[38:39], s[44:45], -1
	v_lshlrev_b64 v[4:5], 2, v[2:3]
	s_mov_b64 s[0:1], -1
	v_lshl_add_u64 v[34:35], s[4:5], 0, v[4:5]
	s_and_b64 vcc, exec, s[38:39]
	s_cbranch_vccz .LBB196_6
; %bb.5:
	v_lshlrev_b32_e32 v2, 2, v0
	v_lshl_add_u64 v[4:5], v[34:35], 0, v[2:3]
	v_add_co_u32_e32 v6, vcc, 0x1000, v4
	v_readfirstlane_b32 s0, v34
	s_nop 0
	v_addc_co_u32_e32 v7, vcc, 0, v5, vcc
	v_add_co_u32_e32 v8, vcc, 0x2000, v4
	v_readfirstlane_b32 s1, v35
	s_nop 0
	v_addc_co_u32_e32 v9, vcc, 0, v5, vcc
	v_add_co_u32_e32 v10, vcc, 0x3000, v4
	s_nop 1
	global_load_dword v1, v2, s[0:1]
	global_load_dword v3, v2, s[0:1] offset:2048
	v_addc_co_u32_e32 v11, vcc, 0, v5, vcc
	v_add_co_u32_e32 v12, vcc, 0x4000, v4
	s_mov_b64 s[0:1], 0
	s_nop 0
	v_addc_co_u32_e32 v13, vcc, 0, v5, vcc
	global_load_dword v14, v[6:7], off
	global_load_dword v15, v[6:7], off offset:2048
	global_load_dword v16, v[8:9], off
	global_load_dword v17, v[8:9], off offset:2048
	;; [unrolled: 2-line block ×4, first 2 shown]
	v_add_co_u32_e32 v6, vcc, 0x5000, v4
	s_nop 1
	v_addc_co_u32_e32 v7, vcc, 0, v5, vcc
	v_add_co_u32_e32 v8, vcc, 0x6000, v4
	s_nop 1
	v_addc_co_u32_e32 v9, vcc, 0, v5, vcc
	global_load_dword v10, v[6:7], off
	global_load_dword v11, v[6:7], off offset:2048
	global_load_dword v12, v[8:9], off
	global_load_dword v13, v[8:9], off offset:2048
	v_add_co_u32_e32 v4, vcc, 0x7000, v4
	s_nop 1
	v_addc_co_u32_e32 v5, vcc, 0, v5, vcc
	global_load_dword v4, v[4:5], off
	s_waitcnt vmcnt(13)
	ds_write2st64_b32 v2, v1, v3 offset1:8
	s_waitcnt vmcnt(11)
	ds_write2st64_b32 v2, v14, v15 offset0:16 offset1:24
	s_waitcnt vmcnt(9)
	ds_write2st64_b32 v2, v16, v17 offset0:32 offset1:40
	;; [unrolled: 2-line block ×6, first 2 shown]
	s_waitcnt vmcnt(0)
	ds_write_b32 v2, v4 offset:28672
	s_waitcnt lgkmcnt(0)
	s_barrier
.LBB196_6:
	s_andn2_b64 vcc, exec, s[0:1]
	s_addk_i32 s50, 0x1e00
	s_cbranch_vccnz .LBB196_38
; %bb.7:
	v_cmp_gt_u32_e32 vcc, s50, v0
                                        ; implicit-def: $vgpr2_vgpr3_vgpr4_vgpr5_vgpr6_vgpr7_vgpr8_vgpr9_vgpr10_vgpr11_vgpr12_vgpr13_vgpr14_vgpr15_vgpr16_vgpr17
	s_and_saveexec_b64 s[0:1], vcc
	s_cbranch_execz .LBB196_9
; %bb.8:
	v_lshlrev_b32_e32 v1, 2, v0
	v_readfirstlane_b32 s4, v34
	v_readfirstlane_b32 s5, v35
	s_nop 4
	global_load_dword v2, v1, s[4:5]
.LBB196_9:
	s_or_b64 exec, exec, s[0:1]
	v_or_b32_e32 v1, 0x200, v0
	v_cmp_gt_u32_e32 vcc, s50, v1
	s_and_saveexec_b64 s[0:1], vcc
	s_cbranch_execz .LBB196_11
; %bb.10:
	v_lshlrev_b32_e32 v1, 2, v0
	v_readfirstlane_b32 s4, v34
	v_readfirstlane_b32 s5, v35
	s_nop 4
	global_load_dword v3, v1, s[4:5] offset:2048
.LBB196_11:
	s_or_b64 exec, exec, s[0:1]
	v_or_b32_e32 v1, 0x400, v0
	v_cmp_gt_u32_e32 vcc, s50, v1
	s_and_saveexec_b64 s[0:1], vcc
	s_cbranch_execz .LBB196_13
; %bb.12:
	v_lshlrev_b32_e32 v1, 2, v1
	v_readfirstlane_b32 s4, v34
	v_readfirstlane_b32 s5, v35
	s_nop 4
	global_load_dword v4, v1, s[4:5]
.LBB196_13:
	s_or_b64 exec, exec, s[0:1]
	v_or_b32_e32 v1, 0x600, v0
	v_cmp_gt_u32_e32 vcc, s50, v1
	s_and_saveexec_b64 s[0:1], vcc
	s_cbranch_execz .LBB196_15
; %bb.14:
	v_lshlrev_b32_e32 v1, 2, v1
	v_readfirstlane_b32 s4, v34
	v_readfirstlane_b32 s5, v35
	s_nop 4
	global_load_dword v5, v1, s[4:5]
.LBB196_15:
	;; [unrolled: 12-line block ×13, first 2 shown]
	s_or_b64 exec, exec, s[0:1]
	v_lshlrev_b32_e32 v1, 2, v0
	s_waitcnt vmcnt(0)
	ds_write2st64_b32 v1, v2, v3 offset1:8
	ds_write2st64_b32 v1, v4, v5 offset0:16 offset1:24
	ds_write2st64_b32 v1, v6, v7 offset0:32 offset1:40
	;; [unrolled: 1-line block ×6, first 2 shown]
	ds_write_b32 v1, v16 offset:28672
	s_waitcnt lgkmcnt(0)
	s_barrier
.LBB196_38:
	v_mul_u32_u24_e32 v10, 15, v0
	v_lshlrev_b32_e32 v17, 2, v10
	ds_read2_b32 v[32:33], v17 offset1:1
	ds_read2_b32 v[30:31], v17 offset0:2 offset1:3
	ds_read2_b32 v[28:29], v17 offset0:4 offset1:5
	;; [unrolled: 1-line block ×6, first 2 shown]
	ds_read_b32 v1, v17 offset:56
	s_cmp_lg_u32 s33, 0
	s_cselect_b64 s[46:47], -1, 0
	s_cmp_lg_u64 s[6:7], 0
	s_cselect_b64 s[0:1], -1, 0
	s_or_b64 s[0:1], s[0:1], s[46:47]
	v_mad_u32_u24 v15, v0, 15, 1
	v_mad_u32_u24 v11, v0, 15, 2
	;; [unrolled: 1-line block ×14, first 2 shown]
	s_mov_b64 s[48:49], 0
	s_and_b64 vcc, exec, s[0:1]
	s_waitcnt lgkmcnt(0)
	s_barrier
	s_cbranch_vccz .LBB196_43
; %bb.39:
	global_load_dword v34, v[34:35], off offset:-4
	v_lshlrev_b32_e32 v35, 2, v0
	s_and_b64 vcc, exec, s[38:39]
	ds_write_b32 v35, v1
	s_cbranch_vccz .LBB196_45
; %bb.40:
	s_waitcnt vmcnt(0)
	v_mov_b32_e32 v36, v34
	s_waitcnt lgkmcnt(0)
	s_barrier
	s_and_saveexec_b64 s[0:1], s[2:3]
	s_cbranch_execz .LBB196_42
; %bb.41:
	v_add_u32_e32 v36, -4, v35
	ds_read_b32 v36, v36
.LBB196_42:
	s_or_b64 exec, exec, s[0:1]
	v_cmp_ne_u32_e32 vcc, v21, v1
	s_waitcnt lgkmcnt(0)
	v_cmp_ne_u32_e64 s[0:1], v36, v32
	v_cndmask_b32_e64 v37, 0, 1, vcc
	v_cmp_ne_u32_e32 vcc, v20, v21
	s_nop 1
	v_cndmask_b32_e64 v40, 0, 1, vcc
	v_cmp_ne_u32_e32 vcc, v23, v20
	s_nop 1
	;; [unrolled: 3-line block ×13, first 2 shown]
	v_cndmask_b32_e64 v52, 0, 1, vcc
	s_branch .LBB196_49
.LBB196_43:
                                        ; implicit-def: $sgpr0_sgpr1
                                        ; implicit-def: $vgpr37
                                        ; implicit-def: $vgpr40
                                        ; implicit-def: $vgpr41
                                        ; implicit-def: $vgpr42
                                        ; implicit-def: $vgpr43
                                        ; implicit-def: $vgpr44
                                        ; implicit-def: $vgpr45
                                        ; implicit-def: $vgpr46
                                        ; implicit-def: $vgpr52
                                        ; implicit-def: $vgpr51
                                        ; implicit-def: $vgpr50
                                        ; implicit-def: $vgpr49
                                        ; implicit-def: $vgpr48
                                        ; implicit-def: $vgpr47
	s_branch .LBB196_50
.LBB196_44:
                                        ; implicit-def: $sgpr6
	s_branch .LBB196_58
.LBB196_45:
                                        ; implicit-def: $sgpr0_sgpr1
                                        ; implicit-def: $vgpr37
                                        ; implicit-def: $vgpr40
                                        ; implicit-def: $vgpr41
                                        ; implicit-def: $vgpr42
                                        ; implicit-def: $vgpr43
                                        ; implicit-def: $vgpr44
                                        ; implicit-def: $vgpr45
                                        ; implicit-def: $vgpr46
                                        ; implicit-def: $vgpr52
                                        ; implicit-def: $vgpr51
                                        ; implicit-def: $vgpr50
                                        ; implicit-def: $vgpr49
                                        ; implicit-def: $vgpr48
                                        ; implicit-def: $vgpr47
	s_cbranch_execz .LBB196_49
; %bb.46:
	s_waitcnt lgkmcnt(0)
	s_barrier
	s_and_saveexec_b64 s[0:1], s[2:3]
	s_cbranch_execz .LBB196_48
; %bb.47:
	s_waitcnt vmcnt(0)
	v_add_u32_e32 v34, -4, v35
	ds_read_b32 v34, v34
.LBB196_48:
	s_or_b64 exec, exec, s[0:1]
	v_cmp_gt_u32_e32 vcc, s50, v2
	v_cmp_ne_u32_e64 s[0:1], v21, v1
	s_and_b64 s[0:1], vcc, s[0:1]
	v_cmp_gt_u32_e32 vcc, s50, v5
	v_cndmask_b32_e64 v37, 0, 1, s[0:1]
	v_cmp_ne_u32_e64 s[0:1], v20, v21
	s_and_b64 s[0:1], vcc, s[0:1]
	v_cmp_gt_u32_e32 vcc, s50, v4
	v_cndmask_b32_e64 v40, 0, 1, s[0:1]
	;; [unrolled: 4-line block ×14, first 2 shown]
	s_waitcnt vmcnt(0) lgkmcnt(0)
	v_cmp_ne_u32_e64 s[0:1], v34, v32
	s_and_b64 s[0:1], vcc, s[0:1]
.LBB196_49:
	s_mov_b64 s[48:49], -1
	s_cbranch_execnz .LBB196_44
.LBB196_50:
	s_movk_i32 s0, 0xffc8
	v_mad_i32_i24 v17, v0, s0, v17
	s_and_b64 vcc, exec, s[38:39]
	v_cmp_ne_u32_e64 s[0:1], v21, v1
	v_cmp_ne_u32_e64 s[4:5], v20, v21
	;; [unrolled: 1-line block ×14, first 2 shown]
	ds_write_b32 v17, v1
	s_cbranch_vccz .LBB196_54
; %bb.51:
	v_cndmask_b32_e64 v37, 0, 1, s[0:1]
	v_cndmask_b32_e64 v40, 0, 1, s[4:5]
	;; [unrolled: 1-line block ×14, first 2 shown]
	s_waitcnt lgkmcnt(0)
	s_barrier
	s_waitcnt lgkmcnt(0)
                                        ; implicit-def: $sgpr0_sgpr1
	s_and_saveexec_b64 s[4:5], s[2:3]
	s_xor_b64 s[4:5], exec, s[4:5]
	s_cbranch_execz .LBB196_53
; %bb.52:
	s_waitcnt vmcnt(0)
	v_add_u32_e32 v34, -4, v17
	ds_read_b32 v34, v34
	s_or_b64 s[48:49], s[48:49], exec
	s_waitcnt lgkmcnt(0)
	v_cmp_ne_u32_e32 vcc, v34, v32
	s_and_b64 s[0:1], vcc, exec
.LBB196_53:
	s_or_b64 exec, exec, s[4:5]
	s_mov_b32 s6, 1
	s_branch .LBB196_58
.LBB196_54:
                                        ; implicit-def: $sgpr0_sgpr1
                                        ; implicit-def: $vgpr37
                                        ; implicit-def: $vgpr40
                                        ; implicit-def: $vgpr41
                                        ; implicit-def: $vgpr42
                                        ; implicit-def: $vgpr43
                                        ; implicit-def: $vgpr44
                                        ; implicit-def: $vgpr45
                                        ; implicit-def: $vgpr46
                                        ; implicit-def: $vgpr52
                                        ; implicit-def: $vgpr51
                                        ; implicit-def: $vgpr50
                                        ; implicit-def: $vgpr49
                                        ; implicit-def: $vgpr48
                                        ; implicit-def: $vgpr47
                                        ; implicit-def: $sgpr6
	s_cbranch_execz .LBB196_58
; %bb.55:
	v_cmp_gt_u32_e32 vcc, s50, v2
	v_cmp_ne_u32_e64 s[0:1], v21, v1
	s_and_b64 s[0:1], vcc, s[0:1]
	v_cmp_gt_u32_e32 vcc, s50, v5
	v_cndmask_b32_e64 v37, 0, 1, s[0:1]
	v_cmp_ne_u32_e64 s[0:1], v20, v21
	s_and_b64 s[0:1], vcc, s[0:1]
	v_cmp_gt_u32_e32 vcc, s50, v4
	v_cndmask_b32_e64 v40, 0, 1, s[0:1]
	;; [unrolled: 4-line block ×13, first 2 shown]
	v_cmp_ne_u32_e64 s[0:1], v32, v33
	s_and_b64 s[0:1], vcc, s[0:1]
	s_waitcnt lgkmcnt(0)
	v_cndmask_b32_e64 v52, 0, 1, s[0:1]
	s_barrier
	s_waitcnt lgkmcnt(0)
                                        ; implicit-def: $sgpr0_sgpr1
	s_and_saveexec_b64 s[4:5], s[2:3]
	s_cbranch_execz .LBB196_57
; %bb.56:
	v_add_u32_e32 v17, -4, v17
	ds_read_b32 v17, v17
	v_cmp_gt_u32_e32 vcc, s50, v10
	s_or_b64 s[48:49], s[48:49], exec
	s_waitcnt lgkmcnt(0)
	v_cmp_ne_u32_e64 s[0:1], v17, v32
	s_and_b64 s[0:1], vcc, s[0:1]
	s_and_b64 s[0:1], s[0:1], exec
.LBB196_57:
	s_or_b64 exec, exec, s[4:5]
	s_mov_b32 s6, 1
.LBB196_58:
	v_mov_b32_e32 v53, s6
	s_and_saveexec_b64 s[2:3], s[48:49]
; %bb.59:
	v_cndmask_b32_e64 v53, 0, 1, s[0:1]
; %bb.60:
	s_or_b64 exec, exec, s[2:3]
	s_andn2_b64 vcc, exec, s[44:45]
	s_cbranch_vccnz .LBB196_62
; %bb.61:
	v_cmp_gt_u32_e32 vcc, s50, v10
	s_nop 1
	v_cndmask_b32_e32 v53, 0, v53, vcc
	v_cmp_gt_u32_e32 vcc, s50, v15
	s_nop 1
	v_cndmask_b32_e32 v52, 0, v52, vcc
	;; [unrolled: 3-line block ×15, first 2 shown]
.LBB196_62:
	v_and_b32_e32 v56, 0xff, v49
	v_and_b32_e32 v57, 0xff, v48
	;; [unrolled: 1-line block ×5, first 2 shown]
	v_add3_u32 v3, v57, v58, v56
	v_and_b32_e32 v38, 0xff, v53
	v_and_b32_e32 v39, 0xff, v52
	v_add3_u32 v3, v3, v55, v54
	v_and_b32_e32 v59, 0xff, v46
	v_and_b32_e32 v60, 0xff, v45
	v_add3_u32 v3, v3, v39, v38
	v_and_b32_e32 v61, 0xff, v44
	v_and_b32_e32 v62, 0xff, v43
	v_add3_u32 v3, v3, v59, v60
	v_and_b32_e32 v63, 0xff, v42
	v_and_b32_e32 v64, 0xff, v41
	v_add3_u32 v3, v3, v61, v62
	v_and_b32_e32 v65, 0xff, v40
	v_and_b32_e32 v2, 0xff, v37
	v_add3_u32 v3, v3, v63, v64
	v_add3_u32 v68, v3, v65, v2
	v_mbcnt_lo_u32_b32 v2, -1, 0
	v_mbcnt_hi_u32_b32 v66, -1, v2
	v_and_b32_e32 v2, 15, v66
	v_cmp_eq_u32_e64 s[14:15], 0, v2
	v_cmp_lt_u32_e64 s[12:13], 1, v2
	v_cmp_lt_u32_e64 s[10:11], 3, v2
	;; [unrolled: 1-line block ×3, first 2 shown]
	v_and_b32_e32 v2, 16, v66
	v_cmp_eq_u32_e64 s[6:7], 0, v2
	v_or_b32_e32 v2, 63, v0
	v_cmp_lt_u32_e64 s[2:3], 31, v66
	v_lshrrev_b32_e32 v67, 6, v0
	v_cmp_eq_u32_e64 s[4:5], v2, v0
	s_and_b64 vcc, exec, s[46:47]
	s_waitcnt lgkmcnt(0)
	s_barrier
	s_cbranch_vccz .LBB196_93
; %bb.63:
	v_mov_b32_dpp v2, v68 row_shr:1 row_mask:0xf bank_mask:0xf
	v_cndmask_b32_e64 v2, v2, 0, s[14:15]
	v_add_u32_e32 v2, v2, v68
	s_nop 1
	v_mov_b32_dpp v3, v2 row_shr:2 row_mask:0xf bank_mask:0xf
	v_cndmask_b32_e64 v3, 0, v3, s[12:13]
	v_add_u32_e32 v2, v2, v3
	s_nop 1
	;; [unrolled: 4-line block ×4, first 2 shown]
	v_mov_b32_dpp v3, v2 row_bcast:15 row_mask:0xf bank_mask:0xf
	v_cndmask_b32_e64 v3, v3, 0, s[6:7]
	v_add_u32_e32 v2, v2, v3
	s_nop 1
	v_mov_b32_dpp v3, v2 row_bcast:31 row_mask:0xf bank_mask:0xf
	v_cndmask_b32_e64 v3, 0, v3, s[2:3]
	v_add_u32_e32 v2, v2, v3
	s_and_saveexec_b64 s[0:1], s[4:5]
	s_cbranch_execz .LBB196_65
; %bb.64:
	v_lshlrev_b32_e32 v3, 2, v67
	ds_write_b32 v3, v2
.LBB196_65:
	s_or_b64 exec, exec, s[0:1]
	v_cmp_gt_u32_e32 vcc, 8, v0
	s_waitcnt lgkmcnt(0)
	s_barrier
	s_and_saveexec_b64 s[0:1], vcc
	s_cbranch_execz .LBB196_67
; %bb.66:
	v_lshlrev_b32_e32 v3, 2, v0
	ds_read_b32 v4, v3
	v_and_b32_e32 v5, 7, v66
	v_cmp_ne_u32_e32 vcc, 0, v5
	s_waitcnt lgkmcnt(0)
	v_mov_b32_dpp v6, v4 row_shr:1 row_mask:0xf bank_mask:0xf
	v_cndmask_b32_e32 v6, 0, v6, vcc
	v_add_u32_e32 v4, v6, v4
	v_cmp_lt_u32_e32 vcc, 1, v5
	s_nop 0
	v_mov_b32_dpp v6, v4 row_shr:2 row_mask:0xf bank_mask:0xf
	v_cndmask_b32_e32 v6, 0, v6, vcc
	v_add_u32_e32 v4, v4, v6
	v_cmp_lt_u32_e32 vcc, 3, v5
	s_nop 0
	v_mov_b32_dpp v6, v4 row_shr:4 row_mask:0xf bank_mask:0xf
	v_cndmask_b32_e32 v5, 0, v6, vcc
	v_add_u32_e32 v4, v4, v5
	ds_write_b32 v3, v4
.LBB196_67:
	s_or_b64 exec, exec, s[0:1]
	v_cmp_gt_u32_e32 vcc, 64, v0
	v_cmp_lt_u32_e64 s[0:1], 63, v0
	s_waitcnt lgkmcnt(0)
	s_barrier
	s_waitcnt lgkmcnt(0)
                                        ; implicit-def: $vgpr12
	s_and_saveexec_b64 s[16:17], s[0:1]
	s_cbranch_execz .LBB196_69
; %bb.68:
	v_lshl_add_u32 v3, v67, 2, -4
	ds_read_b32 v12, v3
	s_waitcnt lgkmcnt(0)
	v_add_u32_e32 v2, v12, v2
.LBB196_69:
	s_or_b64 exec, exec, s[16:17]
	v_add_u32_e32 v3, -1, v66
	v_and_b32_e32 v4, 64, v66
	v_cmp_lt_i32_e64 s[0:1], v3, v4
	v_cmp_eq_u32_e64 s[16:17], 0, v66
	s_nop 0
	v_cndmask_b32_e64 v3, v3, v66, s[0:1]
	v_lshlrev_b32_e32 v3, 2, v3
	ds_bpermute_b32 v13, v3, v2
	s_and_saveexec_b64 s[0:1], vcc
	s_cbranch_execz .LBB196_92
; %bb.70:
	v_mov_b32_e32 v11, 0
	ds_read_b32 v2, v11 offset:28
	s_and_saveexec_b64 s[20:21], s[16:17]
	s_cbranch_execz .LBB196_72
; %bb.71:
	s_add_i32 s22, s33, 64
	s_mov_b32 s23, 0
	s_lshl_b64 s[22:23], s[22:23], 3
	s_add_u32 s22, s42, s22
	v_mov_b32_e32 v3, 1
	s_addc_u32 s23, s43, s23
	s_waitcnt lgkmcnt(0)
	global_store_dwordx2 v11, v[2:3], s[22:23] sc1
.LBB196_72:
	s_or_b64 exec, exec, s[20:21]
	v_xad_u32 v4, v66, -1, s33
	v_add_u32_e32 v10, 64, v4
	v_lshl_add_u64 v[6:7], v[10:11], 3, s[42:43]
	global_load_dwordx2 v[8:9], v[6:7], off sc1
	s_waitcnt vmcnt(0)
	v_cmp_eq_u16_sdwa s[22:23], v9, v11 src0_sel:BYTE_0 src1_sel:DWORD
	s_and_saveexec_b64 s[20:21], s[22:23]
	s_cbranch_execz .LBB196_78
; %bb.73:
	s_mov_b32 s24, 1
	s_mov_b64 s[22:23], 0
	v_mov_b32_e32 v3, 0
.LBB196_74:                             ; =>This Loop Header: Depth=1
                                        ;     Child Loop BB196_75 Depth 2
	s_max_u32 s25, s24, 1
.LBB196_75:                             ;   Parent Loop BB196_74 Depth=1
                                        ; =>  This Inner Loop Header: Depth=2
	s_add_i32 s25, s25, -1
	s_cmp_eq_u32 s25, 0
	s_sleep 1
	s_cbranch_scc0 .LBB196_75
; %bb.76:                               ;   in Loop: Header=BB196_74 Depth=1
	global_load_dwordx2 v[8:9], v[6:7], off sc1
	s_cmp_lt_u32 s24, 32
	s_cselect_b64 s[26:27], -1, 0
	s_cmp_lg_u64 s[26:27], 0
	s_addc_u32 s24, s24, 0
	s_waitcnt vmcnt(0)
	v_cmp_ne_u16_sdwa s[26:27], v9, v3 src0_sel:BYTE_0 src1_sel:DWORD
	s_or_b64 s[22:23], s[26:27], s[22:23]
	s_andn2_b64 exec, exec, s[22:23]
	s_cbranch_execnz .LBB196_74
; %bb.77:
	s_or_b64 exec, exec, s[22:23]
.LBB196_78:
	s_or_b64 exec, exec, s[20:21]
	v_and_b32_e32 v15, 63, v66
	v_mov_b32_e32 v14, 2
	v_cmp_ne_u32_e32 vcc, 63, v15
	v_cmp_eq_u16_sdwa s[20:21], v9, v14 src0_sel:BYTE_0 src1_sel:DWORD
	v_lshlrev_b64 v[6:7], v66, -1
	v_addc_co_u32_e32 v10, vcc, 0, v66, vcc
	v_and_b32_e32 v3, s21, v7
	v_lshlrev_b32_e32 v16, 2, v10
	v_or_b32_e32 v3, 0x80000000, v3
	ds_bpermute_b32 v10, v16, v8
	v_and_b32_e32 v5, s20, v6
	v_ffbl_b32_e32 v3, v3
	v_add_u32_e32 v3, 32, v3
	v_ffbl_b32_e32 v5, v5
	v_min_u32_e32 v3, v5, v3
	v_cmp_lt_u32_e32 vcc, v15, v3
	v_add_u32_e32 v34, 2, v15
	v_add_u32_e32 v36, 4, v15
	s_waitcnt lgkmcnt(0)
	v_cndmask_b32_e32 v5, 0, v10, vcc
	v_cmp_gt_u32_e32 vcc, 62, v15
	v_add_u32_e32 v5, v5, v8
	v_add_u32_e32 v70, 8, v15
	v_cndmask_b32_e64 v8, 0, 1, vcc
	v_lshlrev_b32_e32 v8, 1, v8
	v_add_lshl_u32 v17, v8, v66, 2
	ds_bpermute_b32 v8, v17, v5
	v_cmp_le_u32_e32 vcc, v34, v3
	v_add_u32_e32 v72, 16, v15
	v_add_u32_e32 v74, 32, v15
	s_waitcnt lgkmcnt(0)
	v_cndmask_b32_e32 v8, 0, v8, vcc
	v_cmp_gt_u32_e32 vcc, 60, v15
	v_add_u32_e32 v5, v5, v8
	s_nop 0
	v_cndmask_b32_e64 v8, 0, 1, vcc
	v_lshlrev_b32_e32 v8, 2, v8
	v_add_lshl_u32 v35, v8, v66, 2
	ds_bpermute_b32 v8, v35, v5
	v_cmp_le_u32_e32 vcc, v36, v3
	s_waitcnt lgkmcnt(0)
	s_nop 0
	v_cndmask_b32_e32 v8, 0, v8, vcc
	v_cmp_gt_u32_e32 vcc, 56, v15
	v_add_u32_e32 v5, v5, v8
	s_nop 0
	v_cndmask_b32_e64 v8, 0, 1, vcc
	v_lshlrev_b32_e32 v8, 3, v8
	v_add_lshl_u32 v69, v8, v66, 2
	ds_bpermute_b32 v8, v69, v5
	v_cmp_le_u32_e32 vcc, v70, v3
	s_waitcnt lgkmcnt(0)
	s_nop 0
	;; [unrolled: 11-line block ×4, first 2 shown]
	v_cndmask_b32_e32 v3, 0, v8, vcc
	v_add_u32_e32 v8, v5, v3
	v_mov_b32_e32 v5, 0
	s_branch .LBB196_80
.LBB196_79:                             ;   in Loop: Header=BB196_80 Depth=1
	s_or_b64 exec, exec, s[20:21]
	v_cmp_eq_u16_sdwa s[20:21], v9, v14 src0_sel:BYTE_0 src1_sel:DWORD
	ds_bpermute_b32 v75, v16, v8
	v_subrev_u32_e32 v4, 64, v4
	v_and_b32_e32 v10, s21, v7
	v_or_b32_e32 v10, 0x80000000, v10
	v_and_b32_e32 v11, s20, v6
	v_ffbl_b32_e32 v10, v10
	v_add_u32_e32 v10, 32, v10
	v_ffbl_b32_e32 v11, v11
	v_min_u32_e32 v10, v11, v10
	v_cmp_lt_u32_e32 vcc, v15, v10
	s_waitcnt lgkmcnt(0)
	s_nop 0
	v_cndmask_b32_e32 v11, 0, v75, vcc
	v_add_u32_e32 v8, v11, v8
	ds_bpermute_b32 v11, v17, v8
	v_cmp_le_u32_e32 vcc, v34, v10
	s_waitcnt lgkmcnt(0)
	s_nop 0
	v_cndmask_b32_e32 v11, 0, v11, vcc
	v_add_u32_e32 v8, v8, v11
	ds_bpermute_b32 v11, v35, v8
	v_cmp_le_u32_e32 vcc, v36, v10
	;; [unrolled: 6-line block ×5, first 2 shown]
	s_waitcnt lgkmcnt(0)
	s_nop 0
	v_cndmask_b32_e32 v10, 0, v11, vcc
	v_add3_u32 v8, v10, v3, v8
.LBB196_80:                             ; =>This Loop Header: Depth=1
                                        ;     Child Loop BB196_83 Depth 2
                                        ;       Child Loop BB196_84 Depth 3
	v_cmp_ne_u16_sdwa s[20:21], v9, v14 src0_sel:BYTE_0 src1_sel:DWORD
	s_nop 1
	v_cndmask_b32_e64 v3, 0, 1, s[20:21]
	;;#ASMSTART
	;;#ASMEND
	s_nop 0
	v_cmp_ne_u32_e32 vcc, 0, v3
	s_cmp_lg_u64 vcc, exec
	v_mov_b32_e32 v3, v8
	s_cbranch_scc1 .LBB196_87
; %bb.81:                               ;   in Loop: Header=BB196_80 Depth=1
	v_lshl_add_u64 v[10:11], v[4:5], 3, s[42:43]
	global_load_dwordx2 v[8:9], v[10:11], off sc1
	s_waitcnt vmcnt(0)
	v_cmp_eq_u16_sdwa s[22:23], v9, v5 src0_sel:BYTE_0 src1_sel:DWORD
	s_and_saveexec_b64 s[20:21], s[22:23]
	s_cbranch_execz .LBB196_79
; %bb.82:                               ;   in Loop: Header=BB196_80 Depth=1
	s_mov_b32 s24, 1
	s_mov_b64 s[22:23], 0
.LBB196_83:                             ;   Parent Loop BB196_80 Depth=1
                                        ; =>  This Loop Header: Depth=2
                                        ;       Child Loop BB196_84 Depth 3
	s_max_u32 s25, s24, 1
.LBB196_84:                             ;   Parent Loop BB196_80 Depth=1
                                        ;     Parent Loop BB196_83 Depth=2
                                        ; =>    This Inner Loop Header: Depth=3
	s_add_i32 s25, s25, -1
	s_cmp_eq_u32 s25, 0
	s_sleep 1
	s_cbranch_scc0 .LBB196_84
; %bb.85:                               ;   in Loop: Header=BB196_83 Depth=2
	global_load_dwordx2 v[8:9], v[10:11], off sc1
	s_cmp_lt_u32 s24, 32
	s_cselect_b64 s[26:27], -1, 0
	s_cmp_lg_u64 s[26:27], 0
	s_addc_u32 s24, s24, 0
	s_waitcnt vmcnt(0)
	v_cmp_ne_u16_sdwa s[26:27], v9, v5 src0_sel:BYTE_0 src1_sel:DWORD
	s_or_b64 s[22:23], s[26:27], s[22:23]
	s_andn2_b64 exec, exec, s[22:23]
	s_cbranch_execnz .LBB196_83
; %bb.86:                               ;   in Loop: Header=BB196_80 Depth=1
	s_or_b64 exec, exec, s[22:23]
	s_branch .LBB196_79
.LBB196_87:                             ;   in Loop: Header=BB196_80 Depth=1
                                        ; implicit-def: $vgpr8
                                        ; implicit-def: $vgpr9
	s_cbranch_execz .LBB196_80
; %bb.88:
	s_and_saveexec_b64 s[20:21], s[16:17]
	s_cbranch_execz .LBB196_90
; %bb.89:
	s_add_i32 s22, s33, 64
	s_mov_b32 s23, 0
	s_lshl_b64 s[22:23], s[22:23], 3
	s_add_u32 s22, s42, s22
	v_add_u32_e32 v4, v3, v2
	v_mov_b32_e32 v5, 2
	s_addc_u32 s23, s43, s23
	v_mov_b32_e32 v6, 0
	global_store_dwordx2 v6, v[4:5], s[22:23] sc1
	ds_write_b64 v6, v[2:3] offset:30720
.LBB196_90:
	s_or_b64 exec, exec, s[20:21]
	s_and_b64 exec, exec, s[18:19]
	s_cbranch_execz .LBB196_92
; %bb.91:
	v_mov_b32_e32 v2, 0
	ds_write_b32 v2, v3 offset:28
.LBB196_92:
	s_or_b64 exec, exec, s[0:1]
	v_mov_b32_e32 v14, 0
	s_waitcnt lgkmcnt(0)
	s_barrier
	ds_read_b32 v2, v14 offset:28
	v_cndmask_b32_e64 v3, v13, v12, s[16:17]
	v_cndmask_b32_e64 v3, v3, 0, s[18:19]
	s_waitcnt lgkmcnt(0)
	s_barrier
	v_add_u32_e32 v2, v2, v3
	v_add_u32_e32 v3, v2, v38
	;; [unrolled: 1-line block ×10, first 2 shown]
	s_waitcnt vmcnt(0)
	ds_read_b64 v[34:35], v14 offset:30720
	v_add_u32_e32 v12, v11, v61
	v_add_u32_e32 v13, v12, v62
	;; [unrolled: 1-line block ×5, first 2 shown]
	s_waitcnt lgkmcnt(0)
	v_mov_b32_e32 v36, v35
	s_branch .LBB196_103
.LBB196_93:
                                        ; implicit-def: $vgpr36
                                        ; implicit-def: $vgpr34
                                        ; implicit-def: $vgpr2_vgpr3_vgpr4_vgpr5_vgpr6_vgpr7_vgpr8_vgpr9_vgpr10_vgpr11_vgpr12_vgpr13_vgpr14_vgpr15_vgpr16_vgpr17
	s_cbranch_execz .LBB196_103
; %bb.94:
	s_nop 0
	v_mov_b32_dpp v2, v68 row_shr:1 row_mask:0xf bank_mask:0xf
	v_cndmask_b32_e64 v2, v2, 0, s[14:15]
	v_add_u32_e32 v2, v2, v68
	s_nop 1
	v_mov_b32_dpp v3, v2 row_shr:2 row_mask:0xf bank_mask:0xf
	v_cndmask_b32_e64 v3, 0, v3, s[12:13]
	v_add_u32_e32 v2, v2, v3
	;; [unrolled: 4-line block ×4, first 2 shown]
	s_nop 1
	v_mov_b32_dpp v3, v2 row_bcast:15 row_mask:0xf bank_mask:0xf
	v_cndmask_b32_e64 v3, v3, 0, s[6:7]
	v_add_u32_e32 v2, v2, v3
	s_nop 1
	v_mov_b32_dpp v3, v2 row_bcast:31 row_mask:0xf bank_mask:0xf
	v_cndmask_b32_e64 v3, 0, v3, s[2:3]
	v_add_u32_e32 v2, v2, v3
	s_and_saveexec_b64 s[0:1], s[4:5]
	s_cbranch_execz .LBB196_96
; %bb.95:
	v_lshlrev_b32_e32 v3, 2, v67
	ds_write_b32 v3, v2
.LBB196_96:
	s_or_b64 exec, exec, s[0:1]
	v_cmp_gt_u32_e32 vcc, 8, v0
	s_waitcnt lgkmcnt(0)
	s_barrier
	s_and_saveexec_b64 s[0:1], vcc
	s_cbranch_execz .LBB196_98
; %bb.97:
	v_lshlrev_b32_e32 v3, 2, v0
	ds_read_b32 v4, v3
	v_and_b32_e32 v5, 7, v66
	v_cmp_ne_u32_e32 vcc, 0, v5
	s_waitcnt lgkmcnt(0)
	v_mov_b32_dpp v6, v4 row_shr:1 row_mask:0xf bank_mask:0xf
	v_cndmask_b32_e32 v6, 0, v6, vcc
	v_add_u32_e32 v4, v6, v4
	v_cmp_lt_u32_e32 vcc, 1, v5
	s_nop 0
	v_mov_b32_dpp v6, v4 row_shr:2 row_mask:0xf bank_mask:0xf
	v_cndmask_b32_e32 v6, 0, v6, vcc
	v_add_u32_e32 v4, v4, v6
	v_cmp_lt_u32_e32 vcc, 3, v5
	s_nop 0
	v_mov_b32_dpp v6, v4 row_shr:4 row_mask:0xf bank_mask:0xf
	v_cndmask_b32_e32 v5, 0, v6, vcc
	v_add_u32_e32 v4, v4, v5
	ds_write_b32 v3, v4
.LBB196_98:
	s_or_b64 exec, exec, s[0:1]
	v_cmp_lt_u32_e32 vcc, 63, v0
	v_mov_b32_e32 v4, 0
	v_mov_b32_e32 v3, 0
	s_waitcnt lgkmcnt(0)
	s_barrier
	s_and_saveexec_b64 s[0:1], vcc
	s_cbranch_execz .LBB196_100
; %bb.99:
	v_lshl_add_u32 v3, v67, 2, -4
	ds_read_b32 v3, v3
.LBB196_100:
	s_or_b64 exec, exec, s[0:1]
	v_add_u32_e32 v5, -1, v66
	v_and_b32_e32 v6, 64, v66
	v_cmp_lt_i32_e32 vcc, v5, v6
	s_waitcnt lgkmcnt(0)
	v_add_u32_e32 v2, v3, v2
	s_waitcnt vmcnt(0)
	ds_read_b32 v34, v4 offset:28
	v_cndmask_b32_e32 v5, v5, v66, vcc
	v_lshlrev_b32_e32 v5, 2, v5
	ds_bpermute_b32 v2, v5, v2
	s_and_saveexec_b64 s[0:1], s[18:19]
	s_cbranch_execz .LBB196_102
; %bb.101:
	v_mov_b32_e32 v4, 0
	v_mov_b32_e32 v35, 2
	s_waitcnt lgkmcnt(1)
	global_store_dwordx2 v4, v[34:35], s[42:43] offset:512 sc1
.LBB196_102:
	s_or_b64 exec, exec, s[0:1]
	v_cmp_eq_u32_e32 vcc, 0, v66
	v_mov_b32_e32 v36, 0
	s_waitcnt lgkmcnt(0)
	v_cndmask_b32_e32 v2, v2, v3, vcc
	v_cndmask_b32_e64 v2, v2, 0, s[18:19]
	v_add_u32_e32 v3, v2, v38
	v_add_u32_e32 v4, v3, v39
	;; [unrolled: 1-line block ×14, first 2 shown]
	s_barrier
.LBB196_103:
	s_movk_i32 s0, 0x201
	s_waitcnt vmcnt(0)
	v_cmp_gt_u32_e32 vcc, s0, v34
	s_mov_b64 s[0:1], -1
	s_cbranch_vccnz .LBB196_107
; %bb.104:
	s_and_b64 vcc, exec, s[0:1]
	s_cbranch_vccnz .LBB196_153
.LBB196_105:
	s_and_b64 s[0:1], s[18:19], s[34:35]
	s_and_saveexec_b64 s[2:3], s[0:1]
	s_cbranch_execnz .LBB196_197
.LBB196_106:
	s_endpgm
.LBB196_107:
	v_add_u32_e32 v17, v36, v34
	v_lshlrev_b64 v[38:39], 2, v[18:19]
	v_cmp_lt_u32_e32 vcc, v2, v17
	v_lshl_add_u64 v[38:39], s[40:41], 0, v[38:39]
	s_or_b64 s[2:3], s[38:39], vcc
	s_and_saveexec_b64 s[0:1], s[2:3]
	s_cbranch_execz .LBB196_110
; %bb.108:
	v_and_b32_e32 v35, 1, v53
	v_cmp_eq_u32_e32 vcc, 1, v35
	s_and_b64 exec, exec, vcc
	s_cbranch_execz .LBB196_110
; %bb.109:
	v_mov_b32_e32 v55, 0
	v_mov_b32_e32 v54, v2
	v_lshl_add_u64 v[54:55], v[54:55], 2, v[38:39]
	global_store_dword v[54:55], v32, off
.LBB196_110:
	s_or_b64 exec, exec, s[0:1]
	v_cmp_lt_u32_e32 vcc, v3, v17
	s_or_b64 s[2:3], s[38:39], vcc
	s_and_saveexec_b64 s[0:1], s[2:3]
	s_cbranch_execz .LBB196_113
; %bb.111:
	v_and_b32_e32 v35, 1, v52
	v_cmp_eq_u32_e32 vcc, 1, v35
	s_and_b64 exec, exec, vcc
	s_cbranch_execz .LBB196_113
; %bb.112:
	v_mov_b32_e32 v55, 0
	v_mov_b32_e32 v54, v3
	v_lshl_add_u64 v[54:55], v[54:55], 2, v[38:39]
	global_store_dword v[54:55], v33, off
.LBB196_113:
	s_or_b64 exec, exec, s[0:1]
	v_cmp_lt_u32_e32 vcc, v4, v17
	;; [unrolled: 16-line block ×14, first 2 shown]
	s_or_b64 s[2:3], s[38:39], vcc
	s_and_saveexec_b64 s[0:1], s[2:3]
	s_cbranch_execz .LBB196_152
; %bb.150:
	v_and_b32_e32 v17, 1, v37
	v_cmp_eq_u32_e32 vcc, 1, v17
	s_and_b64 exec, exec, vcc
	s_cbranch_execz .LBB196_152
; %bb.151:
	v_mov_b32_e32 v17, 0
	v_lshl_add_u64 v[38:39], v[16:17], 2, v[38:39]
	global_store_dword v[38:39], v1, off
.LBB196_152:
	s_or_b64 exec, exec, s[0:1]
	s_branch .LBB196_105
.LBB196_153:
	v_and_b32_e32 v17, 1, v53
	v_cmp_eq_u32_e32 vcc, 1, v17
	s_and_saveexec_b64 s[0:1], vcc
	s_cbranch_execz .LBB196_155
; %bb.154:
	v_sub_u32_e32 v2, v2, v36
	v_lshlrev_b32_e32 v2, 2, v2
	ds_write_b32 v2, v32
.LBB196_155:
	s_or_b64 exec, exec, s[0:1]
	v_and_b32_e32 v2, 1, v52
	v_cmp_eq_u32_e32 vcc, 1, v2
	s_and_saveexec_b64 s[0:1], vcc
	s_cbranch_execz .LBB196_157
; %bb.156:
	v_sub_u32_e32 v2, v3, v36
	v_lshlrev_b32_e32 v2, 2, v2
	ds_write_b32 v2, v33
.LBB196_157:
	s_or_b64 exec, exec, s[0:1]
	;; [unrolled: 10-line block ×15, first 2 shown]
	v_cmp_lt_u32_e32 vcc, v0, v34
	s_waitcnt lgkmcnt(0)
	s_barrier
	s_and_saveexec_b64 s[0:1], vcc
	s_cbranch_execz .LBB196_196
; %bb.184:
	v_mov_b32_e32 v37, 0
	v_lshlrev_b64 v[2:3], 2, v[18:19]
	v_lshl_add_u64 v[2:3], s[40:41], 0, v[2:3]
	v_lshlrev_b64 v[4:5], 2, v[36:37]
	v_xad_u32 v1, v0, -1, v34
	s_movk_i32 s2, 0x1ff
	v_lshl_add_u64 v[2:3], v[2:3], 0, v[4:5]
	v_cmp_lt_u32_e32 vcc, s2, v1
	s_mov_b64 s[4:5], -1
	s_and_saveexec_b64 s[2:3], vcc
	s_cbranch_execz .LBB196_193
; %bb.185:
	v_lshrrev_b32_e32 v8, 9, v1
	v_add_u32_e32 v4, -1, v8
	v_or_b32_e32 v1, 0x200, v0
	v_lshrrev_b32_e32 v5, 1, v4
	v_add_u32_e32 v10, 1, v5
	v_cmp_lt_u32_e32 vcc, 13, v4
	v_lshlrev_b32_e32 v9, 2, v0
	v_mov_b64_e32 v[4:5], v[0:1]
	s_and_saveexec_b64 s[4:5], vcc
	s_cbranch_execz .LBB196_189
; %bb.186:
	v_and_b32_e32 v11, -8, v10
	s_mov_b32 s8, 0
	s_mov_b64 s[6:7], 0
	v_mov_b32_e32 v7, 0
	v_mov_b32_e32 v12, v9
	v_mov_b64_e32 v[4:5], v[0:1]
.LBB196_187:                            ; =>This Inner Loop Header: Depth=1
	ds_read2st64_b32 v[14:15], v12 offset1:8
	v_mov_b32_e32 v6, v4
	ds_read2st64_b32 v[28:29], v12 offset0:48 offset1:56
	v_lshl_add_u64 v[50:51], v[6:7], 2, v[2:3]
	v_mov_b32_e32 v6, v5
	ds_read2st64_b32 v[20:21], v12 offset0:16 offset1:24
	ds_read2st64_b32 v[32:33], v12 offset0:64 offset1:72
	v_lshl_add_u64 v[52:53], v[6:7], 2, v[2:3]
	v_add_u32_e32 v6, 0x400, v4
	ds_read2st64_b32 v[40:41], v12 offset0:80 offset1:88
	v_lshl_add_u64 v[54:55], v[6:7], 2, v[2:3]
	v_add_u32_e32 v6, 0x800, v4
	v_add_u32_e32 v16, 0x400, v5
	v_mov_b32_e32 v17, v7
	v_add_u32_e32 v22, 0x800, v5
	ds_read2st64_b32 v[24:25], v12 offset0:32 offset1:40
	v_mov_b32_e32 v23, v7
	ds_read2st64_b32 v[44:45], v12 offset0:96 offset1:104
	v_lshl_add_u64 v[56:57], v[6:7], 2, v[2:3]
	v_add_u32_e32 v6, 0xc00, v4
	v_add_u32_e32 v26, 0xc00, v5
	v_mov_b32_e32 v27, v7
	ds_read2st64_b32 v[48:49], v12 offset0:112 offset1:120
	v_lshl_add_u64 v[16:17], v[16:17], 2, v[2:3]
	v_lshl_add_u64 v[22:23], v[22:23], 2, v[2:3]
	s_waitcnt lgkmcnt(7)
	global_store_dword v[50:51], v14, off
	global_store_dword v[52:53], v15, off
	s_waitcnt lgkmcnt(5)
	global_store_dword v[54:55], v20, off
	global_store_dword v[16:17], v21, off
	;; [unrolled: 3-line block ×3, first 2 shown]
	v_lshl_add_u64 v[14:15], v[6:7], 2, v[2:3]
	v_add_u32_e32 v6, 0x1000, v4
	v_add_u32_e32 v30, 0x1000, v5
	v_mov_b32_e32 v31, v7
	v_lshl_add_u64 v[26:27], v[26:27], 2, v[2:3]
	global_store_dword v[14:15], v28, off
	global_store_dword v[26:27], v29, off
	v_lshl_add_u64 v[14:15], v[6:7], 2, v[2:3]
	v_add_u32_e32 v6, 0x1400, v4
	v_add_u32_e32 v38, 0x1400, v5
	v_mov_b32_e32 v39, v7
	v_add_u32_e32 v11, -8, v11
	v_lshl_add_u64 v[30:31], v[30:31], 2, v[2:3]
	global_store_dword v[14:15], v32, off
	global_store_dword v[30:31], v33, off
	v_lshl_add_u64 v[14:15], v[6:7], 2, v[2:3]
	v_add_u32_e32 v6, 0x1800, v4
	v_add_u32_e32 v42, 0x1800, v5
	v_mov_b32_e32 v43, v7
	s_add_i32 s8, s8, 16
	v_lshl_add_u64 v[38:39], v[38:39], 2, v[2:3]
	v_cmp_eq_u32_e32 vcc, 0, v11
	global_store_dword v[14:15], v40, off
	global_store_dword v[38:39], v41, off
	v_lshl_add_u64 v[14:15], v[6:7], 2, v[2:3]
	v_add_u32_e32 v6, 0x1c00, v4
	v_add_u32_e32 v46, 0x1c00, v5
	v_mov_b32_e32 v47, v7
	v_add_u32_e32 v12, 0x8000, v12
	v_lshl_add_u64 v[42:43], v[42:43], 2, v[2:3]
	v_add_u32_e32 v5, 0x2000, v5
	v_mov_b32_e32 v37, s8
	s_or_b64 s[6:7], vcc, s[6:7]
	v_add_u32_e32 v4, 0x2000, v4
	s_waitcnt lgkmcnt(1)
	global_store_dword v[14:15], v44, off
	global_store_dword v[42:43], v45, off
	v_lshl_add_u64 v[14:15], v[6:7], 2, v[2:3]
	v_lshl_add_u64 v[46:47], v[46:47], 2, v[2:3]
	s_waitcnt lgkmcnt(0)
	global_store_dword v[14:15], v48, off
	global_store_dword v[46:47], v49, off
	s_andn2_b64 exec, exec, s[6:7]
	s_cbranch_execnz .LBB196_187
; %bb.188:
	s_or_b64 exec, exec, s[6:7]
.LBB196_189:
	s_or_b64 exec, exec, s[4:5]
	v_and_b32_e32 v1, 7, v10
	v_cmp_ne_u32_e32 vcc, 0, v1
	s_and_saveexec_b64 s[4:5], vcc
	s_cbranch_execz .LBB196_192
; %bb.190:
	v_lshl_or_b32 v9, v37, 11, v9
	s_mov_b64 s[6:7], 0
	v_mov_b32_e32 v7, 0
.LBB196_191:                            ; =>This Inner Loop Header: Depth=1
	ds_read2st64_b32 v[10:11], v9 offset1:8
	v_add_u32_e32 v1, -1, v1
	v_mov_b32_e32 v6, v4
	v_cmp_eq_u32_e32 vcc, 0, v1
	v_add_u32_e32 v4, 0x400, v4
	v_add_u32_e32 v9, 0x1000, v9
	v_lshl_add_u64 v[12:13], v[6:7], 2, v[2:3]
	v_mov_b32_e32 v6, v5
	v_add_u32_e32 v5, 0x400, v5
	s_or_b64 s[6:7], vcc, s[6:7]
	v_lshl_add_u64 v[14:15], v[6:7], 2, v[2:3]
	s_waitcnt lgkmcnt(0)
	global_store_dword v[12:13], v10, off
	global_store_dword v[14:15], v11, off
	s_andn2_b64 exec, exec, s[6:7]
	s_cbranch_execnz .LBB196_191
.LBB196_192:
	s_or_b64 exec, exec, s[4:5]
	v_add_u32_e32 v1, 1, v8
	v_and_b32_e32 v4, 0xfffffe, v1
	v_cmp_ne_u32_e32 vcc, v1, v4
	v_lshl_or_b32 v0, v4, 9, v0
	s_orn2_b64 s[4:5], vcc, exec
.LBB196_193:
	s_or_b64 exec, exec, s[2:3]
	s_and_b64 exec, exec, s[4:5]
	s_cbranch_execz .LBB196_196
; %bb.194:
	v_lshlrev_b32_e32 v4, 2, v0
	s_mov_b64 s[2:3], 0
	v_mov_b32_e32 v1, 0
.LBB196_195:                            ; =>This Inner Loop Header: Depth=1
	ds_read_b32 v5, v4
	v_lshl_add_u64 v[6:7], v[0:1], 2, v[2:3]
	v_add_u32_e32 v0, 0x200, v0
	v_cmp_ge_u32_e32 vcc, v0, v34
	v_add_u32_e32 v4, 0x800, v4
	s_or_b64 s[2:3], vcc, s[2:3]
	s_waitcnt lgkmcnt(0)
	global_store_dword v[6:7], v5, off
	s_andn2_b64 exec, exec, s[2:3]
	s_cbranch_execnz .LBB196_195
.LBB196_196:
	s_or_b64 exec, exec, s[0:1]
	s_and_b64 s[0:1], s[18:19], s[34:35]
	s_and_saveexec_b64 s[2:3], s[0:1]
	s_cbranch_execz .LBB196_106
.LBB196_197:
	v_mov_b32_e32 v35, 0
	v_lshl_add_u64 v[0:1], v[18:19], 0, v[34:35]
	v_mov_b32_e32 v37, v35
	v_lshl_add_u64 v[0:1], v[0:1], 0, v[36:37]
	global_store_dwordx2 v35, v[0:1], s[36:37]
	s_endpgm
	.section	.rodata,"a",@progbits
	.p2align	6, 0x0
	.amdhsa_kernel _ZN7rocprim17ROCPRIM_400000_NS6detail17trampoline_kernelINS0_14default_configENS1_25partition_config_selectorILNS1_17partition_subalgoE8EiNS0_10empty_typeEbEEZZNS1_14partition_implILS5_8ELb0ES3_jPKiPS6_PKS6_NS0_5tupleIJPiS6_EEENSE_IJSB_SB_EEENS0_18inequality_wrapperIN6hipcub16HIPCUB_304000_NS8EqualityEEEPlJS6_EEE10hipError_tPvRmT3_T4_T5_T6_T7_T9_mT8_P12ihipStream_tbDpT10_ENKUlT_T0_E_clISt17integral_constantIbLb1EES17_EEDaS12_S13_EUlS12_E_NS1_11comp_targetILNS1_3genE5ELNS1_11target_archE942ELNS1_3gpuE9ELNS1_3repE0EEENS1_30default_config_static_selectorELNS0_4arch9wavefront6targetE1EEEvT1_
		.amdhsa_group_segment_fixed_size 30728
		.amdhsa_private_segment_fixed_size 0
		.amdhsa_kernarg_size 128
		.amdhsa_user_sgpr_count 2
		.amdhsa_user_sgpr_dispatch_ptr 0
		.amdhsa_user_sgpr_queue_ptr 0
		.amdhsa_user_sgpr_kernarg_segment_ptr 1
		.amdhsa_user_sgpr_dispatch_id 0
		.amdhsa_user_sgpr_kernarg_preload_length 0
		.amdhsa_user_sgpr_kernarg_preload_offset 0
		.amdhsa_user_sgpr_private_segment_size 0
		.amdhsa_uses_dynamic_stack 0
		.amdhsa_enable_private_segment 0
		.amdhsa_system_sgpr_workgroup_id_x 1
		.amdhsa_system_sgpr_workgroup_id_y 0
		.amdhsa_system_sgpr_workgroup_id_z 0
		.amdhsa_system_sgpr_workgroup_info 0
		.amdhsa_system_vgpr_workitem_id 0
		.amdhsa_next_free_vgpr 76
		.amdhsa_next_free_sgpr 51
		.amdhsa_accum_offset 76
		.amdhsa_reserve_vcc 1
		.amdhsa_float_round_mode_32 0
		.amdhsa_float_round_mode_16_64 0
		.amdhsa_float_denorm_mode_32 3
		.amdhsa_float_denorm_mode_16_64 3
		.amdhsa_dx10_clamp 1
		.amdhsa_ieee_mode 1
		.amdhsa_fp16_overflow 0
		.amdhsa_tg_split 0
		.amdhsa_exception_fp_ieee_invalid_op 0
		.amdhsa_exception_fp_denorm_src 0
		.amdhsa_exception_fp_ieee_div_zero 0
		.amdhsa_exception_fp_ieee_overflow 0
		.amdhsa_exception_fp_ieee_underflow 0
		.amdhsa_exception_fp_ieee_inexact 0
		.amdhsa_exception_int_div_zero 0
	.end_amdhsa_kernel
	.section	.text._ZN7rocprim17ROCPRIM_400000_NS6detail17trampoline_kernelINS0_14default_configENS1_25partition_config_selectorILNS1_17partition_subalgoE8EiNS0_10empty_typeEbEEZZNS1_14partition_implILS5_8ELb0ES3_jPKiPS6_PKS6_NS0_5tupleIJPiS6_EEENSE_IJSB_SB_EEENS0_18inequality_wrapperIN6hipcub16HIPCUB_304000_NS8EqualityEEEPlJS6_EEE10hipError_tPvRmT3_T4_T5_T6_T7_T9_mT8_P12ihipStream_tbDpT10_ENKUlT_T0_E_clISt17integral_constantIbLb1EES17_EEDaS12_S13_EUlS12_E_NS1_11comp_targetILNS1_3genE5ELNS1_11target_archE942ELNS1_3gpuE9ELNS1_3repE0EEENS1_30default_config_static_selectorELNS0_4arch9wavefront6targetE1EEEvT1_,"axG",@progbits,_ZN7rocprim17ROCPRIM_400000_NS6detail17trampoline_kernelINS0_14default_configENS1_25partition_config_selectorILNS1_17partition_subalgoE8EiNS0_10empty_typeEbEEZZNS1_14partition_implILS5_8ELb0ES3_jPKiPS6_PKS6_NS0_5tupleIJPiS6_EEENSE_IJSB_SB_EEENS0_18inequality_wrapperIN6hipcub16HIPCUB_304000_NS8EqualityEEEPlJS6_EEE10hipError_tPvRmT3_T4_T5_T6_T7_T9_mT8_P12ihipStream_tbDpT10_ENKUlT_T0_E_clISt17integral_constantIbLb1EES17_EEDaS12_S13_EUlS12_E_NS1_11comp_targetILNS1_3genE5ELNS1_11target_archE942ELNS1_3gpuE9ELNS1_3repE0EEENS1_30default_config_static_selectorELNS0_4arch9wavefront6targetE1EEEvT1_,comdat
.Lfunc_end196:
	.size	_ZN7rocprim17ROCPRIM_400000_NS6detail17trampoline_kernelINS0_14default_configENS1_25partition_config_selectorILNS1_17partition_subalgoE8EiNS0_10empty_typeEbEEZZNS1_14partition_implILS5_8ELb0ES3_jPKiPS6_PKS6_NS0_5tupleIJPiS6_EEENSE_IJSB_SB_EEENS0_18inequality_wrapperIN6hipcub16HIPCUB_304000_NS8EqualityEEEPlJS6_EEE10hipError_tPvRmT3_T4_T5_T6_T7_T9_mT8_P12ihipStream_tbDpT10_ENKUlT_T0_E_clISt17integral_constantIbLb1EES17_EEDaS12_S13_EUlS12_E_NS1_11comp_targetILNS1_3genE5ELNS1_11target_archE942ELNS1_3gpuE9ELNS1_3repE0EEENS1_30default_config_static_selectorELNS0_4arch9wavefront6targetE1EEEvT1_, .Lfunc_end196-_ZN7rocprim17ROCPRIM_400000_NS6detail17trampoline_kernelINS0_14default_configENS1_25partition_config_selectorILNS1_17partition_subalgoE8EiNS0_10empty_typeEbEEZZNS1_14partition_implILS5_8ELb0ES3_jPKiPS6_PKS6_NS0_5tupleIJPiS6_EEENSE_IJSB_SB_EEENS0_18inequality_wrapperIN6hipcub16HIPCUB_304000_NS8EqualityEEEPlJS6_EEE10hipError_tPvRmT3_T4_T5_T6_T7_T9_mT8_P12ihipStream_tbDpT10_ENKUlT_T0_E_clISt17integral_constantIbLb1EES17_EEDaS12_S13_EUlS12_E_NS1_11comp_targetILNS1_3genE5ELNS1_11target_archE942ELNS1_3gpuE9ELNS1_3repE0EEENS1_30default_config_static_selectorELNS0_4arch9wavefront6targetE1EEEvT1_
                                        ; -- End function
	.section	.AMDGPU.csdata,"",@progbits
; Kernel info:
; codeLenInByte = 8228
; NumSgprs: 57
; NumVgprs: 76
; NumAgprs: 0
; TotalNumVgprs: 76
; ScratchSize: 0
; MemoryBound: 0
; FloatMode: 240
; IeeeMode: 1
; LDSByteSize: 30728 bytes/workgroup (compile time only)
; SGPRBlocks: 7
; VGPRBlocks: 9
; NumSGPRsForWavesPerEU: 57
; NumVGPRsForWavesPerEU: 76
; AccumOffset: 76
; Occupancy: 4
; WaveLimiterHint : 1
; COMPUTE_PGM_RSRC2:SCRATCH_EN: 0
; COMPUTE_PGM_RSRC2:USER_SGPR: 2
; COMPUTE_PGM_RSRC2:TRAP_HANDLER: 0
; COMPUTE_PGM_RSRC2:TGID_X_EN: 1
; COMPUTE_PGM_RSRC2:TGID_Y_EN: 0
; COMPUTE_PGM_RSRC2:TGID_Z_EN: 0
; COMPUTE_PGM_RSRC2:TIDIG_COMP_CNT: 0
; COMPUTE_PGM_RSRC3_GFX90A:ACCUM_OFFSET: 18
; COMPUTE_PGM_RSRC3_GFX90A:TG_SPLIT: 0
	.section	.text._ZN7rocprim17ROCPRIM_400000_NS6detail17trampoline_kernelINS0_14default_configENS1_25partition_config_selectorILNS1_17partition_subalgoE8EiNS0_10empty_typeEbEEZZNS1_14partition_implILS5_8ELb0ES3_jPKiPS6_PKS6_NS0_5tupleIJPiS6_EEENSE_IJSB_SB_EEENS0_18inequality_wrapperIN6hipcub16HIPCUB_304000_NS8EqualityEEEPlJS6_EEE10hipError_tPvRmT3_T4_T5_T6_T7_T9_mT8_P12ihipStream_tbDpT10_ENKUlT_T0_E_clISt17integral_constantIbLb1EES17_EEDaS12_S13_EUlS12_E_NS1_11comp_targetILNS1_3genE4ELNS1_11target_archE910ELNS1_3gpuE8ELNS1_3repE0EEENS1_30default_config_static_selectorELNS0_4arch9wavefront6targetE1EEEvT1_,"axG",@progbits,_ZN7rocprim17ROCPRIM_400000_NS6detail17trampoline_kernelINS0_14default_configENS1_25partition_config_selectorILNS1_17partition_subalgoE8EiNS0_10empty_typeEbEEZZNS1_14partition_implILS5_8ELb0ES3_jPKiPS6_PKS6_NS0_5tupleIJPiS6_EEENSE_IJSB_SB_EEENS0_18inequality_wrapperIN6hipcub16HIPCUB_304000_NS8EqualityEEEPlJS6_EEE10hipError_tPvRmT3_T4_T5_T6_T7_T9_mT8_P12ihipStream_tbDpT10_ENKUlT_T0_E_clISt17integral_constantIbLb1EES17_EEDaS12_S13_EUlS12_E_NS1_11comp_targetILNS1_3genE4ELNS1_11target_archE910ELNS1_3gpuE8ELNS1_3repE0EEENS1_30default_config_static_selectorELNS0_4arch9wavefront6targetE1EEEvT1_,comdat
	.protected	_ZN7rocprim17ROCPRIM_400000_NS6detail17trampoline_kernelINS0_14default_configENS1_25partition_config_selectorILNS1_17partition_subalgoE8EiNS0_10empty_typeEbEEZZNS1_14partition_implILS5_8ELb0ES3_jPKiPS6_PKS6_NS0_5tupleIJPiS6_EEENSE_IJSB_SB_EEENS0_18inequality_wrapperIN6hipcub16HIPCUB_304000_NS8EqualityEEEPlJS6_EEE10hipError_tPvRmT3_T4_T5_T6_T7_T9_mT8_P12ihipStream_tbDpT10_ENKUlT_T0_E_clISt17integral_constantIbLb1EES17_EEDaS12_S13_EUlS12_E_NS1_11comp_targetILNS1_3genE4ELNS1_11target_archE910ELNS1_3gpuE8ELNS1_3repE0EEENS1_30default_config_static_selectorELNS0_4arch9wavefront6targetE1EEEvT1_ ; -- Begin function _ZN7rocprim17ROCPRIM_400000_NS6detail17trampoline_kernelINS0_14default_configENS1_25partition_config_selectorILNS1_17partition_subalgoE8EiNS0_10empty_typeEbEEZZNS1_14partition_implILS5_8ELb0ES3_jPKiPS6_PKS6_NS0_5tupleIJPiS6_EEENSE_IJSB_SB_EEENS0_18inequality_wrapperIN6hipcub16HIPCUB_304000_NS8EqualityEEEPlJS6_EEE10hipError_tPvRmT3_T4_T5_T6_T7_T9_mT8_P12ihipStream_tbDpT10_ENKUlT_T0_E_clISt17integral_constantIbLb1EES17_EEDaS12_S13_EUlS12_E_NS1_11comp_targetILNS1_3genE4ELNS1_11target_archE910ELNS1_3gpuE8ELNS1_3repE0EEENS1_30default_config_static_selectorELNS0_4arch9wavefront6targetE1EEEvT1_
	.globl	_ZN7rocprim17ROCPRIM_400000_NS6detail17trampoline_kernelINS0_14default_configENS1_25partition_config_selectorILNS1_17partition_subalgoE8EiNS0_10empty_typeEbEEZZNS1_14partition_implILS5_8ELb0ES3_jPKiPS6_PKS6_NS0_5tupleIJPiS6_EEENSE_IJSB_SB_EEENS0_18inequality_wrapperIN6hipcub16HIPCUB_304000_NS8EqualityEEEPlJS6_EEE10hipError_tPvRmT3_T4_T5_T6_T7_T9_mT8_P12ihipStream_tbDpT10_ENKUlT_T0_E_clISt17integral_constantIbLb1EES17_EEDaS12_S13_EUlS12_E_NS1_11comp_targetILNS1_3genE4ELNS1_11target_archE910ELNS1_3gpuE8ELNS1_3repE0EEENS1_30default_config_static_selectorELNS0_4arch9wavefront6targetE1EEEvT1_
	.p2align	8
	.type	_ZN7rocprim17ROCPRIM_400000_NS6detail17trampoline_kernelINS0_14default_configENS1_25partition_config_selectorILNS1_17partition_subalgoE8EiNS0_10empty_typeEbEEZZNS1_14partition_implILS5_8ELb0ES3_jPKiPS6_PKS6_NS0_5tupleIJPiS6_EEENSE_IJSB_SB_EEENS0_18inequality_wrapperIN6hipcub16HIPCUB_304000_NS8EqualityEEEPlJS6_EEE10hipError_tPvRmT3_T4_T5_T6_T7_T9_mT8_P12ihipStream_tbDpT10_ENKUlT_T0_E_clISt17integral_constantIbLb1EES17_EEDaS12_S13_EUlS12_E_NS1_11comp_targetILNS1_3genE4ELNS1_11target_archE910ELNS1_3gpuE8ELNS1_3repE0EEENS1_30default_config_static_selectorELNS0_4arch9wavefront6targetE1EEEvT1_,@function
_ZN7rocprim17ROCPRIM_400000_NS6detail17trampoline_kernelINS0_14default_configENS1_25partition_config_selectorILNS1_17partition_subalgoE8EiNS0_10empty_typeEbEEZZNS1_14partition_implILS5_8ELb0ES3_jPKiPS6_PKS6_NS0_5tupleIJPiS6_EEENSE_IJSB_SB_EEENS0_18inequality_wrapperIN6hipcub16HIPCUB_304000_NS8EqualityEEEPlJS6_EEE10hipError_tPvRmT3_T4_T5_T6_T7_T9_mT8_P12ihipStream_tbDpT10_ENKUlT_T0_E_clISt17integral_constantIbLb1EES17_EEDaS12_S13_EUlS12_E_NS1_11comp_targetILNS1_3genE4ELNS1_11target_archE910ELNS1_3gpuE8ELNS1_3repE0EEENS1_30default_config_static_selectorELNS0_4arch9wavefront6targetE1EEEvT1_: ; @_ZN7rocprim17ROCPRIM_400000_NS6detail17trampoline_kernelINS0_14default_configENS1_25partition_config_selectorILNS1_17partition_subalgoE8EiNS0_10empty_typeEbEEZZNS1_14partition_implILS5_8ELb0ES3_jPKiPS6_PKS6_NS0_5tupleIJPiS6_EEENSE_IJSB_SB_EEENS0_18inequality_wrapperIN6hipcub16HIPCUB_304000_NS8EqualityEEEPlJS6_EEE10hipError_tPvRmT3_T4_T5_T6_T7_T9_mT8_P12ihipStream_tbDpT10_ENKUlT_T0_E_clISt17integral_constantIbLb1EES17_EEDaS12_S13_EUlS12_E_NS1_11comp_targetILNS1_3genE4ELNS1_11target_archE910ELNS1_3gpuE8ELNS1_3repE0EEENS1_30default_config_static_selectorELNS0_4arch9wavefront6targetE1EEEvT1_
; %bb.0:
	.section	.rodata,"a",@progbits
	.p2align	6, 0x0
	.amdhsa_kernel _ZN7rocprim17ROCPRIM_400000_NS6detail17trampoline_kernelINS0_14default_configENS1_25partition_config_selectorILNS1_17partition_subalgoE8EiNS0_10empty_typeEbEEZZNS1_14partition_implILS5_8ELb0ES3_jPKiPS6_PKS6_NS0_5tupleIJPiS6_EEENSE_IJSB_SB_EEENS0_18inequality_wrapperIN6hipcub16HIPCUB_304000_NS8EqualityEEEPlJS6_EEE10hipError_tPvRmT3_T4_T5_T6_T7_T9_mT8_P12ihipStream_tbDpT10_ENKUlT_T0_E_clISt17integral_constantIbLb1EES17_EEDaS12_S13_EUlS12_E_NS1_11comp_targetILNS1_3genE4ELNS1_11target_archE910ELNS1_3gpuE8ELNS1_3repE0EEENS1_30default_config_static_selectorELNS0_4arch9wavefront6targetE1EEEvT1_
		.amdhsa_group_segment_fixed_size 0
		.amdhsa_private_segment_fixed_size 0
		.amdhsa_kernarg_size 128
		.amdhsa_user_sgpr_count 2
		.amdhsa_user_sgpr_dispatch_ptr 0
		.amdhsa_user_sgpr_queue_ptr 0
		.amdhsa_user_sgpr_kernarg_segment_ptr 1
		.amdhsa_user_sgpr_dispatch_id 0
		.amdhsa_user_sgpr_kernarg_preload_length 0
		.amdhsa_user_sgpr_kernarg_preload_offset 0
		.amdhsa_user_sgpr_private_segment_size 0
		.amdhsa_uses_dynamic_stack 0
		.amdhsa_enable_private_segment 0
		.amdhsa_system_sgpr_workgroup_id_x 1
		.amdhsa_system_sgpr_workgroup_id_y 0
		.amdhsa_system_sgpr_workgroup_id_z 0
		.amdhsa_system_sgpr_workgroup_info 0
		.amdhsa_system_vgpr_workitem_id 0
		.amdhsa_next_free_vgpr 1
		.amdhsa_next_free_sgpr 0
		.amdhsa_accum_offset 4
		.amdhsa_reserve_vcc 0
		.amdhsa_float_round_mode_32 0
		.amdhsa_float_round_mode_16_64 0
		.amdhsa_float_denorm_mode_32 3
		.amdhsa_float_denorm_mode_16_64 3
		.amdhsa_dx10_clamp 1
		.amdhsa_ieee_mode 1
		.amdhsa_fp16_overflow 0
		.amdhsa_tg_split 0
		.amdhsa_exception_fp_ieee_invalid_op 0
		.amdhsa_exception_fp_denorm_src 0
		.amdhsa_exception_fp_ieee_div_zero 0
		.amdhsa_exception_fp_ieee_overflow 0
		.amdhsa_exception_fp_ieee_underflow 0
		.amdhsa_exception_fp_ieee_inexact 0
		.amdhsa_exception_int_div_zero 0
	.end_amdhsa_kernel
	.section	.text._ZN7rocprim17ROCPRIM_400000_NS6detail17trampoline_kernelINS0_14default_configENS1_25partition_config_selectorILNS1_17partition_subalgoE8EiNS0_10empty_typeEbEEZZNS1_14partition_implILS5_8ELb0ES3_jPKiPS6_PKS6_NS0_5tupleIJPiS6_EEENSE_IJSB_SB_EEENS0_18inequality_wrapperIN6hipcub16HIPCUB_304000_NS8EqualityEEEPlJS6_EEE10hipError_tPvRmT3_T4_T5_T6_T7_T9_mT8_P12ihipStream_tbDpT10_ENKUlT_T0_E_clISt17integral_constantIbLb1EES17_EEDaS12_S13_EUlS12_E_NS1_11comp_targetILNS1_3genE4ELNS1_11target_archE910ELNS1_3gpuE8ELNS1_3repE0EEENS1_30default_config_static_selectorELNS0_4arch9wavefront6targetE1EEEvT1_,"axG",@progbits,_ZN7rocprim17ROCPRIM_400000_NS6detail17trampoline_kernelINS0_14default_configENS1_25partition_config_selectorILNS1_17partition_subalgoE8EiNS0_10empty_typeEbEEZZNS1_14partition_implILS5_8ELb0ES3_jPKiPS6_PKS6_NS0_5tupleIJPiS6_EEENSE_IJSB_SB_EEENS0_18inequality_wrapperIN6hipcub16HIPCUB_304000_NS8EqualityEEEPlJS6_EEE10hipError_tPvRmT3_T4_T5_T6_T7_T9_mT8_P12ihipStream_tbDpT10_ENKUlT_T0_E_clISt17integral_constantIbLb1EES17_EEDaS12_S13_EUlS12_E_NS1_11comp_targetILNS1_3genE4ELNS1_11target_archE910ELNS1_3gpuE8ELNS1_3repE0EEENS1_30default_config_static_selectorELNS0_4arch9wavefront6targetE1EEEvT1_,comdat
.Lfunc_end197:
	.size	_ZN7rocprim17ROCPRIM_400000_NS6detail17trampoline_kernelINS0_14default_configENS1_25partition_config_selectorILNS1_17partition_subalgoE8EiNS0_10empty_typeEbEEZZNS1_14partition_implILS5_8ELb0ES3_jPKiPS6_PKS6_NS0_5tupleIJPiS6_EEENSE_IJSB_SB_EEENS0_18inequality_wrapperIN6hipcub16HIPCUB_304000_NS8EqualityEEEPlJS6_EEE10hipError_tPvRmT3_T4_T5_T6_T7_T9_mT8_P12ihipStream_tbDpT10_ENKUlT_T0_E_clISt17integral_constantIbLb1EES17_EEDaS12_S13_EUlS12_E_NS1_11comp_targetILNS1_3genE4ELNS1_11target_archE910ELNS1_3gpuE8ELNS1_3repE0EEENS1_30default_config_static_selectorELNS0_4arch9wavefront6targetE1EEEvT1_, .Lfunc_end197-_ZN7rocprim17ROCPRIM_400000_NS6detail17trampoline_kernelINS0_14default_configENS1_25partition_config_selectorILNS1_17partition_subalgoE8EiNS0_10empty_typeEbEEZZNS1_14partition_implILS5_8ELb0ES3_jPKiPS6_PKS6_NS0_5tupleIJPiS6_EEENSE_IJSB_SB_EEENS0_18inequality_wrapperIN6hipcub16HIPCUB_304000_NS8EqualityEEEPlJS6_EEE10hipError_tPvRmT3_T4_T5_T6_T7_T9_mT8_P12ihipStream_tbDpT10_ENKUlT_T0_E_clISt17integral_constantIbLb1EES17_EEDaS12_S13_EUlS12_E_NS1_11comp_targetILNS1_3genE4ELNS1_11target_archE910ELNS1_3gpuE8ELNS1_3repE0EEENS1_30default_config_static_selectorELNS0_4arch9wavefront6targetE1EEEvT1_
                                        ; -- End function
	.section	.AMDGPU.csdata,"",@progbits
; Kernel info:
; codeLenInByte = 0
; NumSgprs: 6
; NumVgprs: 0
; NumAgprs: 0
; TotalNumVgprs: 0
; ScratchSize: 0
; MemoryBound: 0
; FloatMode: 240
; IeeeMode: 1
; LDSByteSize: 0 bytes/workgroup (compile time only)
; SGPRBlocks: 0
; VGPRBlocks: 0
; NumSGPRsForWavesPerEU: 6
; NumVGPRsForWavesPerEU: 1
; AccumOffset: 4
; Occupancy: 8
; WaveLimiterHint : 0
; COMPUTE_PGM_RSRC2:SCRATCH_EN: 0
; COMPUTE_PGM_RSRC2:USER_SGPR: 2
; COMPUTE_PGM_RSRC2:TRAP_HANDLER: 0
; COMPUTE_PGM_RSRC2:TGID_X_EN: 1
; COMPUTE_PGM_RSRC2:TGID_Y_EN: 0
; COMPUTE_PGM_RSRC2:TGID_Z_EN: 0
; COMPUTE_PGM_RSRC2:TIDIG_COMP_CNT: 0
; COMPUTE_PGM_RSRC3_GFX90A:ACCUM_OFFSET: 0
; COMPUTE_PGM_RSRC3_GFX90A:TG_SPLIT: 0
	.section	.text._ZN7rocprim17ROCPRIM_400000_NS6detail17trampoline_kernelINS0_14default_configENS1_25partition_config_selectorILNS1_17partition_subalgoE8EiNS0_10empty_typeEbEEZZNS1_14partition_implILS5_8ELb0ES3_jPKiPS6_PKS6_NS0_5tupleIJPiS6_EEENSE_IJSB_SB_EEENS0_18inequality_wrapperIN6hipcub16HIPCUB_304000_NS8EqualityEEEPlJS6_EEE10hipError_tPvRmT3_T4_T5_T6_T7_T9_mT8_P12ihipStream_tbDpT10_ENKUlT_T0_E_clISt17integral_constantIbLb1EES17_EEDaS12_S13_EUlS12_E_NS1_11comp_targetILNS1_3genE3ELNS1_11target_archE908ELNS1_3gpuE7ELNS1_3repE0EEENS1_30default_config_static_selectorELNS0_4arch9wavefront6targetE1EEEvT1_,"axG",@progbits,_ZN7rocprim17ROCPRIM_400000_NS6detail17trampoline_kernelINS0_14default_configENS1_25partition_config_selectorILNS1_17partition_subalgoE8EiNS0_10empty_typeEbEEZZNS1_14partition_implILS5_8ELb0ES3_jPKiPS6_PKS6_NS0_5tupleIJPiS6_EEENSE_IJSB_SB_EEENS0_18inequality_wrapperIN6hipcub16HIPCUB_304000_NS8EqualityEEEPlJS6_EEE10hipError_tPvRmT3_T4_T5_T6_T7_T9_mT8_P12ihipStream_tbDpT10_ENKUlT_T0_E_clISt17integral_constantIbLb1EES17_EEDaS12_S13_EUlS12_E_NS1_11comp_targetILNS1_3genE3ELNS1_11target_archE908ELNS1_3gpuE7ELNS1_3repE0EEENS1_30default_config_static_selectorELNS0_4arch9wavefront6targetE1EEEvT1_,comdat
	.protected	_ZN7rocprim17ROCPRIM_400000_NS6detail17trampoline_kernelINS0_14default_configENS1_25partition_config_selectorILNS1_17partition_subalgoE8EiNS0_10empty_typeEbEEZZNS1_14partition_implILS5_8ELb0ES3_jPKiPS6_PKS6_NS0_5tupleIJPiS6_EEENSE_IJSB_SB_EEENS0_18inequality_wrapperIN6hipcub16HIPCUB_304000_NS8EqualityEEEPlJS6_EEE10hipError_tPvRmT3_T4_T5_T6_T7_T9_mT8_P12ihipStream_tbDpT10_ENKUlT_T0_E_clISt17integral_constantIbLb1EES17_EEDaS12_S13_EUlS12_E_NS1_11comp_targetILNS1_3genE3ELNS1_11target_archE908ELNS1_3gpuE7ELNS1_3repE0EEENS1_30default_config_static_selectorELNS0_4arch9wavefront6targetE1EEEvT1_ ; -- Begin function _ZN7rocprim17ROCPRIM_400000_NS6detail17trampoline_kernelINS0_14default_configENS1_25partition_config_selectorILNS1_17partition_subalgoE8EiNS0_10empty_typeEbEEZZNS1_14partition_implILS5_8ELb0ES3_jPKiPS6_PKS6_NS0_5tupleIJPiS6_EEENSE_IJSB_SB_EEENS0_18inequality_wrapperIN6hipcub16HIPCUB_304000_NS8EqualityEEEPlJS6_EEE10hipError_tPvRmT3_T4_T5_T6_T7_T9_mT8_P12ihipStream_tbDpT10_ENKUlT_T0_E_clISt17integral_constantIbLb1EES17_EEDaS12_S13_EUlS12_E_NS1_11comp_targetILNS1_3genE3ELNS1_11target_archE908ELNS1_3gpuE7ELNS1_3repE0EEENS1_30default_config_static_selectorELNS0_4arch9wavefront6targetE1EEEvT1_
	.globl	_ZN7rocprim17ROCPRIM_400000_NS6detail17trampoline_kernelINS0_14default_configENS1_25partition_config_selectorILNS1_17partition_subalgoE8EiNS0_10empty_typeEbEEZZNS1_14partition_implILS5_8ELb0ES3_jPKiPS6_PKS6_NS0_5tupleIJPiS6_EEENSE_IJSB_SB_EEENS0_18inequality_wrapperIN6hipcub16HIPCUB_304000_NS8EqualityEEEPlJS6_EEE10hipError_tPvRmT3_T4_T5_T6_T7_T9_mT8_P12ihipStream_tbDpT10_ENKUlT_T0_E_clISt17integral_constantIbLb1EES17_EEDaS12_S13_EUlS12_E_NS1_11comp_targetILNS1_3genE3ELNS1_11target_archE908ELNS1_3gpuE7ELNS1_3repE0EEENS1_30default_config_static_selectorELNS0_4arch9wavefront6targetE1EEEvT1_
	.p2align	8
	.type	_ZN7rocprim17ROCPRIM_400000_NS6detail17trampoline_kernelINS0_14default_configENS1_25partition_config_selectorILNS1_17partition_subalgoE8EiNS0_10empty_typeEbEEZZNS1_14partition_implILS5_8ELb0ES3_jPKiPS6_PKS6_NS0_5tupleIJPiS6_EEENSE_IJSB_SB_EEENS0_18inequality_wrapperIN6hipcub16HIPCUB_304000_NS8EqualityEEEPlJS6_EEE10hipError_tPvRmT3_T4_T5_T6_T7_T9_mT8_P12ihipStream_tbDpT10_ENKUlT_T0_E_clISt17integral_constantIbLb1EES17_EEDaS12_S13_EUlS12_E_NS1_11comp_targetILNS1_3genE3ELNS1_11target_archE908ELNS1_3gpuE7ELNS1_3repE0EEENS1_30default_config_static_selectorELNS0_4arch9wavefront6targetE1EEEvT1_,@function
_ZN7rocprim17ROCPRIM_400000_NS6detail17trampoline_kernelINS0_14default_configENS1_25partition_config_selectorILNS1_17partition_subalgoE8EiNS0_10empty_typeEbEEZZNS1_14partition_implILS5_8ELb0ES3_jPKiPS6_PKS6_NS0_5tupleIJPiS6_EEENSE_IJSB_SB_EEENS0_18inequality_wrapperIN6hipcub16HIPCUB_304000_NS8EqualityEEEPlJS6_EEE10hipError_tPvRmT3_T4_T5_T6_T7_T9_mT8_P12ihipStream_tbDpT10_ENKUlT_T0_E_clISt17integral_constantIbLb1EES17_EEDaS12_S13_EUlS12_E_NS1_11comp_targetILNS1_3genE3ELNS1_11target_archE908ELNS1_3gpuE7ELNS1_3repE0EEENS1_30default_config_static_selectorELNS0_4arch9wavefront6targetE1EEEvT1_: ; @_ZN7rocprim17ROCPRIM_400000_NS6detail17trampoline_kernelINS0_14default_configENS1_25partition_config_selectorILNS1_17partition_subalgoE8EiNS0_10empty_typeEbEEZZNS1_14partition_implILS5_8ELb0ES3_jPKiPS6_PKS6_NS0_5tupleIJPiS6_EEENSE_IJSB_SB_EEENS0_18inequality_wrapperIN6hipcub16HIPCUB_304000_NS8EqualityEEEPlJS6_EEE10hipError_tPvRmT3_T4_T5_T6_T7_T9_mT8_P12ihipStream_tbDpT10_ENKUlT_T0_E_clISt17integral_constantIbLb1EES17_EEDaS12_S13_EUlS12_E_NS1_11comp_targetILNS1_3genE3ELNS1_11target_archE908ELNS1_3gpuE7ELNS1_3repE0EEENS1_30default_config_static_selectorELNS0_4arch9wavefront6targetE1EEEvT1_
; %bb.0:
	.section	.rodata,"a",@progbits
	.p2align	6, 0x0
	.amdhsa_kernel _ZN7rocprim17ROCPRIM_400000_NS6detail17trampoline_kernelINS0_14default_configENS1_25partition_config_selectorILNS1_17partition_subalgoE8EiNS0_10empty_typeEbEEZZNS1_14partition_implILS5_8ELb0ES3_jPKiPS6_PKS6_NS0_5tupleIJPiS6_EEENSE_IJSB_SB_EEENS0_18inequality_wrapperIN6hipcub16HIPCUB_304000_NS8EqualityEEEPlJS6_EEE10hipError_tPvRmT3_T4_T5_T6_T7_T9_mT8_P12ihipStream_tbDpT10_ENKUlT_T0_E_clISt17integral_constantIbLb1EES17_EEDaS12_S13_EUlS12_E_NS1_11comp_targetILNS1_3genE3ELNS1_11target_archE908ELNS1_3gpuE7ELNS1_3repE0EEENS1_30default_config_static_selectorELNS0_4arch9wavefront6targetE1EEEvT1_
		.amdhsa_group_segment_fixed_size 0
		.amdhsa_private_segment_fixed_size 0
		.amdhsa_kernarg_size 128
		.amdhsa_user_sgpr_count 2
		.amdhsa_user_sgpr_dispatch_ptr 0
		.amdhsa_user_sgpr_queue_ptr 0
		.amdhsa_user_sgpr_kernarg_segment_ptr 1
		.amdhsa_user_sgpr_dispatch_id 0
		.amdhsa_user_sgpr_kernarg_preload_length 0
		.amdhsa_user_sgpr_kernarg_preload_offset 0
		.amdhsa_user_sgpr_private_segment_size 0
		.amdhsa_uses_dynamic_stack 0
		.amdhsa_enable_private_segment 0
		.amdhsa_system_sgpr_workgroup_id_x 1
		.amdhsa_system_sgpr_workgroup_id_y 0
		.amdhsa_system_sgpr_workgroup_id_z 0
		.amdhsa_system_sgpr_workgroup_info 0
		.amdhsa_system_vgpr_workitem_id 0
		.amdhsa_next_free_vgpr 1
		.amdhsa_next_free_sgpr 0
		.amdhsa_accum_offset 4
		.amdhsa_reserve_vcc 0
		.amdhsa_float_round_mode_32 0
		.amdhsa_float_round_mode_16_64 0
		.amdhsa_float_denorm_mode_32 3
		.amdhsa_float_denorm_mode_16_64 3
		.amdhsa_dx10_clamp 1
		.amdhsa_ieee_mode 1
		.amdhsa_fp16_overflow 0
		.amdhsa_tg_split 0
		.amdhsa_exception_fp_ieee_invalid_op 0
		.amdhsa_exception_fp_denorm_src 0
		.amdhsa_exception_fp_ieee_div_zero 0
		.amdhsa_exception_fp_ieee_overflow 0
		.amdhsa_exception_fp_ieee_underflow 0
		.amdhsa_exception_fp_ieee_inexact 0
		.amdhsa_exception_int_div_zero 0
	.end_amdhsa_kernel
	.section	.text._ZN7rocprim17ROCPRIM_400000_NS6detail17trampoline_kernelINS0_14default_configENS1_25partition_config_selectorILNS1_17partition_subalgoE8EiNS0_10empty_typeEbEEZZNS1_14partition_implILS5_8ELb0ES3_jPKiPS6_PKS6_NS0_5tupleIJPiS6_EEENSE_IJSB_SB_EEENS0_18inequality_wrapperIN6hipcub16HIPCUB_304000_NS8EqualityEEEPlJS6_EEE10hipError_tPvRmT3_T4_T5_T6_T7_T9_mT8_P12ihipStream_tbDpT10_ENKUlT_T0_E_clISt17integral_constantIbLb1EES17_EEDaS12_S13_EUlS12_E_NS1_11comp_targetILNS1_3genE3ELNS1_11target_archE908ELNS1_3gpuE7ELNS1_3repE0EEENS1_30default_config_static_selectorELNS0_4arch9wavefront6targetE1EEEvT1_,"axG",@progbits,_ZN7rocprim17ROCPRIM_400000_NS6detail17trampoline_kernelINS0_14default_configENS1_25partition_config_selectorILNS1_17partition_subalgoE8EiNS0_10empty_typeEbEEZZNS1_14partition_implILS5_8ELb0ES3_jPKiPS6_PKS6_NS0_5tupleIJPiS6_EEENSE_IJSB_SB_EEENS0_18inequality_wrapperIN6hipcub16HIPCUB_304000_NS8EqualityEEEPlJS6_EEE10hipError_tPvRmT3_T4_T5_T6_T7_T9_mT8_P12ihipStream_tbDpT10_ENKUlT_T0_E_clISt17integral_constantIbLb1EES17_EEDaS12_S13_EUlS12_E_NS1_11comp_targetILNS1_3genE3ELNS1_11target_archE908ELNS1_3gpuE7ELNS1_3repE0EEENS1_30default_config_static_selectorELNS0_4arch9wavefront6targetE1EEEvT1_,comdat
.Lfunc_end198:
	.size	_ZN7rocprim17ROCPRIM_400000_NS6detail17trampoline_kernelINS0_14default_configENS1_25partition_config_selectorILNS1_17partition_subalgoE8EiNS0_10empty_typeEbEEZZNS1_14partition_implILS5_8ELb0ES3_jPKiPS6_PKS6_NS0_5tupleIJPiS6_EEENSE_IJSB_SB_EEENS0_18inequality_wrapperIN6hipcub16HIPCUB_304000_NS8EqualityEEEPlJS6_EEE10hipError_tPvRmT3_T4_T5_T6_T7_T9_mT8_P12ihipStream_tbDpT10_ENKUlT_T0_E_clISt17integral_constantIbLb1EES17_EEDaS12_S13_EUlS12_E_NS1_11comp_targetILNS1_3genE3ELNS1_11target_archE908ELNS1_3gpuE7ELNS1_3repE0EEENS1_30default_config_static_selectorELNS0_4arch9wavefront6targetE1EEEvT1_, .Lfunc_end198-_ZN7rocprim17ROCPRIM_400000_NS6detail17trampoline_kernelINS0_14default_configENS1_25partition_config_selectorILNS1_17partition_subalgoE8EiNS0_10empty_typeEbEEZZNS1_14partition_implILS5_8ELb0ES3_jPKiPS6_PKS6_NS0_5tupleIJPiS6_EEENSE_IJSB_SB_EEENS0_18inequality_wrapperIN6hipcub16HIPCUB_304000_NS8EqualityEEEPlJS6_EEE10hipError_tPvRmT3_T4_T5_T6_T7_T9_mT8_P12ihipStream_tbDpT10_ENKUlT_T0_E_clISt17integral_constantIbLb1EES17_EEDaS12_S13_EUlS12_E_NS1_11comp_targetILNS1_3genE3ELNS1_11target_archE908ELNS1_3gpuE7ELNS1_3repE0EEENS1_30default_config_static_selectorELNS0_4arch9wavefront6targetE1EEEvT1_
                                        ; -- End function
	.section	.AMDGPU.csdata,"",@progbits
; Kernel info:
; codeLenInByte = 0
; NumSgprs: 6
; NumVgprs: 0
; NumAgprs: 0
; TotalNumVgprs: 0
; ScratchSize: 0
; MemoryBound: 0
; FloatMode: 240
; IeeeMode: 1
; LDSByteSize: 0 bytes/workgroup (compile time only)
; SGPRBlocks: 0
; VGPRBlocks: 0
; NumSGPRsForWavesPerEU: 6
; NumVGPRsForWavesPerEU: 1
; AccumOffset: 4
; Occupancy: 8
; WaveLimiterHint : 0
; COMPUTE_PGM_RSRC2:SCRATCH_EN: 0
; COMPUTE_PGM_RSRC2:USER_SGPR: 2
; COMPUTE_PGM_RSRC2:TRAP_HANDLER: 0
; COMPUTE_PGM_RSRC2:TGID_X_EN: 1
; COMPUTE_PGM_RSRC2:TGID_Y_EN: 0
; COMPUTE_PGM_RSRC2:TGID_Z_EN: 0
; COMPUTE_PGM_RSRC2:TIDIG_COMP_CNT: 0
; COMPUTE_PGM_RSRC3_GFX90A:ACCUM_OFFSET: 0
; COMPUTE_PGM_RSRC3_GFX90A:TG_SPLIT: 0
	.section	.text._ZN7rocprim17ROCPRIM_400000_NS6detail17trampoline_kernelINS0_14default_configENS1_25partition_config_selectorILNS1_17partition_subalgoE8EiNS0_10empty_typeEbEEZZNS1_14partition_implILS5_8ELb0ES3_jPKiPS6_PKS6_NS0_5tupleIJPiS6_EEENSE_IJSB_SB_EEENS0_18inequality_wrapperIN6hipcub16HIPCUB_304000_NS8EqualityEEEPlJS6_EEE10hipError_tPvRmT3_T4_T5_T6_T7_T9_mT8_P12ihipStream_tbDpT10_ENKUlT_T0_E_clISt17integral_constantIbLb1EES17_EEDaS12_S13_EUlS12_E_NS1_11comp_targetILNS1_3genE2ELNS1_11target_archE906ELNS1_3gpuE6ELNS1_3repE0EEENS1_30default_config_static_selectorELNS0_4arch9wavefront6targetE1EEEvT1_,"axG",@progbits,_ZN7rocprim17ROCPRIM_400000_NS6detail17trampoline_kernelINS0_14default_configENS1_25partition_config_selectorILNS1_17partition_subalgoE8EiNS0_10empty_typeEbEEZZNS1_14partition_implILS5_8ELb0ES3_jPKiPS6_PKS6_NS0_5tupleIJPiS6_EEENSE_IJSB_SB_EEENS0_18inequality_wrapperIN6hipcub16HIPCUB_304000_NS8EqualityEEEPlJS6_EEE10hipError_tPvRmT3_T4_T5_T6_T7_T9_mT8_P12ihipStream_tbDpT10_ENKUlT_T0_E_clISt17integral_constantIbLb1EES17_EEDaS12_S13_EUlS12_E_NS1_11comp_targetILNS1_3genE2ELNS1_11target_archE906ELNS1_3gpuE6ELNS1_3repE0EEENS1_30default_config_static_selectorELNS0_4arch9wavefront6targetE1EEEvT1_,comdat
	.protected	_ZN7rocprim17ROCPRIM_400000_NS6detail17trampoline_kernelINS0_14default_configENS1_25partition_config_selectorILNS1_17partition_subalgoE8EiNS0_10empty_typeEbEEZZNS1_14partition_implILS5_8ELb0ES3_jPKiPS6_PKS6_NS0_5tupleIJPiS6_EEENSE_IJSB_SB_EEENS0_18inequality_wrapperIN6hipcub16HIPCUB_304000_NS8EqualityEEEPlJS6_EEE10hipError_tPvRmT3_T4_T5_T6_T7_T9_mT8_P12ihipStream_tbDpT10_ENKUlT_T0_E_clISt17integral_constantIbLb1EES17_EEDaS12_S13_EUlS12_E_NS1_11comp_targetILNS1_3genE2ELNS1_11target_archE906ELNS1_3gpuE6ELNS1_3repE0EEENS1_30default_config_static_selectorELNS0_4arch9wavefront6targetE1EEEvT1_ ; -- Begin function _ZN7rocprim17ROCPRIM_400000_NS6detail17trampoline_kernelINS0_14default_configENS1_25partition_config_selectorILNS1_17partition_subalgoE8EiNS0_10empty_typeEbEEZZNS1_14partition_implILS5_8ELb0ES3_jPKiPS6_PKS6_NS0_5tupleIJPiS6_EEENSE_IJSB_SB_EEENS0_18inequality_wrapperIN6hipcub16HIPCUB_304000_NS8EqualityEEEPlJS6_EEE10hipError_tPvRmT3_T4_T5_T6_T7_T9_mT8_P12ihipStream_tbDpT10_ENKUlT_T0_E_clISt17integral_constantIbLb1EES17_EEDaS12_S13_EUlS12_E_NS1_11comp_targetILNS1_3genE2ELNS1_11target_archE906ELNS1_3gpuE6ELNS1_3repE0EEENS1_30default_config_static_selectorELNS0_4arch9wavefront6targetE1EEEvT1_
	.globl	_ZN7rocprim17ROCPRIM_400000_NS6detail17trampoline_kernelINS0_14default_configENS1_25partition_config_selectorILNS1_17partition_subalgoE8EiNS0_10empty_typeEbEEZZNS1_14partition_implILS5_8ELb0ES3_jPKiPS6_PKS6_NS0_5tupleIJPiS6_EEENSE_IJSB_SB_EEENS0_18inequality_wrapperIN6hipcub16HIPCUB_304000_NS8EqualityEEEPlJS6_EEE10hipError_tPvRmT3_T4_T5_T6_T7_T9_mT8_P12ihipStream_tbDpT10_ENKUlT_T0_E_clISt17integral_constantIbLb1EES17_EEDaS12_S13_EUlS12_E_NS1_11comp_targetILNS1_3genE2ELNS1_11target_archE906ELNS1_3gpuE6ELNS1_3repE0EEENS1_30default_config_static_selectorELNS0_4arch9wavefront6targetE1EEEvT1_
	.p2align	8
	.type	_ZN7rocprim17ROCPRIM_400000_NS6detail17trampoline_kernelINS0_14default_configENS1_25partition_config_selectorILNS1_17partition_subalgoE8EiNS0_10empty_typeEbEEZZNS1_14partition_implILS5_8ELb0ES3_jPKiPS6_PKS6_NS0_5tupleIJPiS6_EEENSE_IJSB_SB_EEENS0_18inequality_wrapperIN6hipcub16HIPCUB_304000_NS8EqualityEEEPlJS6_EEE10hipError_tPvRmT3_T4_T5_T6_T7_T9_mT8_P12ihipStream_tbDpT10_ENKUlT_T0_E_clISt17integral_constantIbLb1EES17_EEDaS12_S13_EUlS12_E_NS1_11comp_targetILNS1_3genE2ELNS1_11target_archE906ELNS1_3gpuE6ELNS1_3repE0EEENS1_30default_config_static_selectorELNS0_4arch9wavefront6targetE1EEEvT1_,@function
_ZN7rocprim17ROCPRIM_400000_NS6detail17trampoline_kernelINS0_14default_configENS1_25partition_config_selectorILNS1_17partition_subalgoE8EiNS0_10empty_typeEbEEZZNS1_14partition_implILS5_8ELb0ES3_jPKiPS6_PKS6_NS0_5tupleIJPiS6_EEENSE_IJSB_SB_EEENS0_18inequality_wrapperIN6hipcub16HIPCUB_304000_NS8EqualityEEEPlJS6_EEE10hipError_tPvRmT3_T4_T5_T6_T7_T9_mT8_P12ihipStream_tbDpT10_ENKUlT_T0_E_clISt17integral_constantIbLb1EES17_EEDaS12_S13_EUlS12_E_NS1_11comp_targetILNS1_3genE2ELNS1_11target_archE906ELNS1_3gpuE6ELNS1_3repE0EEENS1_30default_config_static_selectorELNS0_4arch9wavefront6targetE1EEEvT1_: ; @_ZN7rocprim17ROCPRIM_400000_NS6detail17trampoline_kernelINS0_14default_configENS1_25partition_config_selectorILNS1_17partition_subalgoE8EiNS0_10empty_typeEbEEZZNS1_14partition_implILS5_8ELb0ES3_jPKiPS6_PKS6_NS0_5tupleIJPiS6_EEENSE_IJSB_SB_EEENS0_18inequality_wrapperIN6hipcub16HIPCUB_304000_NS8EqualityEEEPlJS6_EEE10hipError_tPvRmT3_T4_T5_T6_T7_T9_mT8_P12ihipStream_tbDpT10_ENKUlT_T0_E_clISt17integral_constantIbLb1EES17_EEDaS12_S13_EUlS12_E_NS1_11comp_targetILNS1_3genE2ELNS1_11target_archE906ELNS1_3gpuE6ELNS1_3repE0EEENS1_30default_config_static_selectorELNS0_4arch9wavefront6targetE1EEEvT1_
; %bb.0:
	.section	.rodata,"a",@progbits
	.p2align	6, 0x0
	.amdhsa_kernel _ZN7rocprim17ROCPRIM_400000_NS6detail17trampoline_kernelINS0_14default_configENS1_25partition_config_selectorILNS1_17partition_subalgoE8EiNS0_10empty_typeEbEEZZNS1_14partition_implILS5_8ELb0ES3_jPKiPS6_PKS6_NS0_5tupleIJPiS6_EEENSE_IJSB_SB_EEENS0_18inequality_wrapperIN6hipcub16HIPCUB_304000_NS8EqualityEEEPlJS6_EEE10hipError_tPvRmT3_T4_T5_T6_T7_T9_mT8_P12ihipStream_tbDpT10_ENKUlT_T0_E_clISt17integral_constantIbLb1EES17_EEDaS12_S13_EUlS12_E_NS1_11comp_targetILNS1_3genE2ELNS1_11target_archE906ELNS1_3gpuE6ELNS1_3repE0EEENS1_30default_config_static_selectorELNS0_4arch9wavefront6targetE1EEEvT1_
		.amdhsa_group_segment_fixed_size 0
		.amdhsa_private_segment_fixed_size 0
		.amdhsa_kernarg_size 128
		.amdhsa_user_sgpr_count 2
		.amdhsa_user_sgpr_dispatch_ptr 0
		.amdhsa_user_sgpr_queue_ptr 0
		.amdhsa_user_sgpr_kernarg_segment_ptr 1
		.amdhsa_user_sgpr_dispatch_id 0
		.amdhsa_user_sgpr_kernarg_preload_length 0
		.amdhsa_user_sgpr_kernarg_preload_offset 0
		.amdhsa_user_sgpr_private_segment_size 0
		.amdhsa_uses_dynamic_stack 0
		.amdhsa_enable_private_segment 0
		.amdhsa_system_sgpr_workgroup_id_x 1
		.amdhsa_system_sgpr_workgroup_id_y 0
		.amdhsa_system_sgpr_workgroup_id_z 0
		.amdhsa_system_sgpr_workgroup_info 0
		.amdhsa_system_vgpr_workitem_id 0
		.amdhsa_next_free_vgpr 1
		.amdhsa_next_free_sgpr 0
		.amdhsa_accum_offset 4
		.amdhsa_reserve_vcc 0
		.amdhsa_float_round_mode_32 0
		.amdhsa_float_round_mode_16_64 0
		.amdhsa_float_denorm_mode_32 3
		.amdhsa_float_denorm_mode_16_64 3
		.amdhsa_dx10_clamp 1
		.amdhsa_ieee_mode 1
		.amdhsa_fp16_overflow 0
		.amdhsa_tg_split 0
		.amdhsa_exception_fp_ieee_invalid_op 0
		.amdhsa_exception_fp_denorm_src 0
		.amdhsa_exception_fp_ieee_div_zero 0
		.amdhsa_exception_fp_ieee_overflow 0
		.amdhsa_exception_fp_ieee_underflow 0
		.amdhsa_exception_fp_ieee_inexact 0
		.amdhsa_exception_int_div_zero 0
	.end_amdhsa_kernel
	.section	.text._ZN7rocprim17ROCPRIM_400000_NS6detail17trampoline_kernelINS0_14default_configENS1_25partition_config_selectorILNS1_17partition_subalgoE8EiNS0_10empty_typeEbEEZZNS1_14partition_implILS5_8ELb0ES3_jPKiPS6_PKS6_NS0_5tupleIJPiS6_EEENSE_IJSB_SB_EEENS0_18inequality_wrapperIN6hipcub16HIPCUB_304000_NS8EqualityEEEPlJS6_EEE10hipError_tPvRmT3_T4_T5_T6_T7_T9_mT8_P12ihipStream_tbDpT10_ENKUlT_T0_E_clISt17integral_constantIbLb1EES17_EEDaS12_S13_EUlS12_E_NS1_11comp_targetILNS1_3genE2ELNS1_11target_archE906ELNS1_3gpuE6ELNS1_3repE0EEENS1_30default_config_static_selectorELNS0_4arch9wavefront6targetE1EEEvT1_,"axG",@progbits,_ZN7rocprim17ROCPRIM_400000_NS6detail17trampoline_kernelINS0_14default_configENS1_25partition_config_selectorILNS1_17partition_subalgoE8EiNS0_10empty_typeEbEEZZNS1_14partition_implILS5_8ELb0ES3_jPKiPS6_PKS6_NS0_5tupleIJPiS6_EEENSE_IJSB_SB_EEENS0_18inequality_wrapperIN6hipcub16HIPCUB_304000_NS8EqualityEEEPlJS6_EEE10hipError_tPvRmT3_T4_T5_T6_T7_T9_mT8_P12ihipStream_tbDpT10_ENKUlT_T0_E_clISt17integral_constantIbLb1EES17_EEDaS12_S13_EUlS12_E_NS1_11comp_targetILNS1_3genE2ELNS1_11target_archE906ELNS1_3gpuE6ELNS1_3repE0EEENS1_30default_config_static_selectorELNS0_4arch9wavefront6targetE1EEEvT1_,comdat
.Lfunc_end199:
	.size	_ZN7rocprim17ROCPRIM_400000_NS6detail17trampoline_kernelINS0_14default_configENS1_25partition_config_selectorILNS1_17partition_subalgoE8EiNS0_10empty_typeEbEEZZNS1_14partition_implILS5_8ELb0ES3_jPKiPS6_PKS6_NS0_5tupleIJPiS6_EEENSE_IJSB_SB_EEENS0_18inequality_wrapperIN6hipcub16HIPCUB_304000_NS8EqualityEEEPlJS6_EEE10hipError_tPvRmT3_T4_T5_T6_T7_T9_mT8_P12ihipStream_tbDpT10_ENKUlT_T0_E_clISt17integral_constantIbLb1EES17_EEDaS12_S13_EUlS12_E_NS1_11comp_targetILNS1_3genE2ELNS1_11target_archE906ELNS1_3gpuE6ELNS1_3repE0EEENS1_30default_config_static_selectorELNS0_4arch9wavefront6targetE1EEEvT1_, .Lfunc_end199-_ZN7rocprim17ROCPRIM_400000_NS6detail17trampoline_kernelINS0_14default_configENS1_25partition_config_selectorILNS1_17partition_subalgoE8EiNS0_10empty_typeEbEEZZNS1_14partition_implILS5_8ELb0ES3_jPKiPS6_PKS6_NS0_5tupleIJPiS6_EEENSE_IJSB_SB_EEENS0_18inequality_wrapperIN6hipcub16HIPCUB_304000_NS8EqualityEEEPlJS6_EEE10hipError_tPvRmT3_T4_T5_T6_T7_T9_mT8_P12ihipStream_tbDpT10_ENKUlT_T0_E_clISt17integral_constantIbLb1EES17_EEDaS12_S13_EUlS12_E_NS1_11comp_targetILNS1_3genE2ELNS1_11target_archE906ELNS1_3gpuE6ELNS1_3repE0EEENS1_30default_config_static_selectorELNS0_4arch9wavefront6targetE1EEEvT1_
                                        ; -- End function
	.section	.AMDGPU.csdata,"",@progbits
; Kernel info:
; codeLenInByte = 0
; NumSgprs: 6
; NumVgprs: 0
; NumAgprs: 0
; TotalNumVgprs: 0
; ScratchSize: 0
; MemoryBound: 0
; FloatMode: 240
; IeeeMode: 1
; LDSByteSize: 0 bytes/workgroup (compile time only)
; SGPRBlocks: 0
; VGPRBlocks: 0
; NumSGPRsForWavesPerEU: 6
; NumVGPRsForWavesPerEU: 1
; AccumOffset: 4
; Occupancy: 8
; WaveLimiterHint : 0
; COMPUTE_PGM_RSRC2:SCRATCH_EN: 0
; COMPUTE_PGM_RSRC2:USER_SGPR: 2
; COMPUTE_PGM_RSRC2:TRAP_HANDLER: 0
; COMPUTE_PGM_RSRC2:TGID_X_EN: 1
; COMPUTE_PGM_RSRC2:TGID_Y_EN: 0
; COMPUTE_PGM_RSRC2:TGID_Z_EN: 0
; COMPUTE_PGM_RSRC2:TIDIG_COMP_CNT: 0
; COMPUTE_PGM_RSRC3_GFX90A:ACCUM_OFFSET: 0
; COMPUTE_PGM_RSRC3_GFX90A:TG_SPLIT: 0
	.section	.text._ZN7rocprim17ROCPRIM_400000_NS6detail17trampoline_kernelINS0_14default_configENS1_25partition_config_selectorILNS1_17partition_subalgoE8EiNS0_10empty_typeEbEEZZNS1_14partition_implILS5_8ELb0ES3_jPKiPS6_PKS6_NS0_5tupleIJPiS6_EEENSE_IJSB_SB_EEENS0_18inequality_wrapperIN6hipcub16HIPCUB_304000_NS8EqualityEEEPlJS6_EEE10hipError_tPvRmT3_T4_T5_T6_T7_T9_mT8_P12ihipStream_tbDpT10_ENKUlT_T0_E_clISt17integral_constantIbLb1EES17_EEDaS12_S13_EUlS12_E_NS1_11comp_targetILNS1_3genE10ELNS1_11target_archE1200ELNS1_3gpuE4ELNS1_3repE0EEENS1_30default_config_static_selectorELNS0_4arch9wavefront6targetE1EEEvT1_,"axG",@progbits,_ZN7rocprim17ROCPRIM_400000_NS6detail17trampoline_kernelINS0_14default_configENS1_25partition_config_selectorILNS1_17partition_subalgoE8EiNS0_10empty_typeEbEEZZNS1_14partition_implILS5_8ELb0ES3_jPKiPS6_PKS6_NS0_5tupleIJPiS6_EEENSE_IJSB_SB_EEENS0_18inequality_wrapperIN6hipcub16HIPCUB_304000_NS8EqualityEEEPlJS6_EEE10hipError_tPvRmT3_T4_T5_T6_T7_T9_mT8_P12ihipStream_tbDpT10_ENKUlT_T0_E_clISt17integral_constantIbLb1EES17_EEDaS12_S13_EUlS12_E_NS1_11comp_targetILNS1_3genE10ELNS1_11target_archE1200ELNS1_3gpuE4ELNS1_3repE0EEENS1_30default_config_static_selectorELNS0_4arch9wavefront6targetE1EEEvT1_,comdat
	.protected	_ZN7rocprim17ROCPRIM_400000_NS6detail17trampoline_kernelINS0_14default_configENS1_25partition_config_selectorILNS1_17partition_subalgoE8EiNS0_10empty_typeEbEEZZNS1_14partition_implILS5_8ELb0ES3_jPKiPS6_PKS6_NS0_5tupleIJPiS6_EEENSE_IJSB_SB_EEENS0_18inequality_wrapperIN6hipcub16HIPCUB_304000_NS8EqualityEEEPlJS6_EEE10hipError_tPvRmT3_T4_T5_T6_T7_T9_mT8_P12ihipStream_tbDpT10_ENKUlT_T0_E_clISt17integral_constantIbLb1EES17_EEDaS12_S13_EUlS12_E_NS1_11comp_targetILNS1_3genE10ELNS1_11target_archE1200ELNS1_3gpuE4ELNS1_3repE0EEENS1_30default_config_static_selectorELNS0_4arch9wavefront6targetE1EEEvT1_ ; -- Begin function _ZN7rocprim17ROCPRIM_400000_NS6detail17trampoline_kernelINS0_14default_configENS1_25partition_config_selectorILNS1_17partition_subalgoE8EiNS0_10empty_typeEbEEZZNS1_14partition_implILS5_8ELb0ES3_jPKiPS6_PKS6_NS0_5tupleIJPiS6_EEENSE_IJSB_SB_EEENS0_18inequality_wrapperIN6hipcub16HIPCUB_304000_NS8EqualityEEEPlJS6_EEE10hipError_tPvRmT3_T4_T5_T6_T7_T9_mT8_P12ihipStream_tbDpT10_ENKUlT_T0_E_clISt17integral_constantIbLb1EES17_EEDaS12_S13_EUlS12_E_NS1_11comp_targetILNS1_3genE10ELNS1_11target_archE1200ELNS1_3gpuE4ELNS1_3repE0EEENS1_30default_config_static_selectorELNS0_4arch9wavefront6targetE1EEEvT1_
	.globl	_ZN7rocprim17ROCPRIM_400000_NS6detail17trampoline_kernelINS0_14default_configENS1_25partition_config_selectorILNS1_17partition_subalgoE8EiNS0_10empty_typeEbEEZZNS1_14partition_implILS5_8ELb0ES3_jPKiPS6_PKS6_NS0_5tupleIJPiS6_EEENSE_IJSB_SB_EEENS0_18inequality_wrapperIN6hipcub16HIPCUB_304000_NS8EqualityEEEPlJS6_EEE10hipError_tPvRmT3_T4_T5_T6_T7_T9_mT8_P12ihipStream_tbDpT10_ENKUlT_T0_E_clISt17integral_constantIbLb1EES17_EEDaS12_S13_EUlS12_E_NS1_11comp_targetILNS1_3genE10ELNS1_11target_archE1200ELNS1_3gpuE4ELNS1_3repE0EEENS1_30default_config_static_selectorELNS0_4arch9wavefront6targetE1EEEvT1_
	.p2align	8
	.type	_ZN7rocprim17ROCPRIM_400000_NS6detail17trampoline_kernelINS0_14default_configENS1_25partition_config_selectorILNS1_17partition_subalgoE8EiNS0_10empty_typeEbEEZZNS1_14partition_implILS5_8ELb0ES3_jPKiPS6_PKS6_NS0_5tupleIJPiS6_EEENSE_IJSB_SB_EEENS0_18inequality_wrapperIN6hipcub16HIPCUB_304000_NS8EqualityEEEPlJS6_EEE10hipError_tPvRmT3_T4_T5_T6_T7_T9_mT8_P12ihipStream_tbDpT10_ENKUlT_T0_E_clISt17integral_constantIbLb1EES17_EEDaS12_S13_EUlS12_E_NS1_11comp_targetILNS1_3genE10ELNS1_11target_archE1200ELNS1_3gpuE4ELNS1_3repE0EEENS1_30default_config_static_selectorELNS0_4arch9wavefront6targetE1EEEvT1_,@function
_ZN7rocprim17ROCPRIM_400000_NS6detail17trampoline_kernelINS0_14default_configENS1_25partition_config_selectorILNS1_17partition_subalgoE8EiNS0_10empty_typeEbEEZZNS1_14partition_implILS5_8ELb0ES3_jPKiPS6_PKS6_NS0_5tupleIJPiS6_EEENSE_IJSB_SB_EEENS0_18inequality_wrapperIN6hipcub16HIPCUB_304000_NS8EqualityEEEPlJS6_EEE10hipError_tPvRmT3_T4_T5_T6_T7_T9_mT8_P12ihipStream_tbDpT10_ENKUlT_T0_E_clISt17integral_constantIbLb1EES17_EEDaS12_S13_EUlS12_E_NS1_11comp_targetILNS1_3genE10ELNS1_11target_archE1200ELNS1_3gpuE4ELNS1_3repE0EEENS1_30default_config_static_selectorELNS0_4arch9wavefront6targetE1EEEvT1_: ; @_ZN7rocprim17ROCPRIM_400000_NS6detail17trampoline_kernelINS0_14default_configENS1_25partition_config_selectorILNS1_17partition_subalgoE8EiNS0_10empty_typeEbEEZZNS1_14partition_implILS5_8ELb0ES3_jPKiPS6_PKS6_NS0_5tupleIJPiS6_EEENSE_IJSB_SB_EEENS0_18inequality_wrapperIN6hipcub16HIPCUB_304000_NS8EqualityEEEPlJS6_EEE10hipError_tPvRmT3_T4_T5_T6_T7_T9_mT8_P12ihipStream_tbDpT10_ENKUlT_T0_E_clISt17integral_constantIbLb1EES17_EEDaS12_S13_EUlS12_E_NS1_11comp_targetILNS1_3genE10ELNS1_11target_archE1200ELNS1_3gpuE4ELNS1_3repE0EEENS1_30default_config_static_selectorELNS0_4arch9wavefront6targetE1EEEvT1_
; %bb.0:
	.section	.rodata,"a",@progbits
	.p2align	6, 0x0
	.amdhsa_kernel _ZN7rocprim17ROCPRIM_400000_NS6detail17trampoline_kernelINS0_14default_configENS1_25partition_config_selectorILNS1_17partition_subalgoE8EiNS0_10empty_typeEbEEZZNS1_14partition_implILS5_8ELb0ES3_jPKiPS6_PKS6_NS0_5tupleIJPiS6_EEENSE_IJSB_SB_EEENS0_18inequality_wrapperIN6hipcub16HIPCUB_304000_NS8EqualityEEEPlJS6_EEE10hipError_tPvRmT3_T4_T5_T6_T7_T9_mT8_P12ihipStream_tbDpT10_ENKUlT_T0_E_clISt17integral_constantIbLb1EES17_EEDaS12_S13_EUlS12_E_NS1_11comp_targetILNS1_3genE10ELNS1_11target_archE1200ELNS1_3gpuE4ELNS1_3repE0EEENS1_30default_config_static_selectorELNS0_4arch9wavefront6targetE1EEEvT1_
		.amdhsa_group_segment_fixed_size 0
		.amdhsa_private_segment_fixed_size 0
		.amdhsa_kernarg_size 128
		.amdhsa_user_sgpr_count 2
		.amdhsa_user_sgpr_dispatch_ptr 0
		.amdhsa_user_sgpr_queue_ptr 0
		.amdhsa_user_sgpr_kernarg_segment_ptr 1
		.amdhsa_user_sgpr_dispatch_id 0
		.amdhsa_user_sgpr_kernarg_preload_length 0
		.amdhsa_user_sgpr_kernarg_preload_offset 0
		.amdhsa_user_sgpr_private_segment_size 0
		.amdhsa_uses_dynamic_stack 0
		.amdhsa_enable_private_segment 0
		.amdhsa_system_sgpr_workgroup_id_x 1
		.amdhsa_system_sgpr_workgroup_id_y 0
		.amdhsa_system_sgpr_workgroup_id_z 0
		.amdhsa_system_sgpr_workgroup_info 0
		.amdhsa_system_vgpr_workitem_id 0
		.amdhsa_next_free_vgpr 1
		.amdhsa_next_free_sgpr 0
		.amdhsa_accum_offset 4
		.amdhsa_reserve_vcc 0
		.amdhsa_float_round_mode_32 0
		.amdhsa_float_round_mode_16_64 0
		.amdhsa_float_denorm_mode_32 3
		.amdhsa_float_denorm_mode_16_64 3
		.amdhsa_dx10_clamp 1
		.amdhsa_ieee_mode 1
		.amdhsa_fp16_overflow 0
		.amdhsa_tg_split 0
		.amdhsa_exception_fp_ieee_invalid_op 0
		.amdhsa_exception_fp_denorm_src 0
		.amdhsa_exception_fp_ieee_div_zero 0
		.amdhsa_exception_fp_ieee_overflow 0
		.amdhsa_exception_fp_ieee_underflow 0
		.amdhsa_exception_fp_ieee_inexact 0
		.amdhsa_exception_int_div_zero 0
	.end_amdhsa_kernel
	.section	.text._ZN7rocprim17ROCPRIM_400000_NS6detail17trampoline_kernelINS0_14default_configENS1_25partition_config_selectorILNS1_17partition_subalgoE8EiNS0_10empty_typeEbEEZZNS1_14partition_implILS5_8ELb0ES3_jPKiPS6_PKS6_NS0_5tupleIJPiS6_EEENSE_IJSB_SB_EEENS0_18inequality_wrapperIN6hipcub16HIPCUB_304000_NS8EqualityEEEPlJS6_EEE10hipError_tPvRmT3_T4_T5_T6_T7_T9_mT8_P12ihipStream_tbDpT10_ENKUlT_T0_E_clISt17integral_constantIbLb1EES17_EEDaS12_S13_EUlS12_E_NS1_11comp_targetILNS1_3genE10ELNS1_11target_archE1200ELNS1_3gpuE4ELNS1_3repE0EEENS1_30default_config_static_selectorELNS0_4arch9wavefront6targetE1EEEvT1_,"axG",@progbits,_ZN7rocprim17ROCPRIM_400000_NS6detail17trampoline_kernelINS0_14default_configENS1_25partition_config_selectorILNS1_17partition_subalgoE8EiNS0_10empty_typeEbEEZZNS1_14partition_implILS5_8ELb0ES3_jPKiPS6_PKS6_NS0_5tupleIJPiS6_EEENSE_IJSB_SB_EEENS0_18inequality_wrapperIN6hipcub16HIPCUB_304000_NS8EqualityEEEPlJS6_EEE10hipError_tPvRmT3_T4_T5_T6_T7_T9_mT8_P12ihipStream_tbDpT10_ENKUlT_T0_E_clISt17integral_constantIbLb1EES17_EEDaS12_S13_EUlS12_E_NS1_11comp_targetILNS1_3genE10ELNS1_11target_archE1200ELNS1_3gpuE4ELNS1_3repE0EEENS1_30default_config_static_selectorELNS0_4arch9wavefront6targetE1EEEvT1_,comdat
.Lfunc_end200:
	.size	_ZN7rocprim17ROCPRIM_400000_NS6detail17trampoline_kernelINS0_14default_configENS1_25partition_config_selectorILNS1_17partition_subalgoE8EiNS0_10empty_typeEbEEZZNS1_14partition_implILS5_8ELb0ES3_jPKiPS6_PKS6_NS0_5tupleIJPiS6_EEENSE_IJSB_SB_EEENS0_18inequality_wrapperIN6hipcub16HIPCUB_304000_NS8EqualityEEEPlJS6_EEE10hipError_tPvRmT3_T4_T5_T6_T7_T9_mT8_P12ihipStream_tbDpT10_ENKUlT_T0_E_clISt17integral_constantIbLb1EES17_EEDaS12_S13_EUlS12_E_NS1_11comp_targetILNS1_3genE10ELNS1_11target_archE1200ELNS1_3gpuE4ELNS1_3repE0EEENS1_30default_config_static_selectorELNS0_4arch9wavefront6targetE1EEEvT1_, .Lfunc_end200-_ZN7rocprim17ROCPRIM_400000_NS6detail17trampoline_kernelINS0_14default_configENS1_25partition_config_selectorILNS1_17partition_subalgoE8EiNS0_10empty_typeEbEEZZNS1_14partition_implILS5_8ELb0ES3_jPKiPS6_PKS6_NS0_5tupleIJPiS6_EEENSE_IJSB_SB_EEENS0_18inequality_wrapperIN6hipcub16HIPCUB_304000_NS8EqualityEEEPlJS6_EEE10hipError_tPvRmT3_T4_T5_T6_T7_T9_mT8_P12ihipStream_tbDpT10_ENKUlT_T0_E_clISt17integral_constantIbLb1EES17_EEDaS12_S13_EUlS12_E_NS1_11comp_targetILNS1_3genE10ELNS1_11target_archE1200ELNS1_3gpuE4ELNS1_3repE0EEENS1_30default_config_static_selectorELNS0_4arch9wavefront6targetE1EEEvT1_
                                        ; -- End function
	.section	.AMDGPU.csdata,"",@progbits
; Kernel info:
; codeLenInByte = 0
; NumSgprs: 6
; NumVgprs: 0
; NumAgprs: 0
; TotalNumVgprs: 0
; ScratchSize: 0
; MemoryBound: 0
; FloatMode: 240
; IeeeMode: 1
; LDSByteSize: 0 bytes/workgroup (compile time only)
; SGPRBlocks: 0
; VGPRBlocks: 0
; NumSGPRsForWavesPerEU: 6
; NumVGPRsForWavesPerEU: 1
; AccumOffset: 4
; Occupancy: 8
; WaveLimiterHint : 0
; COMPUTE_PGM_RSRC2:SCRATCH_EN: 0
; COMPUTE_PGM_RSRC2:USER_SGPR: 2
; COMPUTE_PGM_RSRC2:TRAP_HANDLER: 0
; COMPUTE_PGM_RSRC2:TGID_X_EN: 1
; COMPUTE_PGM_RSRC2:TGID_Y_EN: 0
; COMPUTE_PGM_RSRC2:TGID_Z_EN: 0
; COMPUTE_PGM_RSRC2:TIDIG_COMP_CNT: 0
; COMPUTE_PGM_RSRC3_GFX90A:ACCUM_OFFSET: 0
; COMPUTE_PGM_RSRC3_GFX90A:TG_SPLIT: 0
	.section	.text._ZN7rocprim17ROCPRIM_400000_NS6detail17trampoline_kernelINS0_14default_configENS1_25partition_config_selectorILNS1_17partition_subalgoE8EiNS0_10empty_typeEbEEZZNS1_14partition_implILS5_8ELb0ES3_jPKiPS6_PKS6_NS0_5tupleIJPiS6_EEENSE_IJSB_SB_EEENS0_18inequality_wrapperIN6hipcub16HIPCUB_304000_NS8EqualityEEEPlJS6_EEE10hipError_tPvRmT3_T4_T5_T6_T7_T9_mT8_P12ihipStream_tbDpT10_ENKUlT_T0_E_clISt17integral_constantIbLb1EES17_EEDaS12_S13_EUlS12_E_NS1_11comp_targetILNS1_3genE9ELNS1_11target_archE1100ELNS1_3gpuE3ELNS1_3repE0EEENS1_30default_config_static_selectorELNS0_4arch9wavefront6targetE1EEEvT1_,"axG",@progbits,_ZN7rocprim17ROCPRIM_400000_NS6detail17trampoline_kernelINS0_14default_configENS1_25partition_config_selectorILNS1_17partition_subalgoE8EiNS0_10empty_typeEbEEZZNS1_14partition_implILS5_8ELb0ES3_jPKiPS6_PKS6_NS0_5tupleIJPiS6_EEENSE_IJSB_SB_EEENS0_18inequality_wrapperIN6hipcub16HIPCUB_304000_NS8EqualityEEEPlJS6_EEE10hipError_tPvRmT3_T4_T5_T6_T7_T9_mT8_P12ihipStream_tbDpT10_ENKUlT_T0_E_clISt17integral_constantIbLb1EES17_EEDaS12_S13_EUlS12_E_NS1_11comp_targetILNS1_3genE9ELNS1_11target_archE1100ELNS1_3gpuE3ELNS1_3repE0EEENS1_30default_config_static_selectorELNS0_4arch9wavefront6targetE1EEEvT1_,comdat
	.protected	_ZN7rocprim17ROCPRIM_400000_NS6detail17trampoline_kernelINS0_14default_configENS1_25partition_config_selectorILNS1_17partition_subalgoE8EiNS0_10empty_typeEbEEZZNS1_14partition_implILS5_8ELb0ES3_jPKiPS6_PKS6_NS0_5tupleIJPiS6_EEENSE_IJSB_SB_EEENS0_18inequality_wrapperIN6hipcub16HIPCUB_304000_NS8EqualityEEEPlJS6_EEE10hipError_tPvRmT3_T4_T5_T6_T7_T9_mT8_P12ihipStream_tbDpT10_ENKUlT_T0_E_clISt17integral_constantIbLb1EES17_EEDaS12_S13_EUlS12_E_NS1_11comp_targetILNS1_3genE9ELNS1_11target_archE1100ELNS1_3gpuE3ELNS1_3repE0EEENS1_30default_config_static_selectorELNS0_4arch9wavefront6targetE1EEEvT1_ ; -- Begin function _ZN7rocprim17ROCPRIM_400000_NS6detail17trampoline_kernelINS0_14default_configENS1_25partition_config_selectorILNS1_17partition_subalgoE8EiNS0_10empty_typeEbEEZZNS1_14partition_implILS5_8ELb0ES3_jPKiPS6_PKS6_NS0_5tupleIJPiS6_EEENSE_IJSB_SB_EEENS0_18inequality_wrapperIN6hipcub16HIPCUB_304000_NS8EqualityEEEPlJS6_EEE10hipError_tPvRmT3_T4_T5_T6_T7_T9_mT8_P12ihipStream_tbDpT10_ENKUlT_T0_E_clISt17integral_constantIbLb1EES17_EEDaS12_S13_EUlS12_E_NS1_11comp_targetILNS1_3genE9ELNS1_11target_archE1100ELNS1_3gpuE3ELNS1_3repE0EEENS1_30default_config_static_selectorELNS0_4arch9wavefront6targetE1EEEvT1_
	.globl	_ZN7rocprim17ROCPRIM_400000_NS6detail17trampoline_kernelINS0_14default_configENS1_25partition_config_selectorILNS1_17partition_subalgoE8EiNS0_10empty_typeEbEEZZNS1_14partition_implILS5_8ELb0ES3_jPKiPS6_PKS6_NS0_5tupleIJPiS6_EEENSE_IJSB_SB_EEENS0_18inequality_wrapperIN6hipcub16HIPCUB_304000_NS8EqualityEEEPlJS6_EEE10hipError_tPvRmT3_T4_T5_T6_T7_T9_mT8_P12ihipStream_tbDpT10_ENKUlT_T0_E_clISt17integral_constantIbLb1EES17_EEDaS12_S13_EUlS12_E_NS1_11comp_targetILNS1_3genE9ELNS1_11target_archE1100ELNS1_3gpuE3ELNS1_3repE0EEENS1_30default_config_static_selectorELNS0_4arch9wavefront6targetE1EEEvT1_
	.p2align	8
	.type	_ZN7rocprim17ROCPRIM_400000_NS6detail17trampoline_kernelINS0_14default_configENS1_25partition_config_selectorILNS1_17partition_subalgoE8EiNS0_10empty_typeEbEEZZNS1_14partition_implILS5_8ELb0ES3_jPKiPS6_PKS6_NS0_5tupleIJPiS6_EEENSE_IJSB_SB_EEENS0_18inequality_wrapperIN6hipcub16HIPCUB_304000_NS8EqualityEEEPlJS6_EEE10hipError_tPvRmT3_T4_T5_T6_T7_T9_mT8_P12ihipStream_tbDpT10_ENKUlT_T0_E_clISt17integral_constantIbLb1EES17_EEDaS12_S13_EUlS12_E_NS1_11comp_targetILNS1_3genE9ELNS1_11target_archE1100ELNS1_3gpuE3ELNS1_3repE0EEENS1_30default_config_static_selectorELNS0_4arch9wavefront6targetE1EEEvT1_,@function
_ZN7rocprim17ROCPRIM_400000_NS6detail17trampoline_kernelINS0_14default_configENS1_25partition_config_selectorILNS1_17partition_subalgoE8EiNS0_10empty_typeEbEEZZNS1_14partition_implILS5_8ELb0ES3_jPKiPS6_PKS6_NS0_5tupleIJPiS6_EEENSE_IJSB_SB_EEENS0_18inequality_wrapperIN6hipcub16HIPCUB_304000_NS8EqualityEEEPlJS6_EEE10hipError_tPvRmT3_T4_T5_T6_T7_T9_mT8_P12ihipStream_tbDpT10_ENKUlT_T0_E_clISt17integral_constantIbLb1EES17_EEDaS12_S13_EUlS12_E_NS1_11comp_targetILNS1_3genE9ELNS1_11target_archE1100ELNS1_3gpuE3ELNS1_3repE0EEENS1_30default_config_static_selectorELNS0_4arch9wavefront6targetE1EEEvT1_: ; @_ZN7rocprim17ROCPRIM_400000_NS6detail17trampoline_kernelINS0_14default_configENS1_25partition_config_selectorILNS1_17partition_subalgoE8EiNS0_10empty_typeEbEEZZNS1_14partition_implILS5_8ELb0ES3_jPKiPS6_PKS6_NS0_5tupleIJPiS6_EEENSE_IJSB_SB_EEENS0_18inequality_wrapperIN6hipcub16HIPCUB_304000_NS8EqualityEEEPlJS6_EEE10hipError_tPvRmT3_T4_T5_T6_T7_T9_mT8_P12ihipStream_tbDpT10_ENKUlT_T0_E_clISt17integral_constantIbLb1EES17_EEDaS12_S13_EUlS12_E_NS1_11comp_targetILNS1_3genE9ELNS1_11target_archE1100ELNS1_3gpuE3ELNS1_3repE0EEENS1_30default_config_static_selectorELNS0_4arch9wavefront6targetE1EEEvT1_
; %bb.0:
	.section	.rodata,"a",@progbits
	.p2align	6, 0x0
	.amdhsa_kernel _ZN7rocprim17ROCPRIM_400000_NS6detail17trampoline_kernelINS0_14default_configENS1_25partition_config_selectorILNS1_17partition_subalgoE8EiNS0_10empty_typeEbEEZZNS1_14partition_implILS5_8ELb0ES3_jPKiPS6_PKS6_NS0_5tupleIJPiS6_EEENSE_IJSB_SB_EEENS0_18inequality_wrapperIN6hipcub16HIPCUB_304000_NS8EqualityEEEPlJS6_EEE10hipError_tPvRmT3_T4_T5_T6_T7_T9_mT8_P12ihipStream_tbDpT10_ENKUlT_T0_E_clISt17integral_constantIbLb1EES17_EEDaS12_S13_EUlS12_E_NS1_11comp_targetILNS1_3genE9ELNS1_11target_archE1100ELNS1_3gpuE3ELNS1_3repE0EEENS1_30default_config_static_selectorELNS0_4arch9wavefront6targetE1EEEvT1_
		.amdhsa_group_segment_fixed_size 0
		.amdhsa_private_segment_fixed_size 0
		.amdhsa_kernarg_size 128
		.amdhsa_user_sgpr_count 2
		.amdhsa_user_sgpr_dispatch_ptr 0
		.amdhsa_user_sgpr_queue_ptr 0
		.amdhsa_user_sgpr_kernarg_segment_ptr 1
		.amdhsa_user_sgpr_dispatch_id 0
		.amdhsa_user_sgpr_kernarg_preload_length 0
		.amdhsa_user_sgpr_kernarg_preload_offset 0
		.amdhsa_user_sgpr_private_segment_size 0
		.amdhsa_uses_dynamic_stack 0
		.amdhsa_enable_private_segment 0
		.amdhsa_system_sgpr_workgroup_id_x 1
		.amdhsa_system_sgpr_workgroup_id_y 0
		.amdhsa_system_sgpr_workgroup_id_z 0
		.amdhsa_system_sgpr_workgroup_info 0
		.amdhsa_system_vgpr_workitem_id 0
		.amdhsa_next_free_vgpr 1
		.amdhsa_next_free_sgpr 0
		.amdhsa_accum_offset 4
		.amdhsa_reserve_vcc 0
		.amdhsa_float_round_mode_32 0
		.amdhsa_float_round_mode_16_64 0
		.amdhsa_float_denorm_mode_32 3
		.amdhsa_float_denorm_mode_16_64 3
		.amdhsa_dx10_clamp 1
		.amdhsa_ieee_mode 1
		.amdhsa_fp16_overflow 0
		.amdhsa_tg_split 0
		.amdhsa_exception_fp_ieee_invalid_op 0
		.amdhsa_exception_fp_denorm_src 0
		.amdhsa_exception_fp_ieee_div_zero 0
		.amdhsa_exception_fp_ieee_overflow 0
		.amdhsa_exception_fp_ieee_underflow 0
		.amdhsa_exception_fp_ieee_inexact 0
		.amdhsa_exception_int_div_zero 0
	.end_amdhsa_kernel
	.section	.text._ZN7rocprim17ROCPRIM_400000_NS6detail17trampoline_kernelINS0_14default_configENS1_25partition_config_selectorILNS1_17partition_subalgoE8EiNS0_10empty_typeEbEEZZNS1_14partition_implILS5_8ELb0ES3_jPKiPS6_PKS6_NS0_5tupleIJPiS6_EEENSE_IJSB_SB_EEENS0_18inequality_wrapperIN6hipcub16HIPCUB_304000_NS8EqualityEEEPlJS6_EEE10hipError_tPvRmT3_T4_T5_T6_T7_T9_mT8_P12ihipStream_tbDpT10_ENKUlT_T0_E_clISt17integral_constantIbLb1EES17_EEDaS12_S13_EUlS12_E_NS1_11comp_targetILNS1_3genE9ELNS1_11target_archE1100ELNS1_3gpuE3ELNS1_3repE0EEENS1_30default_config_static_selectorELNS0_4arch9wavefront6targetE1EEEvT1_,"axG",@progbits,_ZN7rocprim17ROCPRIM_400000_NS6detail17trampoline_kernelINS0_14default_configENS1_25partition_config_selectorILNS1_17partition_subalgoE8EiNS0_10empty_typeEbEEZZNS1_14partition_implILS5_8ELb0ES3_jPKiPS6_PKS6_NS0_5tupleIJPiS6_EEENSE_IJSB_SB_EEENS0_18inequality_wrapperIN6hipcub16HIPCUB_304000_NS8EqualityEEEPlJS6_EEE10hipError_tPvRmT3_T4_T5_T6_T7_T9_mT8_P12ihipStream_tbDpT10_ENKUlT_T0_E_clISt17integral_constantIbLb1EES17_EEDaS12_S13_EUlS12_E_NS1_11comp_targetILNS1_3genE9ELNS1_11target_archE1100ELNS1_3gpuE3ELNS1_3repE0EEENS1_30default_config_static_selectorELNS0_4arch9wavefront6targetE1EEEvT1_,comdat
.Lfunc_end201:
	.size	_ZN7rocprim17ROCPRIM_400000_NS6detail17trampoline_kernelINS0_14default_configENS1_25partition_config_selectorILNS1_17partition_subalgoE8EiNS0_10empty_typeEbEEZZNS1_14partition_implILS5_8ELb0ES3_jPKiPS6_PKS6_NS0_5tupleIJPiS6_EEENSE_IJSB_SB_EEENS0_18inequality_wrapperIN6hipcub16HIPCUB_304000_NS8EqualityEEEPlJS6_EEE10hipError_tPvRmT3_T4_T5_T6_T7_T9_mT8_P12ihipStream_tbDpT10_ENKUlT_T0_E_clISt17integral_constantIbLb1EES17_EEDaS12_S13_EUlS12_E_NS1_11comp_targetILNS1_3genE9ELNS1_11target_archE1100ELNS1_3gpuE3ELNS1_3repE0EEENS1_30default_config_static_selectorELNS0_4arch9wavefront6targetE1EEEvT1_, .Lfunc_end201-_ZN7rocprim17ROCPRIM_400000_NS6detail17trampoline_kernelINS0_14default_configENS1_25partition_config_selectorILNS1_17partition_subalgoE8EiNS0_10empty_typeEbEEZZNS1_14partition_implILS5_8ELb0ES3_jPKiPS6_PKS6_NS0_5tupleIJPiS6_EEENSE_IJSB_SB_EEENS0_18inequality_wrapperIN6hipcub16HIPCUB_304000_NS8EqualityEEEPlJS6_EEE10hipError_tPvRmT3_T4_T5_T6_T7_T9_mT8_P12ihipStream_tbDpT10_ENKUlT_T0_E_clISt17integral_constantIbLb1EES17_EEDaS12_S13_EUlS12_E_NS1_11comp_targetILNS1_3genE9ELNS1_11target_archE1100ELNS1_3gpuE3ELNS1_3repE0EEENS1_30default_config_static_selectorELNS0_4arch9wavefront6targetE1EEEvT1_
                                        ; -- End function
	.section	.AMDGPU.csdata,"",@progbits
; Kernel info:
; codeLenInByte = 0
; NumSgprs: 6
; NumVgprs: 0
; NumAgprs: 0
; TotalNumVgprs: 0
; ScratchSize: 0
; MemoryBound: 0
; FloatMode: 240
; IeeeMode: 1
; LDSByteSize: 0 bytes/workgroup (compile time only)
; SGPRBlocks: 0
; VGPRBlocks: 0
; NumSGPRsForWavesPerEU: 6
; NumVGPRsForWavesPerEU: 1
; AccumOffset: 4
; Occupancy: 8
; WaveLimiterHint : 0
; COMPUTE_PGM_RSRC2:SCRATCH_EN: 0
; COMPUTE_PGM_RSRC2:USER_SGPR: 2
; COMPUTE_PGM_RSRC2:TRAP_HANDLER: 0
; COMPUTE_PGM_RSRC2:TGID_X_EN: 1
; COMPUTE_PGM_RSRC2:TGID_Y_EN: 0
; COMPUTE_PGM_RSRC2:TGID_Z_EN: 0
; COMPUTE_PGM_RSRC2:TIDIG_COMP_CNT: 0
; COMPUTE_PGM_RSRC3_GFX90A:ACCUM_OFFSET: 0
; COMPUTE_PGM_RSRC3_GFX90A:TG_SPLIT: 0
	.section	.text._ZN7rocprim17ROCPRIM_400000_NS6detail17trampoline_kernelINS0_14default_configENS1_25partition_config_selectorILNS1_17partition_subalgoE8EiNS0_10empty_typeEbEEZZNS1_14partition_implILS5_8ELb0ES3_jPKiPS6_PKS6_NS0_5tupleIJPiS6_EEENSE_IJSB_SB_EEENS0_18inequality_wrapperIN6hipcub16HIPCUB_304000_NS8EqualityEEEPlJS6_EEE10hipError_tPvRmT3_T4_T5_T6_T7_T9_mT8_P12ihipStream_tbDpT10_ENKUlT_T0_E_clISt17integral_constantIbLb1EES17_EEDaS12_S13_EUlS12_E_NS1_11comp_targetILNS1_3genE8ELNS1_11target_archE1030ELNS1_3gpuE2ELNS1_3repE0EEENS1_30default_config_static_selectorELNS0_4arch9wavefront6targetE1EEEvT1_,"axG",@progbits,_ZN7rocprim17ROCPRIM_400000_NS6detail17trampoline_kernelINS0_14default_configENS1_25partition_config_selectorILNS1_17partition_subalgoE8EiNS0_10empty_typeEbEEZZNS1_14partition_implILS5_8ELb0ES3_jPKiPS6_PKS6_NS0_5tupleIJPiS6_EEENSE_IJSB_SB_EEENS0_18inequality_wrapperIN6hipcub16HIPCUB_304000_NS8EqualityEEEPlJS6_EEE10hipError_tPvRmT3_T4_T5_T6_T7_T9_mT8_P12ihipStream_tbDpT10_ENKUlT_T0_E_clISt17integral_constantIbLb1EES17_EEDaS12_S13_EUlS12_E_NS1_11comp_targetILNS1_3genE8ELNS1_11target_archE1030ELNS1_3gpuE2ELNS1_3repE0EEENS1_30default_config_static_selectorELNS0_4arch9wavefront6targetE1EEEvT1_,comdat
	.protected	_ZN7rocprim17ROCPRIM_400000_NS6detail17trampoline_kernelINS0_14default_configENS1_25partition_config_selectorILNS1_17partition_subalgoE8EiNS0_10empty_typeEbEEZZNS1_14partition_implILS5_8ELb0ES3_jPKiPS6_PKS6_NS0_5tupleIJPiS6_EEENSE_IJSB_SB_EEENS0_18inequality_wrapperIN6hipcub16HIPCUB_304000_NS8EqualityEEEPlJS6_EEE10hipError_tPvRmT3_T4_T5_T6_T7_T9_mT8_P12ihipStream_tbDpT10_ENKUlT_T0_E_clISt17integral_constantIbLb1EES17_EEDaS12_S13_EUlS12_E_NS1_11comp_targetILNS1_3genE8ELNS1_11target_archE1030ELNS1_3gpuE2ELNS1_3repE0EEENS1_30default_config_static_selectorELNS0_4arch9wavefront6targetE1EEEvT1_ ; -- Begin function _ZN7rocprim17ROCPRIM_400000_NS6detail17trampoline_kernelINS0_14default_configENS1_25partition_config_selectorILNS1_17partition_subalgoE8EiNS0_10empty_typeEbEEZZNS1_14partition_implILS5_8ELb0ES3_jPKiPS6_PKS6_NS0_5tupleIJPiS6_EEENSE_IJSB_SB_EEENS0_18inequality_wrapperIN6hipcub16HIPCUB_304000_NS8EqualityEEEPlJS6_EEE10hipError_tPvRmT3_T4_T5_T6_T7_T9_mT8_P12ihipStream_tbDpT10_ENKUlT_T0_E_clISt17integral_constantIbLb1EES17_EEDaS12_S13_EUlS12_E_NS1_11comp_targetILNS1_3genE8ELNS1_11target_archE1030ELNS1_3gpuE2ELNS1_3repE0EEENS1_30default_config_static_selectorELNS0_4arch9wavefront6targetE1EEEvT1_
	.globl	_ZN7rocprim17ROCPRIM_400000_NS6detail17trampoline_kernelINS0_14default_configENS1_25partition_config_selectorILNS1_17partition_subalgoE8EiNS0_10empty_typeEbEEZZNS1_14partition_implILS5_8ELb0ES3_jPKiPS6_PKS6_NS0_5tupleIJPiS6_EEENSE_IJSB_SB_EEENS0_18inequality_wrapperIN6hipcub16HIPCUB_304000_NS8EqualityEEEPlJS6_EEE10hipError_tPvRmT3_T4_T5_T6_T7_T9_mT8_P12ihipStream_tbDpT10_ENKUlT_T0_E_clISt17integral_constantIbLb1EES17_EEDaS12_S13_EUlS12_E_NS1_11comp_targetILNS1_3genE8ELNS1_11target_archE1030ELNS1_3gpuE2ELNS1_3repE0EEENS1_30default_config_static_selectorELNS0_4arch9wavefront6targetE1EEEvT1_
	.p2align	8
	.type	_ZN7rocprim17ROCPRIM_400000_NS6detail17trampoline_kernelINS0_14default_configENS1_25partition_config_selectorILNS1_17partition_subalgoE8EiNS0_10empty_typeEbEEZZNS1_14partition_implILS5_8ELb0ES3_jPKiPS6_PKS6_NS0_5tupleIJPiS6_EEENSE_IJSB_SB_EEENS0_18inequality_wrapperIN6hipcub16HIPCUB_304000_NS8EqualityEEEPlJS6_EEE10hipError_tPvRmT3_T4_T5_T6_T7_T9_mT8_P12ihipStream_tbDpT10_ENKUlT_T0_E_clISt17integral_constantIbLb1EES17_EEDaS12_S13_EUlS12_E_NS1_11comp_targetILNS1_3genE8ELNS1_11target_archE1030ELNS1_3gpuE2ELNS1_3repE0EEENS1_30default_config_static_selectorELNS0_4arch9wavefront6targetE1EEEvT1_,@function
_ZN7rocprim17ROCPRIM_400000_NS6detail17trampoline_kernelINS0_14default_configENS1_25partition_config_selectorILNS1_17partition_subalgoE8EiNS0_10empty_typeEbEEZZNS1_14partition_implILS5_8ELb0ES3_jPKiPS6_PKS6_NS0_5tupleIJPiS6_EEENSE_IJSB_SB_EEENS0_18inequality_wrapperIN6hipcub16HIPCUB_304000_NS8EqualityEEEPlJS6_EEE10hipError_tPvRmT3_T4_T5_T6_T7_T9_mT8_P12ihipStream_tbDpT10_ENKUlT_T0_E_clISt17integral_constantIbLb1EES17_EEDaS12_S13_EUlS12_E_NS1_11comp_targetILNS1_3genE8ELNS1_11target_archE1030ELNS1_3gpuE2ELNS1_3repE0EEENS1_30default_config_static_selectorELNS0_4arch9wavefront6targetE1EEEvT1_: ; @_ZN7rocprim17ROCPRIM_400000_NS6detail17trampoline_kernelINS0_14default_configENS1_25partition_config_selectorILNS1_17partition_subalgoE8EiNS0_10empty_typeEbEEZZNS1_14partition_implILS5_8ELb0ES3_jPKiPS6_PKS6_NS0_5tupleIJPiS6_EEENSE_IJSB_SB_EEENS0_18inequality_wrapperIN6hipcub16HIPCUB_304000_NS8EqualityEEEPlJS6_EEE10hipError_tPvRmT3_T4_T5_T6_T7_T9_mT8_P12ihipStream_tbDpT10_ENKUlT_T0_E_clISt17integral_constantIbLb1EES17_EEDaS12_S13_EUlS12_E_NS1_11comp_targetILNS1_3genE8ELNS1_11target_archE1030ELNS1_3gpuE2ELNS1_3repE0EEENS1_30default_config_static_selectorELNS0_4arch9wavefront6targetE1EEEvT1_
; %bb.0:
	.section	.rodata,"a",@progbits
	.p2align	6, 0x0
	.amdhsa_kernel _ZN7rocprim17ROCPRIM_400000_NS6detail17trampoline_kernelINS0_14default_configENS1_25partition_config_selectorILNS1_17partition_subalgoE8EiNS0_10empty_typeEbEEZZNS1_14partition_implILS5_8ELb0ES3_jPKiPS6_PKS6_NS0_5tupleIJPiS6_EEENSE_IJSB_SB_EEENS0_18inequality_wrapperIN6hipcub16HIPCUB_304000_NS8EqualityEEEPlJS6_EEE10hipError_tPvRmT3_T4_T5_T6_T7_T9_mT8_P12ihipStream_tbDpT10_ENKUlT_T0_E_clISt17integral_constantIbLb1EES17_EEDaS12_S13_EUlS12_E_NS1_11comp_targetILNS1_3genE8ELNS1_11target_archE1030ELNS1_3gpuE2ELNS1_3repE0EEENS1_30default_config_static_selectorELNS0_4arch9wavefront6targetE1EEEvT1_
		.amdhsa_group_segment_fixed_size 0
		.amdhsa_private_segment_fixed_size 0
		.amdhsa_kernarg_size 128
		.amdhsa_user_sgpr_count 2
		.amdhsa_user_sgpr_dispatch_ptr 0
		.amdhsa_user_sgpr_queue_ptr 0
		.amdhsa_user_sgpr_kernarg_segment_ptr 1
		.amdhsa_user_sgpr_dispatch_id 0
		.amdhsa_user_sgpr_kernarg_preload_length 0
		.amdhsa_user_sgpr_kernarg_preload_offset 0
		.amdhsa_user_sgpr_private_segment_size 0
		.amdhsa_uses_dynamic_stack 0
		.amdhsa_enable_private_segment 0
		.amdhsa_system_sgpr_workgroup_id_x 1
		.amdhsa_system_sgpr_workgroup_id_y 0
		.amdhsa_system_sgpr_workgroup_id_z 0
		.amdhsa_system_sgpr_workgroup_info 0
		.amdhsa_system_vgpr_workitem_id 0
		.amdhsa_next_free_vgpr 1
		.amdhsa_next_free_sgpr 0
		.amdhsa_accum_offset 4
		.amdhsa_reserve_vcc 0
		.amdhsa_float_round_mode_32 0
		.amdhsa_float_round_mode_16_64 0
		.amdhsa_float_denorm_mode_32 3
		.amdhsa_float_denorm_mode_16_64 3
		.amdhsa_dx10_clamp 1
		.amdhsa_ieee_mode 1
		.amdhsa_fp16_overflow 0
		.amdhsa_tg_split 0
		.amdhsa_exception_fp_ieee_invalid_op 0
		.amdhsa_exception_fp_denorm_src 0
		.amdhsa_exception_fp_ieee_div_zero 0
		.amdhsa_exception_fp_ieee_overflow 0
		.amdhsa_exception_fp_ieee_underflow 0
		.amdhsa_exception_fp_ieee_inexact 0
		.amdhsa_exception_int_div_zero 0
	.end_amdhsa_kernel
	.section	.text._ZN7rocprim17ROCPRIM_400000_NS6detail17trampoline_kernelINS0_14default_configENS1_25partition_config_selectorILNS1_17partition_subalgoE8EiNS0_10empty_typeEbEEZZNS1_14partition_implILS5_8ELb0ES3_jPKiPS6_PKS6_NS0_5tupleIJPiS6_EEENSE_IJSB_SB_EEENS0_18inequality_wrapperIN6hipcub16HIPCUB_304000_NS8EqualityEEEPlJS6_EEE10hipError_tPvRmT3_T4_T5_T6_T7_T9_mT8_P12ihipStream_tbDpT10_ENKUlT_T0_E_clISt17integral_constantIbLb1EES17_EEDaS12_S13_EUlS12_E_NS1_11comp_targetILNS1_3genE8ELNS1_11target_archE1030ELNS1_3gpuE2ELNS1_3repE0EEENS1_30default_config_static_selectorELNS0_4arch9wavefront6targetE1EEEvT1_,"axG",@progbits,_ZN7rocprim17ROCPRIM_400000_NS6detail17trampoline_kernelINS0_14default_configENS1_25partition_config_selectorILNS1_17partition_subalgoE8EiNS0_10empty_typeEbEEZZNS1_14partition_implILS5_8ELb0ES3_jPKiPS6_PKS6_NS0_5tupleIJPiS6_EEENSE_IJSB_SB_EEENS0_18inequality_wrapperIN6hipcub16HIPCUB_304000_NS8EqualityEEEPlJS6_EEE10hipError_tPvRmT3_T4_T5_T6_T7_T9_mT8_P12ihipStream_tbDpT10_ENKUlT_T0_E_clISt17integral_constantIbLb1EES17_EEDaS12_S13_EUlS12_E_NS1_11comp_targetILNS1_3genE8ELNS1_11target_archE1030ELNS1_3gpuE2ELNS1_3repE0EEENS1_30default_config_static_selectorELNS0_4arch9wavefront6targetE1EEEvT1_,comdat
.Lfunc_end202:
	.size	_ZN7rocprim17ROCPRIM_400000_NS6detail17trampoline_kernelINS0_14default_configENS1_25partition_config_selectorILNS1_17partition_subalgoE8EiNS0_10empty_typeEbEEZZNS1_14partition_implILS5_8ELb0ES3_jPKiPS6_PKS6_NS0_5tupleIJPiS6_EEENSE_IJSB_SB_EEENS0_18inequality_wrapperIN6hipcub16HIPCUB_304000_NS8EqualityEEEPlJS6_EEE10hipError_tPvRmT3_T4_T5_T6_T7_T9_mT8_P12ihipStream_tbDpT10_ENKUlT_T0_E_clISt17integral_constantIbLb1EES17_EEDaS12_S13_EUlS12_E_NS1_11comp_targetILNS1_3genE8ELNS1_11target_archE1030ELNS1_3gpuE2ELNS1_3repE0EEENS1_30default_config_static_selectorELNS0_4arch9wavefront6targetE1EEEvT1_, .Lfunc_end202-_ZN7rocprim17ROCPRIM_400000_NS6detail17trampoline_kernelINS0_14default_configENS1_25partition_config_selectorILNS1_17partition_subalgoE8EiNS0_10empty_typeEbEEZZNS1_14partition_implILS5_8ELb0ES3_jPKiPS6_PKS6_NS0_5tupleIJPiS6_EEENSE_IJSB_SB_EEENS0_18inequality_wrapperIN6hipcub16HIPCUB_304000_NS8EqualityEEEPlJS6_EEE10hipError_tPvRmT3_T4_T5_T6_T7_T9_mT8_P12ihipStream_tbDpT10_ENKUlT_T0_E_clISt17integral_constantIbLb1EES17_EEDaS12_S13_EUlS12_E_NS1_11comp_targetILNS1_3genE8ELNS1_11target_archE1030ELNS1_3gpuE2ELNS1_3repE0EEENS1_30default_config_static_selectorELNS0_4arch9wavefront6targetE1EEEvT1_
                                        ; -- End function
	.section	.AMDGPU.csdata,"",@progbits
; Kernel info:
; codeLenInByte = 0
; NumSgprs: 6
; NumVgprs: 0
; NumAgprs: 0
; TotalNumVgprs: 0
; ScratchSize: 0
; MemoryBound: 0
; FloatMode: 240
; IeeeMode: 1
; LDSByteSize: 0 bytes/workgroup (compile time only)
; SGPRBlocks: 0
; VGPRBlocks: 0
; NumSGPRsForWavesPerEU: 6
; NumVGPRsForWavesPerEU: 1
; AccumOffset: 4
; Occupancy: 8
; WaveLimiterHint : 0
; COMPUTE_PGM_RSRC2:SCRATCH_EN: 0
; COMPUTE_PGM_RSRC2:USER_SGPR: 2
; COMPUTE_PGM_RSRC2:TRAP_HANDLER: 0
; COMPUTE_PGM_RSRC2:TGID_X_EN: 1
; COMPUTE_PGM_RSRC2:TGID_Y_EN: 0
; COMPUTE_PGM_RSRC2:TGID_Z_EN: 0
; COMPUTE_PGM_RSRC2:TIDIG_COMP_CNT: 0
; COMPUTE_PGM_RSRC3_GFX90A:ACCUM_OFFSET: 0
; COMPUTE_PGM_RSRC3_GFX90A:TG_SPLIT: 0
	.section	.text._ZN7rocprim17ROCPRIM_400000_NS6detail31init_lookback_scan_state_kernelINS1_19lookback_scan_stateIjLb1ELb1EEENS1_16block_id_wrapperIjLb0EEEEEvT_jT0_jPNS7_10value_typeE,"axG",@progbits,_ZN7rocprim17ROCPRIM_400000_NS6detail31init_lookback_scan_state_kernelINS1_19lookback_scan_stateIjLb1ELb1EEENS1_16block_id_wrapperIjLb0EEEEEvT_jT0_jPNS7_10value_typeE,comdat
	.protected	_ZN7rocprim17ROCPRIM_400000_NS6detail31init_lookback_scan_state_kernelINS1_19lookback_scan_stateIjLb1ELb1EEENS1_16block_id_wrapperIjLb0EEEEEvT_jT0_jPNS7_10value_typeE ; -- Begin function _ZN7rocprim17ROCPRIM_400000_NS6detail31init_lookback_scan_state_kernelINS1_19lookback_scan_stateIjLb1ELb1EEENS1_16block_id_wrapperIjLb0EEEEEvT_jT0_jPNS7_10value_typeE
	.globl	_ZN7rocprim17ROCPRIM_400000_NS6detail31init_lookback_scan_state_kernelINS1_19lookback_scan_stateIjLb1ELb1EEENS1_16block_id_wrapperIjLb0EEEEEvT_jT0_jPNS7_10value_typeE
	.p2align	8
	.type	_ZN7rocprim17ROCPRIM_400000_NS6detail31init_lookback_scan_state_kernelINS1_19lookback_scan_stateIjLb1ELb1EEENS1_16block_id_wrapperIjLb0EEEEEvT_jT0_jPNS7_10value_typeE,@function
_ZN7rocprim17ROCPRIM_400000_NS6detail31init_lookback_scan_state_kernelINS1_19lookback_scan_stateIjLb1ELb1EEENS1_16block_id_wrapperIjLb0EEEEEvT_jT0_jPNS7_10value_typeE: ; @_ZN7rocprim17ROCPRIM_400000_NS6detail31init_lookback_scan_state_kernelINS1_19lookback_scan_stateIjLb1ELb1EEENS1_16block_id_wrapperIjLb0EEEEEvT_jT0_jPNS7_10value_typeE
; %bb.0:
	s_load_dword s3, s[0:1], 0x2c
	s_load_dwordx2 s[6:7], s[0:1], 0x18
	s_load_dwordx2 s[4:5], s[0:1], 0x0
	s_load_dword s8, s[0:1], 0x8
	s_waitcnt lgkmcnt(0)
	s_and_b32 s3, s3, 0xffff
	s_mul_i32 s2, s2, s3
	s_cmp_eq_u64 s[6:7], 0
	v_add_u32_e32 v0, s2, v0
	s_cbranch_scc1 .LBB203_9
; %bb.1:
	s_load_dword s2, s[0:1], 0x10
	s_mov_b32 s3, 0
	s_waitcnt lgkmcnt(0)
	s_cmp_lt_u32 s2, s8
	s_cselect_b32 s0, s2, 0
	v_cmp_eq_u32_e32 vcc, s0, v0
	s_and_saveexec_b64 s[0:1], vcc
	s_cbranch_execz .LBB203_8
; %bb.2:
	s_add_i32 s2, s2, 64
	s_lshl_b64 s[2:3], s[2:3], 3
	s_add_u32 s2, s4, s2
	s_addc_u32 s3, s5, s3
	v_mov_b32_e32 v2, 0
	global_load_dwordx2 v[4:5], v2, s[2:3] sc1
	s_waitcnt vmcnt(0)
	v_and_b32_e32 v3, 0xff, v5
	v_cmp_ne_u64_e32 vcc, 0, v[2:3]
	s_cbranch_vccnz .LBB203_7
; %bb.3:
	s_mov_b32 s9, 1
.LBB203_4:                              ; =>This Loop Header: Depth=1
                                        ;     Child Loop BB203_5 Depth 2
	s_max_u32 s10, s9, 1
.LBB203_5:                              ;   Parent Loop BB203_4 Depth=1
                                        ; =>  This Inner Loop Header: Depth=2
	s_add_i32 s10, s10, -1
	s_cmp_eq_u32 s10, 0
	s_sleep 1
	s_cbranch_scc0 .LBB203_5
; %bb.6:                                ;   in Loop: Header=BB203_4 Depth=1
	global_load_dwordx2 v[4:5], v2, s[2:3] sc1
	s_cmp_lt_u32 s9, 32
	s_cselect_b64 s[10:11], -1, 0
	s_cmp_lg_u64 s[10:11], 0
	s_addc_u32 s9, s9, 0
	s_waitcnt vmcnt(0)
	v_and_b32_e32 v3, 0xff, v5
	v_cmp_ne_u64_e32 vcc, 0, v[2:3]
	s_cbranch_vccz .LBB203_4
.LBB203_7:
	v_mov_b32_e32 v1, 0
	global_store_dword v1, v4, s[6:7]
.LBB203_8:
	s_or_b64 exec, exec, s[0:1]
.LBB203_9:
	v_cmp_gt_u32_e32 vcc, s8, v0
	s_and_saveexec_b64 s[0:1], vcc
	s_cbranch_execnz .LBB203_12
; %bb.10:
	s_or_b64 exec, exec, s[0:1]
	v_cmp_gt_u32_e32 vcc, 64, v0
	s_and_saveexec_b64 s[0:1], vcc
	s_cbranch_execnz .LBB203_13
.LBB203_11:
	s_endpgm
.LBB203_12:
	v_add_u32_e32 v2, 64, v0
	v_mov_b32_e32 v3, 0
	v_lshl_add_u64 v[4:5], v[2:3], 3, s[4:5]
	v_mov_b32_e32 v2, v3
	global_store_dwordx2 v[4:5], v[2:3], off
	s_or_b64 exec, exec, s[0:1]
	v_cmp_gt_u32_e32 vcc, 64, v0
	s_and_saveexec_b64 s[0:1], vcc
	s_cbranch_execz .LBB203_11
.LBB203_13:
	v_mov_b32_e32 v1, 0
	v_lshl_add_u64 v[2:3], v[0:1], 3, s[4:5]
	v_mov_b32_e32 v5, 0xff
	v_mov_b32_e32 v4, v1
	global_store_dwordx2 v[2:3], v[4:5], off
	s_endpgm
	.section	.rodata,"a",@progbits
	.p2align	6, 0x0
	.amdhsa_kernel _ZN7rocprim17ROCPRIM_400000_NS6detail31init_lookback_scan_state_kernelINS1_19lookback_scan_stateIjLb1ELb1EEENS1_16block_id_wrapperIjLb0EEEEEvT_jT0_jPNS7_10value_typeE
		.amdhsa_group_segment_fixed_size 0
		.amdhsa_private_segment_fixed_size 0
		.amdhsa_kernarg_size 288
		.amdhsa_user_sgpr_count 2
		.amdhsa_user_sgpr_dispatch_ptr 0
		.amdhsa_user_sgpr_queue_ptr 0
		.amdhsa_user_sgpr_kernarg_segment_ptr 1
		.amdhsa_user_sgpr_dispatch_id 0
		.amdhsa_user_sgpr_kernarg_preload_length 0
		.amdhsa_user_sgpr_kernarg_preload_offset 0
		.amdhsa_user_sgpr_private_segment_size 0
		.amdhsa_uses_dynamic_stack 0
		.amdhsa_enable_private_segment 0
		.amdhsa_system_sgpr_workgroup_id_x 1
		.amdhsa_system_sgpr_workgroup_id_y 0
		.amdhsa_system_sgpr_workgroup_id_z 0
		.amdhsa_system_sgpr_workgroup_info 0
		.amdhsa_system_vgpr_workitem_id 0
		.amdhsa_next_free_vgpr 6
		.amdhsa_next_free_sgpr 12
		.amdhsa_accum_offset 8
		.amdhsa_reserve_vcc 1
		.amdhsa_float_round_mode_32 0
		.amdhsa_float_round_mode_16_64 0
		.amdhsa_float_denorm_mode_32 3
		.amdhsa_float_denorm_mode_16_64 3
		.amdhsa_dx10_clamp 1
		.amdhsa_ieee_mode 1
		.amdhsa_fp16_overflow 0
		.amdhsa_tg_split 0
		.amdhsa_exception_fp_ieee_invalid_op 0
		.amdhsa_exception_fp_denorm_src 0
		.amdhsa_exception_fp_ieee_div_zero 0
		.amdhsa_exception_fp_ieee_overflow 0
		.amdhsa_exception_fp_ieee_underflow 0
		.amdhsa_exception_fp_ieee_inexact 0
		.amdhsa_exception_int_div_zero 0
	.end_amdhsa_kernel
	.section	.text._ZN7rocprim17ROCPRIM_400000_NS6detail31init_lookback_scan_state_kernelINS1_19lookback_scan_stateIjLb1ELb1EEENS1_16block_id_wrapperIjLb0EEEEEvT_jT0_jPNS7_10value_typeE,"axG",@progbits,_ZN7rocprim17ROCPRIM_400000_NS6detail31init_lookback_scan_state_kernelINS1_19lookback_scan_stateIjLb1ELb1EEENS1_16block_id_wrapperIjLb0EEEEEvT_jT0_jPNS7_10value_typeE,comdat
.Lfunc_end203:
	.size	_ZN7rocprim17ROCPRIM_400000_NS6detail31init_lookback_scan_state_kernelINS1_19lookback_scan_stateIjLb1ELb1EEENS1_16block_id_wrapperIjLb0EEEEEvT_jT0_jPNS7_10value_typeE, .Lfunc_end203-_ZN7rocprim17ROCPRIM_400000_NS6detail31init_lookback_scan_state_kernelINS1_19lookback_scan_stateIjLb1ELb1EEENS1_16block_id_wrapperIjLb0EEEEEvT_jT0_jPNS7_10value_typeE
                                        ; -- End function
	.section	.AMDGPU.csdata,"",@progbits
; Kernel info:
; codeLenInByte = 340
; NumSgprs: 18
; NumVgprs: 6
; NumAgprs: 0
; TotalNumVgprs: 6
; ScratchSize: 0
; MemoryBound: 0
; FloatMode: 240
; IeeeMode: 1
; LDSByteSize: 0 bytes/workgroup (compile time only)
; SGPRBlocks: 2
; VGPRBlocks: 0
; NumSGPRsForWavesPerEU: 18
; NumVGPRsForWavesPerEU: 6
; AccumOffset: 8
; Occupancy: 8
; WaveLimiterHint : 0
; COMPUTE_PGM_RSRC2:SCRATCH_EN: 0
; COMPUTE_PGM_RSRC2:USER_SGPR: 2
; COMPUTE_PGM_RSRC2:TRAP_HANDLER: 0
; COMPUTE_PGM_RSRC2:TGID_X_EN: 1
; COMPUTE_PGM_RSRC2:TGID_Y_EN: 0
; COMPUTE_PGM_RSRC2:TGID_Z_EN: 0
; COMPUTE_PGM_RSRC2:TIDIG_COMP_CNT: 0
; COMPUTE_PGM_RSRC3_GFX90A:ACCUM_OFFSET: 1
; COMPUTE_PGM_RSRC3_GFX90A:TG_SPLIT: 0
	.section	.text._ZN7rocprim17ROCPRIM_400000_NS6detail17trampoline_kernelINS0_14default_configENS1_25partition_config_selectorILNS1_17partition_subalgoE8EiNS0_10empty_typeEbEEZZNS1_14partition_implILS5_8ELb0ES3_jPKiPS6_PKS6_NS0_5tupleIJPiS6_EEENSE_IJSB_SB_EEENS0_18inequality_wrapperIN6hipcub16HIPCUB_304000_NS8EqualityEEEPlJS6_EEE10hipError_tPvRmT3_T4_T5_T6_T7_T9_mT8_P12ihipStream_tbDpT10_ENKUlT_T0_E_clISt17integral_constantIbLb1EES16_IbLb0EEEEDaS12_S13_EUlS12_E_NS1_11comp_targetILNS1_3genE0ELNS1_11target_archE4294967295ELNS1_3gpuE0ELNS1_3repE0EEENS1_30default_config_static_selectorELNS0_4arch9wavefront6targetE1EEEvT1_,"axG",@progbits,_ZN7rocprim17ROCPRIM_400000_NS6detail17trampoline_kernelINS0_14default_configENS1_25partition_config_selectorILNS1_17partition_subalgoE8EiNS0_10empty_typeEbEEZZNS1_14partition_implILS5_8ELb0ES3_jPKiPS6_PKS6_NS0_5tupleIJPiS6_EEENSE_IJSB_SB_EEENS0_18inequality_wrapperIN6hipcub16HIPCUB_304000_NS8EqualityEEEPlJS6_EEE10hipError_tPvRmT3_T4_T5_T6_T7_T9_mT8_P12ihipStream_tbDpT10_ENKUlT_T0_E_clISt17integral_constantIbLb1EES16_IbLb0EEEEDaS12_S13_EUlS12_E_NS1_11comp_targetILNS1_3genE0ELNS1_11target_archE4294967295ELNS1_3gpuE0ELNS1_3repE0EEENS1_30default_config_static_selectorELNS0_4arch9wavefront6targetE1EEEvT1_,comdat
	.protected	_ZN7rocprim17ROCPRIM_400000_NS6detail17trampoline_kernelINS0_14default_configENS1_25partition_config_selectorILNS1_17partition_subalgoE8EiNS0_10empty_typeEbEEZZNS1_14partition_implILS5_8ELb0ES3_jPKiPS6_PKS6_NS0_5tupleIJPiS6_EEENSE_IJSB_SB_EEENS0_18inequality_wrapperIN6hipcub16HIPCUB_304000_NS8EqualityEEEPlJS6_EEE10hipError_tPvRmT3_T4_T5_T6_T7_T9_mT8_P12ihipStream_tbDpT10_ENKUlT_T0_E_clISt17integral_constantIbLb1EES16_IbLb0EEEEDaS12_S13_EUlS12_E_NS1_11comp_targetILNS1_3genE0ELNS1_11target_archE4294967295ELNS1_3gpuE0ELNS1_3repE0EEENS1_30default_config_static_selectorELNS0_4arch9wavefront6targetE1EEEvT1_ ; -- Begin function _ZN7rocprim17ROCPRIM_400000_NS6detail17trampoline_kernelINS0_14default_configENS1_25partition_config_selectorILNS1_17partition_subalgoE8EiNS0_10empty_typeEbEEZZNS1_14partition_implILS5_8ELb0ES3_jPKiPS6_PKS6_NS0_5tupleIJPiS6_EEENSE_IJSB_SB_EEENS0_18inequality_wrapperIN6hipcub16HIPCUB_304000_NS8EqualityEEEPlJS6_EEE10hipError_tPvRmT3_T4_T5_T6_T7_T9_mT8_P12ihipStream_tbDpT10_ENKUlT_T0_E_clISt17integral_constantIbLb1EES16_IbLb0EEEEDaS12_S13_EUlS12_E_NS1_11comp_targetILNS1_3genE0ELNS1_11target_archE4294967295ELNS1_3gpuE0ELNS1_3repE0EEENS1_30default_config_static_selectorELNS0_4arch9wavefront6targetE1EEEvT1_
	.globl	_ZN7rocprim17ROCPRIM_400000_NS6detail17trampoline_kernelINS0_14default_configENS1_25partition_config_selectorILNS1_17partition_subalgoE8EiNS0_10empty_typeEbEEZZNS1_14partition_implILS5_8ELb0ES3_jPKiPS6_PKS6_NS0_5tupleIJPiS6_EEENSE_IJSB_SB_EEENS0_18inequality_wrapperIN6hipcub16HIPCUB_304000_NS8EqualityEEEPlJS6_EEE10hipError_tPvRmT3_T4_T5_T6_T7_T9_mT8_P12ihipStream_tbDpT10_ENKUlT_T0_E_clISt17integral_constantIbLb1EES16_IbLb0EEEEDaS12_S13_EUlS12_E_NS1_11comp_targetILNS1_3genE0ELNS1_11target_archE4294967295ELNS1_3gpuE0ELNS1_3repE0EEENS1_30default_config_static_selectorELNS0_4arch9wavefront6targetE1EEEvT1_
	.p2align	8
	.type	_ZN7rocprim17ROCPRIM_400000_NS6detail17trampoline_kernelINS0_14default_configENS1_25partition_config_selectorILNS1_17partition_subalgoE8EiNS0_10empty_typeEbEEZZNS1_14partition_implILS5_8ELb0ES3_jPKiPS6_PKS6_NS0_5tupleIJPiS6_EEENSE_IJSB_SB_EEENS0_18inequality_wrapperIN6hipcub16HIPCUB_304000_NS8EqualityEEEPlJS6_EEE10hipError_tPvRmT3_T4_T5_T6_T7_T9_mT8_P12ihipStream_tbDpT10_ENKUlT_T0_E_clISt17integral_constantIbLb1EES16_IbLb0EEEEDaS12_S13_EUlS12_E_NS1_11comp_targetILNS1_3genE0ELNS1_11target_archE4294967295ELNS1_3gpuE0ELNS1_3repE0EEENS1_30default_config_static_selectorELNS0_4arch9wavefront6targetE1EEEvT1_,@function
_ZN7rocprim17ROCPRIM_400000_NS6detail17trampoline_kernelINS0_14default_configENS1_25partition_config_selectorILNS1_17partition_subalgoE8EiNS0_10empty_typeEbEEZZNS1_14partition_implILS5_8ELb0ES3_jPKiPS6_PKS6_NS0_5tupleIJPiS6_EEENSE_IJSB_SB_EEENS0_18inequality_wrapperIN6hipcub16HIPCUB_304000_NS8EqualityEEEPlJS6_EEE10hipError_tPvRmT3_T4_T5_T6_T7_T9_mT8_P12ihipStream_tbDpT10_ENKUlT_T0_E_clISt17integral_constantIbLb1EES16_IbLb0EEEEDaS12_S13_EUlS12_E_NS1_11comp_targetILNS1_3genE0ELNS1_11target_archE4294967295ELNS1_3gpuE0ELNS1_3repE0EEENS1_30default_config_static_selectorELNS0_4arch9wavefront6targetE1EEEvT1_: ; @_ZN7rocprim17ROCPRIM_400000_NS6detail17trampoline_kernelINS0_14default_configENS1_25partition_config_selectorILNS1_17partition_subalgoE8EiNS0_10empty_typeEbEEZZNS1_14partition_implILS5_8ELb0ES3_jPKiPS6_PKS6_NS0_5tupleIJPiS6_EEENSE_IJSB_SB_EEENS0_18inequality_wrapperIN6hipcub16HIPCUB_304000_NS8EqualityEEEPlJS6_EEE10hipError_tPvRmT3_T4_T5_T6_T7_T9_mT8_P12ihipStream_tbDpT10_ENKUlT_T0_E_clISt17integral_constantIbLb1EES16_IbLb0EEEEDaS12_S13_EUlS12_E_NS1_11comp_targetILNS1_3genE0ELNS1_11target_archE4294967295ELNS1_3gpuE0ELNS1_3repE0EEENS1_30default_config_static_selectorELNS0_4arch9wavefront6targetE1EEEvT1_
; %bb.0:
	.section	.rodata,"a",@progbits
	.p2align	6, 0x0
	.amdhsa_kernel _ZN7rocprim17ROCPRIM_400000_NS6detail17trampoline_kernelINS0_14default_configENS1_25partition_config_selectorILNS1_17partition_subalgoE8EiNS0_10empty_typeEbEEZZNS1_14partition_implILS5_8ELb0ES3_jPKiPS6_PKS6_NS0_5tupleIJPiS6_EEENSE_IJSB_SB_EEENS0_18inequality_wrapperIN6hipcub16HIPCUB_304000_NS8EqualityEEEPlJS6_EEE10hipError_tPvRmT3_T4_T5_T6_T7_T9_mT8_P12ihipStream_tbDpT10_ENKUlT_T0_E_clISt17integral_constantIbLb1EES16_IbLb0EEEEDaS12_S13_EUlS12_E_NS1_11comp_targetILNS1_3genE0ELNS1_11target_archE4294967295ELNS1_3gpuE0ELNS1_3repE0EEENS1_30default_config_static_selectorELNS0_4arch9wavefront6targetE1EEEvT1_
		.amdhsa_group_segment_fixed_size 0
		.amdhsa_private_segment_fixed_size 0
		.amdhsa_kernarg_size 112
		.amdhsa_user_sgpr_count 2
		.amdhsa_user_sgpr_dispatch_ptr 0
		.amdhsa_user_sgpr_queue_ptr 0
		.amdhsa_user_sgpr_kernarg_segment_ptr 1
		.amdhsa_user_sgpr_dispatch_id 0
		.amdhsa_user_sgpr_kernarg_preload_length 0
		.amdhsa_user_sgpr_kernarg_preload_offset 0
		.amdhsa_user_sgpr_private_segment_size 0
		.amdhsa_uses_dynamic_stack 0
		.amdhsa_enable_private_segment 0
		.amdhsa_system_sgpr_workgroup_id_x 1
		.amdhsa_system_sgpr_workgroup_id_y 0
		.amdhsa_system_sgpr_workgroup_id_z 0
		.amdhsa_system_sgpr_workgroup_info 0
		.amdhsa_system_vgpr_workitem_id 0
		.amdhsa_next_free_vgpr 1
		.amdhsa_next_free_sgpr 0
		.amdhsa_accum_offset 4
		.amdhsa_reserve_vcc 0
		.amdhsa_float_round_mode_32 0
		.amdhsa_float_round_mode_16_64 0
		.amdhsa_float_denorm_mode_32 3
		.amdhsa_float_denorm_mode_16_64 3
		.amdhsa_dx10_clamp 1
		.amdhsa_ieee_mode 1
		.amdhsa_fp16_overflow 0
		.amdhsa_tg_split 0
		.amdhsa_exception_fp_ieee_invalid_op 0
		.amdhsa_exception_fp_denorm_src 0
		.amdhsa_exception_fp_ieee_div_zero 0
		.amdhsa_exception_fp_ieee_overflow 0
		.amdhsa_exception_fp_ieee_underflow 0
		.amdhsa_exception_fp_ieee_inexact 0
		.amdhsa_exception_int_div_zero 0
	.end_amdhsa_kernel
	.section	.text._ZN7rocprim17ROCPRIM_400000_NS6detail17trampoline_kernelINS0_14default_configENS1_25partition_config_selectorILNS1_17partition_subalgoE8EiNS0_10empty_typeEbEEZZNS1_14partition_implILS5_8ELb0ES3_jPKiPS6_PKS6_NS0_5tupleIJPiS6_EEENSE_IJSB_SB_EEENS0_18inequality_wrapperIN6hipcub16HIPCUB_304000_NS8EqualityEEEPlJS6_EEE10hipError_tPvRmT3_T4_T5_T6_T7_T9_mT8_P12ihipStream_tbDpT10_ENKUlT_T0_E_clISt17integral_constantIbLb1EES16_IbLb0EEEEDaS12_S13_EUlS12_E_NS1_11comp_targetILNS1_3genE0ELNS1_11target_archE4294967295ELNS1_3gpuE0ELNS1_3repE0EEENS1_30default_config_static_selectorELNS0_4arch9wavefront6targetE1EEEvT1_,"axG",@progbits,_ZN7rocprim17ROCPRIM_400000_NS6detail17trampoline_kernelINS0_14default_configENS1_25partition_config_selectorILNS1_17partition_subalgoE8EiNS0_10empty_typeEbEEZZNS1_14partition_implILS5_8ELb0ES3_jPKiPS6_PKS6_NS0_5tupleIJPiS6_EEENSE_IJSB_SB_EEENS0_18inequality_wrapperIN6hipcub16HIPCUB_304000_NS8EqualityEEEPlJS6_EEE10hipError_tPvRmT3_T4_T5_T6_T7_T9_mT8_P12ihipStream_tbDpT10_ENKUlT_T0_E_clISt17integral_constantIbLb1EES16_IbLb0EEEEDaS12_S13_EUlS12_E_NS1_11comp_targetILNS1_3genE0ELNS1_11target_archE4294967295ELNS1_3gpuE0ELNS1_3repE0EEENS1_30default_config_static_selectorELNS0_4arch9wavefront6targetE1EEEvT1_,comdat
.Lfunc_end204:
	.size	_ZN7rocprim17ROCPRIM_400000_NS6detail17trampoline_kernelINS0_14default_configENS1_25partition_config_selectorILNS1_17partition_subalgoE8EiNS0_10empty_typeEbEEZZNS1_14partition_implILS5_8ELb0ES3_jPKiPS6_PKS6_NS0_5tupleIJPiS6_EEENSE_IJSB_SB_EEENS0_18inequality_wrapperIN6hipcub16HIPCUB_304000_NS8EqualityEEEPlJS6_EEE10hipError_tPvRmT3_T4_T5_T6_T7_T9_mT8_P12ihipStream_tbDpT10_ENKUlT_T0_E_clISt17integral_constantIbLb1EES16_IbLb0EEEEDaS12_S13_EUlS12_E_NS1_11comp_targetILNS1_3genE0ELNS1_11target_archE4294967295ELNS1_3gpuE0ELNS1_3repE0EEENS1_30default_config_static_selectorELNS0_4arch9wavefront6targetE1EEEvT1_, .Lfunc_end204-_ZN7rocprim17ROCPRIM_400000_NS6detail17trampoline_kernelINS0_14default_configENS1_25partition_config_selectorILNS1_17partition_subalgoE8EiNS0_10empty_typeEbEEZZNS1_14partition_implILS5_8ELb0ES3_jPKiPS6_PKS6_NS0_5tupleIJPiS6_EEENSE_IJSB_SB_EEENS0_18inequality_wrapperIN6hipcub16HIPCUB_304000_NS8EqualityEEEPlJS6_EEE10hipError_tPvRmT3_T4_T5_T6_T7_T9_mT8_P12ihipStream_tbDpT10_ENKUlT_T0_E_clISt17integral_constantIbLb1EES16_IbLb0EEEEDaS12_S13_EUlS12_E_NS1_11comp_targetILNS1_3genE0ELNS1_11target_archE4294967295ELNS1_3gpuE0ELNS1_3repE0EEENS1_30default_config_static_selectorELNS0_4arch9wavefront6targetE1EEEvT1_
                                        ; -- End function
	.section	.AMDGPU.csdata,"",@progbits
; Kernel info:
; codeLenInByte = 0
; NumSgprs: 6
; NumVgprs: 0
; NumAgprs: 0
; TotalNumVgprs: 0
; ScratchSize: 0
; MemoryBound: 0
; FloatMode: 240
; IeeeMode: 1
; LDSByteSize: 0 bytes/workgroup (compile time only)
; SGPRBlocks: 0
; VGPRBlocks: 0
; NumSGPRsForWavesPerEU: 6
; NumVGPRsForWavesPerEU: 1
; AccumOffset: 4
; Occupancy: 8
; WaveLimiterHint : 0
; COMPUTE_PGM_RSRC2:SCRATCH_EN: 0
; COMPUTE_PGM_RSRC2:USER_SGPR: 2
; COMPUTE_PGM_RSRC2:TRAP_HANDLER: 0
; COMPUTE_PGM_RSRC2:TGID_X_EN: 1
; COMPUTE_PGM_RSRC2:TGID_Y_EN: 0
; COMPUTE_PGM_RSRC2:TGID_Z_EN: 0
; COMPUTE_PGM_RSRC2:TIDIG_COMP_CNT: 0
; COMPUTE_PGM_RSRC3_GFX90A:ACCUM_OFFSET: 0
; COMPUTE_PGM_RSRC3_GFX90A:TG_SPLIT: 0
	.section	.text._ZN7rocprim17ROCPRIM_400000_NS6detail17trampoline_kernelINS0_14default_configENS1_25partition_config_selectorILNS1_17partition_subalgoE8EiNS0_10empty_typeEbEEZZNS1_14partition_implILS5_8ELb0ES3_jPKiPS6_PKS6_NS0_5tupleIJPiS6_EEENSE_IJSB_SB_EEENS0_18inequality_wrapperIN6hipcub16HIPCUB_304000_NS8EqualityEEEPlJS6_EEE10hipError_tPvRmT3_T4_T5_T6_T7_T9_mT8_P12ihipStream_tbDpT10_ENKUlT_T0_E_clISt17integral_constantIbLb1EES16_IbLb0EEEEDaS12_S13_EUlS12_E_NS1_11comp_targetILNS1_3genE5ELNS1_11target_archE942ELNS1_3gpuE9ELNS1_3repE0EEENS1_30default_config_static_selectorELNS0_4arch9wavefront6targetE1EEEvT1_,"axG",@progbits,_ZN7rocprim17ROCPRIM_400000_NS6detail17trampoline_kernelINS0_14default_configENS1_25partition_config_selectorILNS1_17partition_subalgoE8EiNS0_10empty_typeEbEEZZNS1_14partition_implILS5_8ELb0ES3_jPKiPS6_PKS6_NS0_5tupleIJPiS6_EEENSE_IJSB_SB_EEENS0_18inequality_wrapperIN6hipcub16HIPCUB_304000_NS8EqualityEEEPlJS6_EEE10hipError_tPvRmT3_T4_T5_T6_T7_T9_mT8_P12ihipStream_tbDpT10_ENKUlT_T0_E_clISt17integral_constantIbLb1EES16_IbLb0EEEEDaS12_S13_EUlS12_E_NS1_11comp_targetILNS1_3genE5ELNS1_11target_archE942ELNS1_3gpuE9ELNS1_3repE0EEENS1_30default_config_static_selectorELNS0_4arch9wavefront6targetE1EEEvT1_,comdat
	.protected	_ZN7rocprim17ROCPRIM_400000_NS6detail17trampoline_kernelINS0_14default_configENS1_25partition_config_selectorILNS1_17partition_subalgoE8EiNS0_10empty_typeEbEEZZNS1_14partition_implILS5_8ELb0ES3_jPKiPS6_PKS6_NS0_5tupleIJPiS6_EEENSE_IJSB_SB_EEENS0_18inequality_wrapperIN6hipcub16HIPCUB_304000_NS8EqualityEEEPlJS6_EEE10hipError_tPvRmT3_T4_T5_T6_T7_T9_mT8_P12ihipStream_tbDpT10_ENKUlT_T0_E_clISt17integral_constantIbLb1EES16_IbLb0EEEEDaS12_S13_EUlS12_E_NS1_11comp_targetILNS1_3genE5ELNS1_11target_archE942ELNS1_3gpuE9ELNS1_3repE0EEENS1_30default_config_static_selectorELNS0_4arch9wavefront6targetE1EEEvT1_ ; -- Begin function _ZN7rocprim17ROCPRIM_400000_NS6detail17trampoline_kernelINS0_14default_configENS1_25partition_config_selectorILNS1_17partition_subalgoE8EiNS0_10empty_typeEbEEZZNS1_14partition_implILS5_8ELb0ES3_jPKiPS6_PKS6_NS0_5tupleIJPiS6_EEENSE_IJSB_SB_EEENS0_18inequality_wrapperIN6hipcub16HIPCUB_304000_NS8EqualityEEEPlJS6_EEE10hipError_tPvRmT3_T4_T5_T6_T7_T9_mT8_P12ihipStream_tbDpT10_ENKUlT_T0_E_clISt17integral_constantIbLb1EES16_IbLb0EEEEDaS12_S13_EUlS12_E_NS1_11comp_targetILNS1_3genE5ELNS1_11target_archE942ELNS1_3gpuE9ELNS1_3repE0EEENS1_30default_config_static_selectorELNS0_4arch9wavefront6targetE1EEEvT1_
	.globl	_ZN7rocprim17ROCPRIM_400000_NS6detail17trampoline_kernelINS0_14default_configENS1_25partition_config_selectorILNS1_17partition_subalgoE8EiNS0_10empty_typeEbEEZZNS1_14partition_implILS5_8ELb0ES3_jPKiPS6_PKS6_NS0_5tupleIJPiS6_EEENSE_IJSB_SB_EEENS0_18inequality_wrapperIN6hipcub16HIPCUB_304000_NS8EqualityEEEPlJS6_EEE10hipError_tPvRmT3_T4_T5_T6_T7_T9_mT8_P12ihipStream_tbDpT10_ENKUlT_T0_E_clISt17integral_constantIbLb1EES16_IbLb0EEEEDaS12_S13_EUlS12_E_NS1_11comp_targetILNS1_3genE5ELNS1_11target_archE942ELNS1_3gpuE9ELNS1_3repE0EEENS1_30default_config_static_selectorELNS0_4arch9wavefront6targetE1EEEvT1_
	.p2align	8
	.type	_ZN7rocprim17ROCPRIM_400000_NS6detail17trampoline_kernelINS0_14default_configENS1_25partition_config_selectorILNS1_17partition_subalgoE8EiNS0_10empty_typeEbEEZZNS1_14partition_implILS5_8ELb0ES3_jPKiPS6_PKS6_NS0_5tupleIJPiS6_EEENSE_IJSB_SB_EEENS0_18inequality_wrapperIN6hipcub16HIPCUB_304000_NS8EqualityEEEPlJS6_EEE10hipError_tPvRmT3_T4_T5_T6_T7_T9_mT8_P12ihipStream_tbDpT10_ENKUlT_T0_E_clISt17integral_constantIbLb1EES16_IbLb0EEEEDaS12_S13_EUlS12_E_NS1_11comp_targetILNS1_3genE5ELNS1_11target_archE942ELNS1_3gpuE9ELNS1_3repE0EEENS1_30default_config_static_selectorELNS0_4arch9wavefront6targetE1EEEvT1_,@function
_ZN7rocprim17ROCPRIM_400000_NS6detail17trampoline_kernelINS0_14default_configENS1_25partition_config_selectorILNS1_17partition_subalgoE8EiNS0_10empty_typeEbEEZZNS1_14partition_implILS5_8ELb0ES3_jPKiPS6_PKS6_NS0_5tupleIJPiS6_EEENSE_IJSB_SB_EEENS0_18inequality_wrapperIN6hipcub16HIPCUB_304000_NS8EqualityEEEPlJS6_EEE10hipError_tPvRmT3_T4_T5_T6_T7_T9_mT8_P12ihipStream_tbDpT10_ENKUlT_T0_E_clISt17integral_constantIbLb1EES16_IbLb0EEEEDaS12_S13_EUlS12_E_NS1_11comp_targetILNS1_3genE5ELNS1_11target_archE942ELNS1_3gpuE9ELNS1_3repE0EEENS1_30default_config_static_selectorELNS0_4arch9wavefront6targetE1EEEvT1_: ; @_ZN7rocprim17ROCPRIM_400000_NS6detail17trampoline_kernelINS0_14default_configENS1_25partition_config_selectorILNS1_17partition_subalgoE8EiNS0_10empty_typeEbEEZZNS1_14partition_implILS5_8ELb0ES3_jPKiPS6_PKS6_NS0_5tupleIJPiS6_EEENSE_IJSB_SB_EEENS0_18inequality_wrapperIN6hipcub16HIPCUB_304000_NS8EqualityEEEPlJS6_EEE10hipError_tPvRmT3_T4_T5_T6_T7_T9_mT8_P12ihipStream_tbDpT10_ENKUlT_T0_E_clISt17integral_constantIbLb1EES16_IbLb0EEEEDaS12_S13_EUlS12_E_NS1_11comp_targetILNS1_3genE5ELNS1_11target_archE942ELNS1_3gpuE9ELNS1_3repE0EEENS1_30default_config_static_selectorELNS0_4arch9wavefront6targetE1EEEvT1_
; %bb.0:
	s_load_dwordx2 s[8:9], s[0:1], 0x50
	s_load_dwordx4 s[4:7], s[0:1], 0x8
	s_load_dwordx4 s[36:39], s[0:1], 0x40
	s_load_dword s3, s[0:1], 0x68
	s_waitcnt lgkmcnt(0)
	v_mov_b32_e32 v3, s9
	s_lshl_b64 s[10:11], s[6:7], 2
	s_add_u32 s10, s4, s10
	s_mul_i32 s9, s3, 0x1e00
	s_addc_u32 s11, s5, s11
	s_add_i32 s12, s3, -1
	s_add_i32 s3, s9, s6
	s_sub_i32 s3, s8, s3
	v_mov_b32_e32 v2, s8
	s_add_u32 s8, s6, s9
	s_addc_u32 s9, s7, 0
	s_cmp_eq_u32 s2, s12
	s_load_dwordx2 s[34:35], s[38:39], 0x0
	v_cmp_ge_u64_e32 vcc, s[8:9], v[2:3]
	s_cselect_b64 s[38:39], -1, 0
	s_mul_i32 s4, s2, 0x1e00
	s_mov_b32 s5, 0
	s_and_b64 s[42:43], s[38:39], vcc
	s_xor_b64 s[40:41], s[42:43], -1
	s_lshl_b64 s[4:5], s[4:5], 2
	s_add_u32 s4, s10, s4
	s_mov_b64 s[8:9], -1
	s_addc_u32 s5, s11, s5
	s_and_b64 vcc, exec, s[40:41]
	s_cbranch_vccz .LBB205_2
; %bb.1:
	v_lshlrev_b32_e32 v2, 2, v0
	v_mov_b32_e32 v3, 0
	v_lshl_add_u64 v[4:5], s[4:5], 0, v[2:3]
	v_add_co_u32_e32 v6, vcc, 0x1000, v4
	global_load_dword v1, v2, s[4:5]
	global_load_dword v3, v2, s[4:5] offset:2048
	v_addc_co_u32_e32 v7, vcc, 0, v5, vcc
	v_add_co_u32_e32 v8, vcc, 0x2000, v4
	s_mov_b64 s[8:9], 0
	s_nop 0
	v_addc_co_u32_e32 v9, vcc, 0, v5, vcc
	v_add_co_u32_e32 v10, vcc, 0x3000, v4
	s_nop 1
	v_addc_co_u32_e32 v11, vcc, 0, v5, vcc
	v_add_co_u32_e32 v12, vcc, 0x4000, v4
	s_nop 1
	v_addc_co_u32_e32 v13, vcc, 0, v5, vcc
	global_load_dword v14, v[6:7], off
	global_load_dword v15, v[6:7], off offset:2048
	global_load_dword v16, v[8:9], off
	global_load_dword v17, v[8:9], off offset:2048
	global_load_dword v18, v[10:11], off
	global_load_dword v19, v[10:11], off offset:2048
	global_load_dword v20, v[12:13], off
	global_load_dword v21, v[12:13], off offset:2048
	v_add_co_u32_e32 v6, vcc, 0x5000, v4
	s_nop 1
	v_addc_co_u32_e32 v7, vcc, 0, v5, vcc
	v_add_co_u32_e32 v8, vcc, 0x6000, v4
	s_nop 1
	v_addc_co_u32_e32 v9, vcc, 0, v5, vcc
	global_load_dword v10, v[6:7], off
	global_load_dword v11, v[6:7], off offset:2048
	global_load_dword v12, v[8:9], off
	global_load_dword v13, v[8:9], off offset:2048
	v_add_co_u32_e32 v4, vcc, 0x7000, v4
	s_nop 1
	v_addc_co_u32_e32 v5, vcc, 0, v5, vcc
	global_load_dword v4, v[4:5], off
	s_waitcnt vmcnt(13)
	ds_write2st64_b32 v2, v1, v3 offset1:8
	s_waitcnt vmcnt(11)
	ds_write2st64_b32 v2, v14, v15 offset0:16 offset1:24
	s_waitcnt vmcnt(9)
	ds_write2st64_b32 v2, v16, v17 offset0:32 offset1:40
	;; [unrolled: 2-line block ×6, first 2 shown]
	s_waitcnt vmcnt(0)
	ds_write_b32 v2, v4 offset:28672
	s_waitcnt lgkmcnt(0)
	s_barrier
.LBB205_2:
	s_andn2_b64 vcc, exec, s[8:9]
	s_addk_i32 s3, 0x1e00
	s_cbranch_vccnz .LBB205_34
; %bb.3:
	v_cmp_gt_u32_e32 vcc, s3, v0
                                        ; implicit-def: $vgpr2_vgpr3_vgpr4_vgpr5_vgpr6_vgpr7_vgpr8_vgpr9_vgpr10_vgpr11_vgpr12_vgpr13_vgpr14_vgpr15_vgpr16_vgpr17
	s_and_saveexec_b64 s[8:9], vcc
	s_cbranch_execz .LBB205_5
; %bb.4:
	v_lshlrev_b32_e32 v1, 2, v0
	global_load_dword v2, v1, s[4:5]
.LBB205_5:
	s_or_b64 exec, exec, s[8:9]
	v_or_b32_e32 v1, 0x200, v0
	v_cmp_gt_u32_e32 vcc, s3, v1
	s_and_saveexec_b64 s[8:9], vcc
	s_cbranch_execz .LBB205_7
; %bb.6:
	v_lshlrev_b32_e32 v1, 2, v0
	global_load_dword v3, v1, s[4:5] offset:2048
.LBB205_7:
	s_or_b64 exec, exec, s[8:9]
	v_or_b32_e32 v1, 0x400, v0
	v_cmp_gt_u32_e32 vcc, s3, v1
	s_and_saveexec_b64 s[8:9], vcc
	s_cbranch_execz .LBB205_9
; %bb.8:
	v_lshlrev_b32_e32 v1, 2, v1
	global_load_dword v4, v1, s[4:5]
.LBB205_9:
	s_or_b64 exec, exec, s[8:9]
	v_or_b32_e32 v1, 0x600, v0
	v_cmp_gt_u32_e32 vcc, s3, v1
	s_and_saveexec_b64 s[8:9], vcc
	s_cbranch_execz .LBB205_11
; %bb.10:
	v_lshlrev_b32_e32 v1, 2, v1
	global_load_dword v5, v1, s[4:5]
.LBB205_11:
	;; [unrolled: 9-line block ×13, first 2 shown]
	s_or_b64 exec, exec, s[8:9]
	v_lshlrev_b32_e32 v1, 2, v0
	s_waitcnt vmcnt(0)
	ds_write2st64_b32 v1, v2, v3 offset1:8
	ds_write2st64_b32 v1, v4, v5 offset0:16 offset1:24
	ds_write2st64_b32 v1, v6, v7 offset0:32 offset1:40
	;; [unrolled: 1-line block ×6, first 2 shown]
	ds_write_b32 v1, v16 offset:28672
	s_waitcnt lgkmcnt(0)
	s_barrier
.LBB205_34:
	v_mul_u32_u24_e32 v10, 15, v0
	v_lshlrev_b32_e32 v17, 2, v10
	s_waitcnt lgkmcnt(0)
	ds_read2_b32 v[30:31], v17 offset1:1
	ds_read2_b32 v[28:29], v17 offset0:2 offset1:3
	ds_read2_b32 v[26:27], v17 offset0:4 offset1:5
	;; [unrolled: 1-line block ×6, first 2 shown]
	ds_read_b32 v1, v17 offset:56
	s_cmp_lg_u32 s2, 0
	s_cselect_b64 s[44:45], -1, 0
	s_cmp_lg_u64 s[6:7], 0
	s_cselect_b64 s[6:7], -1, 0
	s_or_b64 s[6:7], s[44:45], s[6:7]
	v_mad_u32_u24 v15, v0, 15, 1
	v_mad_u32_u24 v11, v0, 15, 2
	;; [unrolled: 1-line block ×14, first 2 shown]
	s_mov_b64 s[46:47], 0
	s_and_b64 vcc, exec, s[6:7]
	s_waitcnt lgkmcnt(0)
	s_barrier
	s_cbranch_vccz .LBB205_39
; %bb.35:
	s_add_u32 s4, s4, -4
	s_addc_u32 s5, s5, -1
	s_load_dword s8, s[4:5], 0x0
	v_lshlrev_b32_e32 v32, 2, v0
	s_and_b64 vcc, exec, s[40:41]
	ds_write_b32 v32, v1
	s_cbranch_vccz .LBB205_41
; %bb.36:
	v_cmp_ne_u32_e32 vcc, 0, v0
	s_waitcnt lgkmcnt(0)
	v_mov_b32_e32 v33, s8
	s_barrier
	s_and_saveexec_b64 s[4:5], vcc
	s_cbranch_execz .LBB205_38
; %bb.37:
	v_add_u32_e32 v33, -4, v32
	ds_read_b32 v33, v33
.LBB205_38:
	s_or_b64 exec, exec, s[4:5]
	v_cmp_ne_u32_e32 vcc, v19, v1
	s_waitcnt lgkmcnt(0)
	v_cmp_ne_u32_e64 s[4:5], v33, v30
	v_cndmask_b32_e64 v35, 0, 1, vcc
	v_cmp_ne_u32_e32 vcc, v18, v19
	s_nop 1
	v_cndmask_b32_e64 v36, 0, 1, vcc
	v_cmp_ne_u32_e32 vcc, v21, v18
	s_nop 1
	v_cndmask_b32_e64 v37, 0, 1, vcc
	v_cmp_ne_u32_e32 vcc, v20, v21
	s_nop 1
	v_cndmask_b32_e64 v38, 0, 1, vcc
	v_cmp_ne_u32_e32 vcc, v23, v20
	s_nop 1
	v_cndmask_b32_e64 v39, 0, 1, vcc
	v_cmp_ne_u32_e32 vcc, v22, v23
	s_nop 1
	v_cndmask_b32_e64 v40, 0, 1, vcc
	v_cmp_ne_u32_e32 vcc, v25, v22
	s_nop 1
	v_cndmask_b32_e64 v41, 0, 1, vcc
	v_cmp_ne_u32_e32 vcc, v24, v25
	s_nop 1
	v_cndmask_b32_e64 v42, 0, 1, vcc
	v_cmp_ne_u32_e32 vcc, v27, v24
	s_nop 1
	v_cndmask_b32_e64 v43, 0, 1, vcc
	v_cmp_ne_u32_e32 vcc, v26, v27
	s_nop 1
	v_cndmask_b32_e64 v44, 0, 1, vcc
	v_cmp_ne_u32_e32 vcc, v29, v26
	s_nop 1
	v_cndmask_b32_e64 v45, 0, 1, vcc
	v_cmp_ne_u32_e32 vcc, v28, v29
	s_nop 1
	v_cndmask_b32_e64 v46, 0, 1, vcc
	v_cmp_ne_u32_e32 vcc, v31, v28
	s_nop 1
	v_cndmask_b32_e64 v47, 0, 1, vcc
	v_cmp_ne_u32_e32 vcc, v30, v31
	s_nop 1
	v_cndmask_b32_e64 v48, 0, 1, vcc
	s_branch .LBB205_45
.LBB205_39:
                                        ; implicit-def: $sgpr4_sgpr5
                                        ; implicit-def: $vgpr35
                                        ; implicit-def: $vgpr36
                                        ; implicit-def: $vgpr37
                                        ; implicit-def: $vgpr38
                                        ; implicit-def: $vgpr39
                                        ; implicit-def: $vgpr40
                                        ; implicit-def: $vgpr41
                                        ; implicit-def: $vgpr42
                                        ; implicit-def: $vgpr48
                                        ; implicit-def: $vgpr47
                                        ; implicit-def: $vgpr46
                                        ; implicit-def: $vgpr45
                                        ; implicit-def: $vgpr44
                                        ; implicit-def: $vgpr43
	s_branch .LBB205_46
.LBB205_40:
                                        ; implicit-def: $sgpr8
	s_branch .LBB205_54
.LBB205_41:
                                        ; implicit-def: $sgpr4_sgpr5
                                        ; implicit-def: $vgpr35
                                        ; implicit-def: $vgpr36
                                        ; implicit-def: $vgpr37
                                        ; implicit-def: $vgpr38
                                        ; implicit-def: $vgpr39
                                        ; implicit-def: $vgpr40
                                        ; implicit-def: $vgpr41
                                        ; implicit-def: $vgpr42
                                        ; implicit-def: $vgpr48
                                        ; implicit-def: $vgpr47
                                        ; implicit-def: $vgpr46
                                        ; implicit-def: $vgpr45
                                        ; implicit-def: $vgpr44
                                        ; implicit-def: $vgpr43
	s_cbranch_execz .LBB205_45
; %bb.42:
	v_cmp_ne_u32_e32 vcc, 0, v0
	s_waitcnt lgkmcnt(0)
	v_mov_b32_e32 v33, s8
	s_barrier
	s_and_saveexec_b64 s[4:5], vcc
	s_cbranch_execz .LBB205_44
; %bb.43:
	v_add_u32_e32 v32, -4, v32
	ds_read_b32 v33, v32
.LBB205_44:
	s_or_b64 exec, exec, s[4:5]
	v_cmp_gt_u32_e32 vcc, s3, v2
	v_cmp_ne_u32_e64 s[4:5], v19, v1
	s_and_b64 s[4:5], vcc, s[4:5]
	v_cmp_gt_u32_e32 vcc, s3, v5
	v_cndmask_b32_e64 v35, 0, 1, s[4:5]
	v_cmp_ne_u32_e64 s[4:5], v18, v19
	s_and_b64 s[4:5], vcc, s[4:5]
	v_cmp_gt_u32_e32 vcc, s3, v4
	v_cndmask_b32_e64 v36, 0, 1, s[4:5]
	;; [unrolled: 4-line block ×14, first 2 shown]
	s_waitcnt lgkmcnt(0)
	v_cmp_ne_u32_e64 s[4:5], v33, v30
	s_and_b64 s[4:5], vcc, s[4:5]
.LBB205_45:
	s_mov_b64 s[46:47], -1
	s_cbranch_execnz .LBB205_40
.LBB205_46:
	s_movk_i32 s4, 0xffc8
	v_mad_i32_i24 v17, v0, s4, v17
	s_and_b64 vcc, exec, s[40:41]
	v_cmp_ne_u32_e64 s[30:31], v19, v1
	v_cmp_ne_u32_e64 s[4:5], v18, v19
	;; [unrolled: 1-line block ×3, first 2 shown]
	s_waitcnt lgkmcnt(0)
	v_cmp_ne_u32_e64 s[8:9], v20, v21
	v_cmp_ne_u32_e64 s[10:11], v23, v20
	;; [unrolled: 1-line block ×11, first 2 shown]
	ds_write_b32 v17, v1
	s_cbranch_vccz .LBB205_50
; %bb.47:
	v_cndmask_b32_e64 v35, 0, 1, s[30:31]
	v_cndmask_b32_e64 v36, 0, 1, s[4:5]
	;; [unrolled: 1-line block ×14, first 2 shown]
	v_cmp_ne_u32_e32 vcc, 0, v0
	s_waitcnt lgkmcnt(0)
	s_barrier
	s_waitcnt lgkmcnt(0)
                                        ; implicit-def: $sgpr4_sgpr5
	s_and_saveexec_b64 s[6:7], vcc
	s_xor_b64 s[6:7], exec, s[6:7]
	s_cbranch_execz .LBB205_49
; %bb.48:
	v_add_u32_e32 v32, -4, v17
	ds_read_b32 v32, v32
	s_or_b64 s[46:47], s[46:47], exec
	s_waitcnt lgkmcnt(0)
	v_cmp_ne_u32_e32 vcc, v32, v30
	s_and_b64 s[4:5], vcc, exec
.LBB205_49:
	s_or_b64 exec, exec, s[6:7]
	s_mov_b32 s8, 1
	s_branch .LBB205_54
.LBB205_50:
                                        ; implicit-def: $sgpr4_sgpr5
                                        ; implicit-def: $vgpr35
                                        ; implicit-def: $vgpr36
                                        ; implicit-def: $vgpr37
                                        ; implicit-def: $vgpr38
                                        ; implicit-def: $vgpr39
                                        ; implicit-def: $vgpr40
                                        ; implicit-def: $vgpr41
                                        ; implicit-def: $vgpr42
                                        ; implicit-def: $vgpr48
                                        ; implicit-def: $vgpr47
                                        ; implicit-def: $vgpr46
                                        ; implicit-def: $vgpr45
                                        ; implicit-def: $vgpr44
                                        ; implicit-def: $vgpr43
                                        ; implicit-def: $sgpr8
	s_cbranch_execz .LBB205_54
; %bb.51:
	v_cmp_gt_u32_e32 vcc, s3, v2
	v_cmp_ne_u32_e64 s[4:5], v19, v1
	s_and_b64 s[4:5], vcc, s[4:5]
	v_cmp_gt_u32_e32 vcc, s3, v5
	v_cndmask_b32_e64 v35, 0, 1, s[4:5]
	v_cmp_ne_u32_e64 s[4:5], v18, v19
	s_and_b64 s[4:5], vcc, s[4:5]
	v_cmp_gt_u32_e32 vcc, s3, v4
	v_cndmask_b32_e64 v36, 0, 1, s[4:5]
	v_cmp_ne_u32_e64 s[4:5], v21, v18
	s_and_b64 s[4:5], vcc, s[4:5]
	v_cmp_gt_u32_e32 vcc, s3, v9
	v_cndmask_b32_e64 v37, 0, 1, s[4:5]
	v_cmp_ne_u32_e64 s[4:5], v20, v21
	s_and_b64 s[4:5], vcc, s[4:5]
	v_cmp_gt_u32_e32 vcc, s3, v8
	v_cndmask_b32_e64 v38, 0, 1, s[4:5]
	v_cmp_ne_u32_e64 s[4:5], v23, v20
	s_and_b64 s[4:5], vcc, s[4:5]
	v_cmp_gt_u32_e32 vcc, s3, v14
	v_cndmask_b32_e64 v39, 0, 1, s[4:5]
	v_cmp_ne_u32_e64 s[4:5], v22, v23
	s_and_b64 s[4:5], vcc, s[4:5]
	v_cmp_gt_u32_e32 vcc, s3, v13
	v_cndmask_b32_e64 v40, 0, 1, s[4:5]
	v_cmp_ne_u32_e64 s[4:5], v25, v22
	s_and_b64 s[4:5], vcc, s[4:5]
	v_cmp_gt_u32_e32 vcc, s3, v16
	v_cndmask_b32_e64 v41, 0, 1, s[4:5]
	v_cmp_ne_u32_e64 s[4:5], v24, v25
	s_and_b64 s[4:5], vcc, s[4:5]
	v_cmp_gt_u32_e32 vcc, s3, v3
	v_cndmask_b32_e64 v42, 0, 1, s[4:5]
	v_cmp_ne_u32_e64 s[4:5], v27, v24
	s_and_b64 s[4:5], vcc, s[4:5]
	v_cmp_gt_u32_e32 vcc, s3, v7
	v_cndmask_b32_e64 v43, 0, 1, s[4:5]
	v_cmp_ne_u32_e64 s[4:5], v26, v27
	s_and_b64 s[4:5], vcc, s[4:5]
	v_cmp_gt_u32_e32 vcc, s3, v6
	v_cndmask_b32_e64 v44, 0, 1, s[4:5]
	v_cmp_ne_u32_e64 s[4:5], v29, v26
	s_and_b64 s[4:5], vcc, s[4:5]
	v_cmp_gt_u32_e32 vcc, s3, v12
	v_cndmask_b32_e64 v45, 0, 1, s[4:5]
	v_cmp_ne_u32_e64 s[4:5], v28, v29
	s_and_b64 s[4:5], vcc, s[4:5]
	v_cmp_gt_u32_e32 vcc, s3, v11
	v_cndmask_b32_e64 v46, 0, 1, s[4:5]
	v_cmp_ne_u32_e64 s[4:5], v31, v28
	s_and_b64 s[4:5], vcc, s[4:5]
	v_cmp_gt_u32_e32 vcc, s3, v15
	v_cndmask_b32_e64 v47, 0, 1, s[4:5]
	v_cmp_ne_u32_e64 s[4:5], v30, v31
	s_and_b64 s[4:5], vcc, s[4:5]
	v_cmp_ne_u32_e32 vcc, 0, v0
	v_cndmask_b32_e64 v48, 0, 1, s[4:5]
	s_waitcnt lgkmcnt(0)
	s_barrier
	s_waitcnt lgkmcnt(0)
                                        ; implicit-def: $sgpr4_sgpr5
	s_and_saveexec_b64 s[6:7], vcc
	s_cbranch_execz .LBB205_53
; %bb.52:
	v_add_u32_e32 v17, -4, v17
	ds_read_b32 v17, v17
	v_cmp_gt_u32_e32 vcc, s3, v10
	s_or_b64 s[46:47], s[46:47], exec
	s_waitcnt lgkmcnt(0)
	v_cmp_ne_u32_e64 s[4:5], v17, v30
	s_and_b64 s[4:5], vcc, s[4:5]
	s_and_b64 s[4:5], s[4:5], exec
.LBB205_53:
	s_or_b64 exec, exec, s[6:7]
	s_mov_b32 s8, 1
.LBB205_54:
	s_waitcnt lgkmcnt(0)
	v_mov_b32_e32 v49, s8
	s_and_saveexec_b64 s[6:7], s[46:47]
; %bb.55:
	v_cndmask_b32_e64 v49, 0, 1, s[4:5]
; %bb.56:
	s_or_b64 exec, exec, s[6:7]
	s_load_dwordx2 s[20:21], s[0:1], 0x60
	s_andn2_b64 vcc, exec, s[42:43]
	s_cbranch_vccnz .LBB205_58
; %bb.57:
	v_cmp_gt_u32_e32 vcc, s3, v10
	s_nop 1
	v_cndmask_b32_e32 v49, 0, v49, vcc
	v_cmp_gt_u32_e32 vcc, s3, v15
	s_nop 1
	v_cndmask_b32_e32 v48, 0, v48, vcc
	;; [unrolled: 3-line block ×15, first 2 shown]
.LBB205_58:
	v_and_b32_e32 v54, 0xff, v45
	v_and_b32_e32 v55, 0xff, v44
	;; [unrolled: 1-line block ×5, first 2 shown]
	v_add3_u32 v3, v55, v56, v54
	v_and_b32_e32 v50, 0xff, v49
	v_and_b32_e32 v51, 0xff, v48
	v_add3_u32 v3, v3, v53, v52
	v_and_b32_e32 v57, 0xff, v42
	v_and_b32_e32 v58, 0xff, v41
	v_add3_u32 v3, v3, v51, v50
	v_and_b32_e32 v59, 0xff, v40
	v_and_b32_e32 v60, 0xff, v39
	v_add3_u32 v3, v3, v57, v58
	v_and_b32_e32 v61, 0xff, v38
	v_and_b32_e32 v62, 0xff, v37
	v_add3_u32 v3, v3, v59, v60
	v_and_b32_e32 v63, 0xff, v36
	v_and_b32_e32 v2, 0xff, v35
	v_add3_u32 v3, v3, v61, v62
	v_add3_u32 v66, v3, v63, v2
	v_mbcnt_lo_u32_b32 v2, -1, 0
	v_mbcnt_hi_u32_b32 v64, -1, v2
	v_and_b32_e32 v2, 15, v64
	v_cmp_eq_u32_e64 s[14:15], 0, v2
	v_cmp_lt_u32_e64 s[12:13], 1, v2
	v_cmp_lt_u32_e64 s[10:11], 3, v2
	v_cmp_lt_u32_e64 s[8:9], 7, v2
	v_and_b32_e32 v2, 16, v64
	v_cmp_eq_u32_e64 s[6:7], 0, v2
	v_or_b32_e32 v2, 63, v0
	v_cmp_lt_u32_e64 s[18:19], 31, v64
	v_lshrrev_b32_e32 v65, 6, v0
	v_cmp_eq_u32_e64 s[4:5], v2, v0
	s_and_b64 vcc, exec, s[44:45]
	s_waitcnt lgkmcnt(0)
	s_barrier
	s_cbranch_vccz .LBB205_89
; %bb.59:
	v_mov_b32_dpp v2, v66 row_shr:1 row_mask:0xf bank_mask:0xf
	v_cndmask_b32_e64 v2, v2, 0, s[14:15]
	v_add_u32_e32 v2, v2, v66
	s_nop 1
	v_mov_b32_dpp v3, v2 row_shr:2 row_mask:0xf bank_mask:0xf
	v_cndmask_b32_e64 v3, 0, v3, s[12:13]
	v_add_u32_e32 v2, v2, v3
	s_nop 1
	;; [unrolled: 4-line block ×4, first 2 shown]
	v_mov_b32_dpp v3, v2 row_bcast:15 row_mask:0xf bank_mask:0xf
	v_cndmask_b32_e64 v3, v3, 0, s[6:7]
	v_add_u32_e32 v2, v2, v3
	s_nop 1
	v_mov_b32_dpp v3, v2 row_bcast:31 row_mask:0xf bank_mask:0xf
	v_cndmask_b32_e64 v3, 0, v3, s[18:19]
	v_add_u32_e32 v2, v2, v3
	s_and_saveexec_b64 s[16:17], s[4:5]
	s_cbranch_execz .LBB205_61
; %bb.60:
	v_lshlrev_b32_e32 v3, 2, v65
	ds_write_b32 v3, v2
.LBB205_61:
	s_or_b64 exec, exec, s[16:17]
	v_cmp_gt_u32_e32 vcc, 8, v0
	s_waitcnt lgkmcnt(0)
	s_barrier
	s_and_saveexec_b64 s[16:17], vcc
	s_cbranch_execz .LBB205_63
; %bb.62:
	v_lshlrev_b32_e32 v3, 2, v0
	ds_read_b32 v4, v3
	v_and_b32_e32 v5, 7, v64
	v_cmp_ne_u32_e32 vcc, 0, v5
	s_waitcnt lgkmcnt(0)
	v_mov_b32_dpp v6, v4 row_shr:1 row_mask:0xf bank_mask:0xf
	v_cndmask_b32_e32 v6, 0, v6, vcc
	v_add_u32_e32 v4, v6, v4
	v_cmp_lt_u32_e32 vcc, 1, v5
	s_nop 0
	v_mov_b32_dpp v6, v4 row_shr:2 row_mask:0xf bank_mask:0xf
	v_cndmask_b32_e32 v6, 0, v6, vcc
	v_add_u32_e32 v4, v4, v6
	v_cmp_lt_u32_e32 vcc, 3, v5
	s_nop 0
	v_mov_b32_dpp v6, v4 row_shr:4 row_mask:0xf bank_mask:0xf
	v_cndmask_b32_e32 v5, 0, v6, vcc
	v_add_u32_e32 v4, v4, v5
	ds_write_b32 v3, v4
.LBB205_63:
	s_or_b64 exec, exec, s[16:17]
	v_cmp_gt_u32_e32 vcc, 64, v0
	v_cmp_lt_u32_e64 s[16:17], 63, v0
	s_waitcnt lgkmcnt(0)
	s_barrier
	s_waitcnt lgkmcnt(0)
                                        ; implicit-def: $vgpr12
	s_and_saveexec_b64 s[22:23], s[16:17]
	s_cbranch_execz .LBB205_65
; %bb.64:
	v_lshl_add_u32 v3, v65, 2, -4
	ds_read_b32 v12, v3
	s_waitcnt lgkmcnt(0)
	v_add_u32_e32 v2, v12, v2
.LBB205_65:
	s_or_b64 exec, exec, s[22:23]
	v_add_u32_e32 v3, -1, v64
	v_and_b32_e32 v4, 64, v64
	v_cmp_lt_i32_e64 s[16:17], v3, v4
	s_nop 1
	v_cndmask_b32_e64 v3, v3, v64, s[16:17]
	v_lshlrev_b32_e32 v3, 2, v3
	ds_bpermute_b32 v13, v3, v2
	v_cmp_eq_u32_e64 s[16:17], 0, v64
	s_and_saveexec_b64 s[22:23], vcc
	s_cbranch_execz .LBB205_88
; %bb.66:
	v_mov_b32_e32 v11, 0
	ds_read_b32 v2, v11 offset:28
	s_and_saveexec_b64 s[24:25], s[16:17]
	s_cbranch_execz .LBB205_68
; %bb.67:
	s_add_i32 s26, s2, 64
	s_mov_b32 s27, 0
	s_lshl_b64 s[26:27], s[26:27], 3
	s_add_u32 s26, s20, s26
	v_mov_b32_e32 v3, 1
	s_addc_u32 s27, s21, s27
	s_waitcnt lgkmcnt(0)
	global_store_dwordx2 v11, v[2:3], s[26:27] sc1
.LBB205_68:
	s_or_b64 exec, exec, s[24:25]
	v_xad_u32 v4, v64, -1, s2
	v_add_u32_e32 v10, 64, v4
	v_lshl_add_u64 v[6:7], v[10:11], 3, s[20:21]
	global_load_dwordx2 v[8:9], v[6:7], off sc1
	s_waitcnt vmcnt(0)
	v_cmp_eq_u16_sdwa s[26:27], v9, v11 src0_sel:BYTE_0 src1_sel:DWORD
	s_and_saveexec_b64 s[24:25], s[26:27]
	s_cbranch_execz .LBB205_74
; %bb.69:
	s_mov_b32 s3, 1
	s_mov_b64 s[26:27], 0
	v_mov_b32_e32 v3, 0
.LBB205_70:                             ; =>This Loop Header: Depth=1
                                        ;     Child Loop BB205_71 Depth 2
	s_max_u32 s28, s3, 1
.LBB205_71:                             ;   Parent Loop BB205_70 Depth=1
                                        ; =>  This Inner Loop Header: Depth=2
	s_add_i32 s28, s28, -1
	s_cmp_eq_u32 s28, 0
	s_sleep 1
	s_cbranch_scc0 .LBB205_71
; %bb.72:                               ;   in Loop: Header=BB205_70 Depth=1
	global_load_dwordx2 v[8:9], v[6:7], off sc1
	s_cmp_lt_u32 s3, 32
	s_cselect_b64 s[28:29], -1, 0
	s_cmp_lg_u64 s[28:29], 0
	s_addc_u32 s3, s3, 0
	s_waitcnt vmcnt(0)
	v_cmp_ne_u16_sdwa s[28:29], v9, v3 src0_sel:BYTE_0 src1_sel:DWORD
	s_or_b64 s[26:27], s[28:29], s[26:27]
	s_andn2_b64 exec, exec, s[26:27]
	s_cbranch_execnz .LBB205_70
; %bb.73:
	s_or_b64 exec, exec, s[26:27]
.LBB205_74:
	s_or_b64 exec, exec, s[24:25]
	v_and_b32_e32 v15, 63, v64
	v_mov_b32_e32 v14, 2
	v_cmp_ne_u32_e32 vcc, 63, v15
	v_cmp_eq_u16_sdwa s[24:25], v9, v14 src0_sel:BYTE_0 src1_sel:DWORD
	v_lshlrev_b64 v[6:7], v64, -1
	v_addc_co_u32_e32 v10, vcc, 0, v64, vcc
	v_and_b32_e32 v3, s25, v7
	v_lshlrev_b32_e32 v16, 2, v10
	v_or_b32_e32 v3, 0x80000000, v3
	ds_bpermute_b32 v10, v16, v8
	v_and_b32_e32 v5, s24, v6
	v_ffbl_b32_e32 v3, v3
	v_add_u32_e32 v3, 32, v3
	v_ffbl_b32_e32 v5, v5
	v_min_u32_e32 v3, v5, v3
	v_cmp_lt_u32_e32 vcc, v15, v3
	v_add_u32_e32 v32, 2, v15
	v_add_u32_e32 v34, 4, v15
	s_waitcnt lgkmcnt(0)
	v_cndmask_b32_e32 v5, 0, v10, vcc
	v_cmp_gt_u32_e32 vcc, 62, v15
	v_add_u32_e32 v5, v5, v8
	v_add_u32_e32 v68, 8, v15
	v_cndmask_b32_e64 v8, 0, 1, vcc
	v_lshlrev_b32_e32 v8, 1, v8
	v_add_lshl_u32 v17, v8, v64, 2
	ds_bpermute_b32 v8, v17, v5
	v_cmp_le_u32_e32 vcc, v32, v3
	v_add_u32_e32 v70, 16, v15
	v_add_u32_e32 v72, 32, v15
	s_waitcnt lgkmcnt(0)
	v_cndmask_b32_e32 v8, 0, v8, vcc
	v_cmp_gt_u32_e32 vcc, 60, v15
	v_add_u32_e32 v5, v5, v8
	s_nop 0
	v_cndmask_b32_e64 v8, 0, 1, vcc
	v_lshlrev_b32_e32 v8, 2, v8
	v_add_lshl_u32 v33, v8, v64, 2
	ds_bpermute_b32 v8, v33, v5
	v_cmp_le_u32_e32 vcc, v34, v3
	s_waitcnt lgkmcnt(0)
	s_nop 0
	v_cndmask_b32_e32 v8, 0, v8, vcc
	v_cmp_gt_u32_e32 vcc, 56, v15
	v_add_u32_e32 v5, v5, v8
	s_nop 0
	v_cndmask_b32_e64 v8, 0, 1, vcc
	v_lshlrev_b32_e32 v8, 3, v8
	v_add_lshl_u32 v67, v8, v64, 2
	ds_bpermute_b32 v8, v67, v5
	v_cmp_le_u32_e32 vcc, v68, v3
	s_waitcnt lgkmcnt(0)
	s_nop 0
	;; [unrolled: 11-line block ×4, first 2 shown]
	v_cndmask_b32_e32 v3, 0, v8, vcc
	v_add_u32_e32 v8, v5, v3
	v_mov_b32_e32 v5, 0
	s_branch .LBB205_76
.LBB205_75:                             ;   in Loop: Header=BB205_76 Depth=1
	s_or_b64 exec, exec, s[24:25]
	v_cmp_eq_u16_sdwa s[24:25], v9, v14 src0_sel:BYTE_0 src1_sel:DWORD
	ds_bpermute_b32 v73, v16, v8
	v_subrev_u32_e32 v4, 64, v4
	v_and_b32_e32 v10, s25, v7
	v_or_b32_e32 v10, 0x80000000, v10
	v_and_b32_e32 v11, s24, v6
	v_ffbl_b32_e32 v10, v10
	v_add_u32_e32 v10, 32, v10
	v_ffbl_b32_e32 v11, v11
	v_min_u32_e32 v10, v11, v10
	v_cmp_lt_u32_e32 vcc, v15, v10
	s_waitcnt lgkmcnt(0)
	s_nop 0
	v_cndmask_b32_e32 v11, 0, v73, vcc
	v_add_u32_e32 v8, v11, v8
	ds_bpermute_b32 v11, v17, v8
	v_cmp_le_u32_e32 vcc, v32, v10
	s_waitcnt lgkmcnt(0)
	s_nop 0
	v_cndmask_b32_e32 v11, 0, v11, vcc
	v_add_u32_e32 v8, v8, v11
	ds_bpermute_b32 v11, v33, v8
	v_cmp_le_u32_e32 vcc, v34, v10
	;; [unrolled: 6-line block ×5, first 2 shown]
	s_waitcnt lgkmcnt(0)
	s_nop 0
	v_cndmask_b32_e32 v10, 0, v11, vcc
	v_add3_u32 v8, v10, v3, v8
.LBB205_76:                             ; =>This Loop Header: Depth=1
                                        ;     Child Loop BB205_79 Depth 2
                                        ;       Child Loop BB205_80 Depth 3
	v_cmp_ne_u16_sdwa s[24:25], v9, v14 src0_sel:BYTE_0 src1_sel:DWORD
	s_nop 1
	v_cndmask_b32_e64 v3, 0, 1, s[24:25]
	;;#ASMSTART
	;;#ASMEND
	s_nop 0
	v_cmp_ne_u32_e32 vcc, 0, v3
	s_cmp_lg_u64 vcc, exec
	v_mov_b32_e32 v3, v8
	s_cbranch_scc1 .LBB205_83
; %bb.77:                               ;   in Loop: Header=BB205_76 Depth=1
	v_lshl_add_u64 v[10:11], v[4:5], 3, s[20:21]
	global_load_dwordx2 v[8:9], v[10:11], off sc1
	s_waitcnt vmcnt(0)
	v_cmp_eq_u16_sdwa s[26:27], v9, v5 src0_sel:BYTE_0 src1_sel:DWORD
	s_and_saveexec_b64 s[24:25], s[26:27]
	s_cbranch_execz .LBB205_75
; %bb.78:                               ;   in Loop: Header=BB205_76 Depth=1
	s_mov_b32 s3, 1
	s_mov_b64 s[26:27], 0
.LBB205_79:                             ;   Parent Loop BB205_76 Depth=1
                                        ; =>  This Loop Header: Depth=2
                                        ;       Child Loop BB205_80 Depth 3
	s_max_u32 s28, s3, 1
.LBB205_80:                             ;   Parent Loop BB205_76 Depth=1
                                        ;     Parent Loop BB205_79 Depth=2
                                        ; =>    This Inner Loop Header: Depth=3
	s_add_i32 s28, s28, -1
	s_cmp_eq_u32 s28, 0
	s_sleep 1
	s_cbranch_scc0 .LBB205_80
; %bb.81:                               ;   in Loop: Header=BB205_79 Depth=2
	global_load_dwordx2 v[8:9], v[10:11], off sc1
	s_cmp_lt_u32 s3, 32
	s_cselect_b64 s[28:29], -1, 0
	s_cmp_lg_u64 s[28:29], 0
	s_addc_u32 s3, s3, 0
	s_waitcnt vmcnt(0)
	v_cmp_ne_u16_sdwa s[28:29], v9, v5 src0_sel:BYTE_0 src1_sel:DWORD
	s_or_b64 s[26:27], s[28:29], s[26:27]
	s_andn2_b64 exec, exec, s[26:27]
	s_cbranch_execnz .LBB205_79
; %bb.82:                               ;   in Loop: Header=BB205_76 Depth=1
	s_or_b64 exec, exec, s[26:27]
	s_branch .LBB205_75
.LBB205_83:                             ;   in Loop: Header=BB205_76 Depth=1
                                        ; implicit-def: $vgpr8
                                        ; implicit-def: $vgpr9
	s_cbranch_execz .LBB205_76
; %bb.84:
	s_and_saveexec_b64 s[24:25], s[16:17]
	s_cbranch_execz .LBB205_86
; %bb.85:
	s_add_i32 s2, s2, 64
	s_mov_b32 s3, 0
	s_lshl_b64 s[2:3], s[2:3], 3
	s_add_u32 s2, s20, s2
	v_add_u32_e32 v4, v3, v2
	v_mov_b32_e32 v5, 2
	s_addc_u32 s3, s21, s3
	v_mov_b32_e32 v6, 0
	global_store_dwordx2 v6, v[4:5], s[2:3] sc1
	ds_write_b64 v6, v[2:3] offset:30720
.LBB205_86:
	s_or_b64 exec, exec, s[24:25]
	v_cmp_eq_u32_e32 vcc, 0, v0
	s_and_b64 exec, exec, vcc
	s_cbranch_execz .LBB205_88
; %bb.87:
	v_mov_b32_e32 v2, 0
	ds_write_b32 v2, v3 offset:28
.LBB205_88:
	s_or_b64 exec, exec, s[22:23]
	v_mov_b32_e32 v14, 0
	s_waitcnt lgkmcnt(0)
	s_barrier
	ds_read_b32 v2, v14 offset:28
	v_cndmask_b32_e64 v3, v13, v12, s[16:17]
	v_cmp_ne_u32_e32 vcc, 0, v0
	s_waitcnt lgkmcnt(0)
	s_barrier
	v_cndmask_b32_e32 v3, 0, v3, vcc
	v_add_u32_e32 v2, v2, v3
	v_add_u32_e32 v3, v2, v50
	;; [unrolled: 1-line block ×10, first 2 shown]
	ds_read_b64 v[32:33], v14 offset:30720
	v_add_u32_e32 v12, v11, v59
	v_add_u32_e32 v13, v12, v60
	;; [unrolled: 1-line block ×5, first 2 shown]
	s_waitcnt lgkmcnt(0)
	v_mov_b32_e32 v34, v33
	s_load_dwordx2 s[2:3], s[0:1], 0x28
	s_branch .LBB205_99
.LBB205_89:
                                        ; implicit-def: $vgpr34
                                        ; implicit-def: $vgpr32
                                        ; implicit-def: $vgpr2_vgpr3_vgpr4_vgpr5_vgpr6_vgpr7_vgpr8_vgpr9_vgpr10_vgpr11_vgpr12_vgpr13_vgpr14_vgpr15_vgpr16_vgpr17
	s_load_dwordx2 s[2:3], s[0:1], 0x28
	s_cbranch_execz .LBB205_99
; %bb.90:
	v_mov_b32_dpp v2, v66 row_shr:1 row_mask:0xf bank_mask:0xf
	v_cndmask_b32_e64 v2, v2, 0, s[14:15]
	v_add_u32_e32 v2, v2, v66
	s_nop 1
	v_mov_b32_dpp v3, v2 row_shr:2 row_mask:0xf bank_mask:0xf
	v_cndmask_b32_e64 v3, 0, v3, s[12:13]
	v_add_u32_e32 v2, v2, v3
	s_nop 1
	;; [unrolled: 4-line block ×4, first 2 shown]
	v_mov_b32_dpp v3, v2 row_bcast:15 row_mask:0xf bank_mask:0xf
	v_cndmask_b32_e64 v3, v3, 0, s[6:7]
	v_add_u32_e32 v2, v2, v3
	s_nop 1
	v_mov_b32_dpp v3, v2 row_bcast:31 row_mask:0xf bank_mask:0xf
	v_cndmask_b32_e64 v3, 0, v3, s[18:19]
	v_add_u32_e32 v2, v2, v3
	s_and_saveexec_b64 s[0:1], s[4:5]
	s_cbranch_execz .LBB205_92
; %bb.91:
	v_lshlrev_b32_e32 v3, 2, v65
	ds_write_b32 v3, v2
.LBB205_92:
	s_or_b64 exec, exec, s[0:1]
	v_cmp_gt_u32_e32 vcc, 8, v0
	s_waitcnt lgkmcnt(0)
	s_barrier
	s_and_saveexec_b64 s[0:1], vcc
	s_cbranch_execz .LBB205_94
; %bb.93:
	v_lshlrev_b32_e32 v3, 2, v0
	ds_read_b32 v4, v3
	v_and_b32_e32 v5, 7, v64
	v_cmp_ne_u32_e32 vcc, 0, v5
	s_waitcnt lgkmcnt(0)
	v_mov_b32_dpp v6, v4 row_shr:1 row_mask:0xf bank_mask:0xf
	v_cndmask_b32_e32 v6, 0, v6, vcc
	v_add_u32_e32 v4, v6, v4
	v_cmp_lt_u32_e32 vcc, 1, v5
	s_nop 0
	v_mov_b32_dpp v6, v4 row_shr:2 row_mask:0xf bank_mask:0xf
	v_cndmask_b32_e32 v6, 0, v6, vcc
	v_add_u32_e32 v4, v4, v6
	v_cmp_lt_u32_e32 vcc, 3, v5
	s_nop 0
	v_mov_b32_dpp v6, v4 row_shr:4 row_mask:0xf bank_mask:0xf
	v_cndmask_b32_e32 v5, 0, v6, vcc
	v_add_u32_e32 v4, v4, v5
	ds_write_b32 v3, v4
.LBB205_94:
	s_or_b64 exec, exec, s[0:1]
	v_cmp_lt_u32_e32 vcc, 63, v0
	v_mov_b32_e32 v4, 0
	v_mov_b32_e32 v3, 0
	s_waitcnt lgkmcnt(0)
	s_barrier
	s_and_saveexec_b64 s[0:1], vcc
	s_cbranch_execz .LBB205_96
; %bb.95:
	v_lshl_add_u32 v3, v65, 2, -4
	ds_read_b32 v3, v3
.LBB205_96:
	s_or_b64 exec, exec, s[0:1]
	v_add_u32_e32 v5, -1, v64
	v_and_b32_e32 v6, 64, v64
	v_cmp_lt_i32_e32 vcc, v5, v6
	s_waitcnt lgkmcnt(0)
	v_add_u32_e32 v2, v3, v2
	ds_read_b32 v32, v4 offset:28
	v_cndmask_b32_e32 v5, v5, v64, vcc
	v_lshlrev_b32_e32 v5, 2, v5
	ds_bpermute_b32 v2, v5, v2
	v_cmp_eq_u32_e32 vcc, 0, v0
	s_and_saveexec_b64 s[0:1], vcc
	s_cbranch_execz .LBB205_98
; %bb.97:
	v_mov_b32_e32 v4, 0
	v_mov_b32_e32 v33, 2
	s_waitcnt lgkmcnt(1)
	global_store_dwordx2 v4, v[32:33], s[20:21] offset:512 sc1
.LBB205_98:
	s_or_b64 exec, exec, s[0:1]
	v_cmp_eq_u32_e64 s[0:1], 0, v64
	v_mov_b32_e32 v34, 0
	s_waitcnt lgkmcnt(0)
	v_cndmask_b32_e64 v2, v2, v3, s[0:1]
	v_cndmask_b32_e64 v2, v2, 0, vcc
	v_add_u32_e32 v3, v2, v50
	v_add_u32_e32 v4, v3, v51
	;; [unrolled: 1-line block ×14, first 2 shown]
	s_barrier
.LBB205_99:
	s_movk_i32 s0, 0x201
	v_cmp_gt_u32_e32 vcc, s0, v32
	s_mov_b64 s[0:1], -1
	s_cbranch_vccnz .LBB205_103
; %bb.100:
	s_and_b64 vcc, exec, s[0:1]
	s_cbranch_vccnz .LBB205_149
.LBB205_101:
	v_cmp_eq_u32_e32 vcc, 0, v0
	s_and_b64 s[0:1], vcc, s[38:39]
	s_waitcnt lgkmcnt(0)
	s_and_saveexec_b64 s[2:3], s[0:1]
	s_cbranch_execnz .LBB205_193
.LBB205_102:
	s_endpgm
.LBB205_103:
	v_add_u32_e32 v17, v34, v32
	s_lshl_b64 s[0:1], s[34:35], 2
	s_waitcnt lgkmcnt(0)
	s_add_u32 s0, s2, s0
	v_cmp_lt_u32_e32 vcc, v2, v17
	s_addc_u32 s1, s3, s1
	s_or_b64 s[6:7], s[40:41], vcc
	s_and_saveexec_b64 s[4:5], s[6:7]
	s_cbranch_execz .LBB205_106
; %bb.104:
	v_and_b32_e32 v33, 1, v49
	v_cmp_eq_u32_e32 vcc, 1, v33
	s_and_b64 exec, exec, vcc
	s_cbranch_execz .LBB205_106
; %bb.105:
	v_mov_b32_e32 v51, 0
	v_mov_b32_e32 v50, v2
	v_lshl_add_u64 v[50:51], v[50:51], 2, s[0:1]
	global_store_dword v[50:51], v30, off
.LBB205_106:
	s_or_b64 exec, exec, s[4:5]
	v_cmp_lt_u32_e32 vcc, v3, v17
	s_or_b64 s[6:7], s[40:41], vcc
	s_and_saveexec_b64 s[4:5], s[6:7]
	s_cbranch_execz .LBB205_109
; %bb.107:
	v_and_b32_e32 v33, 1, v48
	v_cmp_eq_u32_e32 vcc, 1, v33
	s_and_b64 exec, exec, vcc
	s_cbranch_execz .LBB205_109
; %bb.108:
	v_mov_b32_e32 v51, 0
	v_mov_b32_e32 v50, v3
	v_lshl_add_u64 v[50:51], v[50:51], 2, s[0:1]
	global_store_dword v[50:51], v31, off
.LBB205_109:
	s_or_b64 exec, exec, s[4:5]
	v_cmp_lt_u32_e32 vcc, v4, v17
	;; [unrolled: 16-line block ×14, first 2 shown]
	s_or_b64 s[6:7], s[40:41], vcc
	s_and_saveexec_b64 s[4:5], s[6:7]
	s_cbranch_execz .LBB205_148
; %bb.146:
	v_and_b32_e32 v17, 1, v35
	v_cmp_eq_u32_e32 vcc, 1, v17
	s_and_b64 exec, exec, vcc
	s_cbranch_execz .LBB205_148
; %bb.147:
	v_mov_b32_e32 v17, 0
	v_lshl_add_u64 v[50:51], v[16:17], 2, s[0:1]
	global_store_dword v[50:51], v1, off
.LBB205_148:
	s_or_b64 exec, exec, s[4:5]
	s_branch .LBB205_101
.LBB205_149:
	v_and_b32_e32 v17, 1, v49
	v_cmp_eq_u32_e32 vcc, 1, v17
	s_and_saveexec_b64 s[0:1], vcc
	s_cbranch_execz .LBB205_151
; %bb.150:
	v_sub_u32_e32 v2, v2, v34
	v_lshlrev_b32_e32 v2, 2, v2
	ds_write_b32 v2, v30
.LBB205_151:
	s_or_b64 exec, exec, s[0:1]
	v_and_b32_e32 v2, 1, v48
	v_cmp_eq_u32_e32 vcc, 1, v2
	s_and_saveexec_b64 s[0:1], vcc
	s_cbranch_execz .LBB205_153
; %bb.152:
	v_sub_u32_e32 v2, v3, v34
	v_lshlrev_b32_e32 v2, 2, v2
	ds_write_b32 v2, v31
.LBB205_153:
	s_or_b64 exec, exec, s[0:1]
	;; [unrolled: 10-line block ×15, first 2 shown]
	v_cmp_lt_u32_e32 vcc, v0, v32
	s_waitcnt lgkmcnt(0)
	s_barrier
	s_and_saveexec_b64 s[0:1], vcc
	s_cbranch_execz .LBB205_192
; %bb.180:
	s_lshl_b64 s[4:5], s[34:35], 2
	v_mov_b32_e32 v35, 0
	s_add_u32 s2, s2, s4
	s_addc_u32 s3, s3, s5
	v_lshlrev_b64 v[2:3], 2, v[34:35]
	v_lshl_add_u64 v[2:3], s[2:3], 0, v[2:3]
	v_xad_u32 v1, v0, -1, v32
	s_movk_i32 s2, 0x1ff
	v_cmp_lt_u32_e32 vcc, s2, v1
	s_mov_b64 s[4:5], -1
	v_mov_b32_e32 v4, v0
	s_and_saveexec_b64 s[2:3], vcc
	s_cbranch_execz .LBB205_189
; %bb.181:
	v_lshrrev_b32_e32 v8, 9, v1
	v_add_u32_e32 v4, -1, v8
	v_or_b32_e32 v1, 0x200, v0
	v_lshrrev_b32_e32 v5, 1, v4
	v_add_u32_e32 v10, 1, v5
	v_cmp_lt_u32_e32 vcc, 13, v4
	v_lshlrev_b32_e32 v9, 2, v0
	v_mov_b64_e32 v[4:5], v[0:1]
	s_and_saveexec_b64 s[4:5], vcc
	s_cbranch_execz .LBB205_185
; %bb.182:
	v_and_b32_e32 v11, -8, v10
	s_mov_b32 s8, 0
	s_mov_b64 s[6:7], 0
	v_mov_b32_e32 v7, 0
	v_mov_b32_e32 v12, v9
	v_mov_b64_e32 v[4:5], v[0:1]
.LBB205_183:                            ; =>This Inner Loop Header: Depth=1
	ds_read2st64_b32 v[14:15], v12 offset1:8
	v_mov_b32_e32 v6, v4
	ds_read2st64_b32 v[26:27], v12 offset0:48 offset1:56
	v_lshl_add_u64 v[48:49], v[6:7], 2, v[2:3]
	v_mov_b32_e32 v6, v5
	ds_read2st64_b32 v[18:19], v12 offset0:16 offset1:24
	ds_read2st64_b32 v[30:31], v12 offset0:64 offset1:72
	v_lshl_add_u64 v[50:51], v[6:7], 2, v[2:3]
	v_add_u32_e32 v6, 0x400, v4
	ds_read2st64_b32 v[38:39], v12 offset0:80 offset1:88
	v_lshl_add_u64 v[52:53], v[6:7], 2, v[2:3]
	v_add_u32_e32 v6, 0x800, v4
	v_add_u32_e32 v16, 0x400, v5
	v_mov_b32_e32 v17, v7
	v_add_u32_e32 v20, 0x800, v5
	ds_read2st64_b32 v[22:23], v12 offset0:32 offset1:40
	v_mov_b32_e32 v21, v7
	ds_read2st64_b32 v[42:43], v12 offset0:96 offset1:104
	v_lshl_add_u64 v[54:55], v[6:7], 2, v[2:3]
	v_add_u32_e32 v6, 0xc00, v4
	v_add_u32_e32 v24, 0xc00, v5
	v_mov_b32_e32 v25, v7
	ds_read2st64_b32 v[46:47], v12 offset0:112 offset1:120
	v_lshl_add_u64 v[16:17], v[16:17], 2, v[2:3]
	v_lshl_add_u64 v[20:21], v[20:21], 2, v[2:3]
	s_waitcnt lgkmcnt(7)
	global_store_dword v[48:49], v14, off
	global_store_dword v[50:51], v15, off
	s_waitcnt lgkmcnt(5)
	global_store_dword v[52:53], v18, off
	global_store_dword v[16:17], v19, off
	;; [unrolled: 3-line block ×3, first 2 shown]
	v_lshl_add_u64 v[14:15], v[6:7], 2, v[2:3]
	v_add_u32_e32 v6, 0x1000, v4
	v_add_u32_e32 v28, 0x1000, v5
	v_mov_b32_e32 v29, v7
	v_lshl_add_u64 v[24:25], v[24:25], 2, v[2:3]
	global_store_dword v[14:15], v26, off
	global_store_dword v[24:25], v27, off
	v_lshl_add_u64 v[14:15], v[6:7], 2, v[2:3]
	v_add_u32_e32 v6, 0x1400, v4
	v_add_u32_e32 v36, 0x1400, v5
	v_mov_b32_e32 v37, v7
	v_add_u32_e32 v11, -8, v11
	v_lshl_add_u64 v[28:29], v[28:29], 2, v[2:3]
	global_store_dword v[14:15], v30, off
	global_store_dword v[28:29], v31, off
	v_lshl_add_u64 v[14:15], v[6:7], 2, v[2:3]
	v_add_u32_e32 v6, 0x1800, v4
	v_add_u32_e32 v40, 0x1800, v5
	v_mov_b32_e32 v41, v7
	s_add_i32 s8, s8, 16
	v_lshl_add_u64 v[36:37], v[36:37], 2, v[2:3]
	v_cmp_eq_u32_e32 vcc, 0, v11
	global_store_dword v[14:15], v38, off
	global_store_dword v[36:37], v39, off
	v_lshl_add_u64 v[14:15], v[6:7], 2, v[2:3]
	v_add_u32_e32 v6, 0x1c00, v4
	v_add_u32_e32 v44, 0x1c00, v5
	v_mov_b32_e32 v45, v7
	v_add_u32_e32 v12, 0x8000, v12
	v_lshl_add_u64 v[40:41], v[40:41], 2, v[2:3]
	v_add_u32_e32 v5, 0x2000, v5
	v_mov_b32_e32 v35, s8
	s_or_b64 s[6:7], vcc, s[6:7]
	v_add_u32_e32 v4, 0x2000, v4
	s_waitcnt lgkmcnt(1)
	global_store_dword v[14:15], v42, off
	global_store_dword v[40:41], v43, off
	v_lshl_add_u64 v[14:15], v[6:7], 2, v[2:3]
	v_lshl_add_u64 v[44:45], v[44:45], 2, v[2:3]
	s_waitcnt lgkmcnt(0)
	global_store_dword v[14:15], v46, off
	global_store_dword v[44:45], v47, off
	s_andn2_b64 exec, exec, s[6:7]
	s_cbranch_execnz .LBB205_183
; %bb.184:
	s_or_b64 exec, exec, s[6:7]
.LBB205_185:
	s_or_b64 exec, exec, s[4:5]
	v_and_b32_e32 v1, 7, v10
	v_cmp_ne_u32_e32 vcc, 0, v1
	s_and_saveexec_b64 s[4:5], vcc
	s_cbranch_execz .LBB205_188
; %bb.186:
	v_lshl_or_b32 v9, v35, 11, v9
	s_mov_b64 s[6:7], 0
	v_mov_b32_e32 v7, 0
.LBB205_187:                            ; =>This Inner Loop Header: Depth=1
	ds_read2st64_b32 v[10:11], v9 offset1:8
	v_add_u32_e32 v1, -1, v1
	v_mov_b32_e32 v6, v4
	v_cmp_eq_u32_e32 vcc, 0, v1
	v_add_u32_e32 v4, 0x400, v4
	v_add_u32_e32 v9, 0x1000, v9
	v_lshl_add_u64 v[12:13], v[6:7], 2, v[2:3]
	v_mov_b32_e32 v6, v5
	v_add_u32_e32 v5, 0x400, v5
	s_or_b64 s[6:7], vcc, s[6:7]
	v_lshl_add_u64 v[14:15], v[6:7], 2, v[2:3]
	s_waitcnt lgkmcnt(0)
	global_store_dword v[12:13], v10, off
	global_store_dword v[14:15], v11, off
	s_andn2_b64 exec, exec, s[6:7]
	s_cbranch_execnz .LBB205_187
.LBB205_188:
	s_or_b64 exec, exec, s[4:5]
	v_add_u32_e32 v1, 1, v8
	v_and_b32_e32 v5, 0xfffffe, v1
	v_cmp_ne_u32_e32 vcc, v1, v5
	v_lshl_or_b32 v4, v5, 9, v0
	s_orn2_b64 s[4:5], vcc, exec
.LBB205_189:
	s_or_b64 exec, exec, s[2:3]
	s_and_b64 exec, exec, s[4:5]
	s_cbranch_execz .LBB205_192
; %bb.190:
	v_lshlrev_b32_e32 v1, 2, v4
	s_mov_b64 s[2:3], 0
	v_mov_b32_e32 v5, 0
.LBB205_191:                            ; =>This Inner Loop Header: Depth=1
	ds_read_b32 v8, v1
	v_lshl_add_u64 v[6:7], v[4:5], 2, v[2:3]
	v_add_u32_e32 v4, 0x200, v4
	v_cmp_ge_u32_e32 vcc, v4, v32
	v_add_u32_e32 v1, 0x800, v1
	s_or_b64 s[2:3], vcc, s[2:3]
	s_waitcnt lgkmcnt(0)
	global_store_dword v[6:7], v8, off
	s_andn2_b64 exec, exec, s[2:3]
	s_cbranch_execnz .LBB205_191
.LBB205_192:
	s_or_b64 exec, exec, s[0:1]
	v_cmp_eq_u32_e32 vcc, 0, v0
	s_and_b64 s[0:1], vcc, s[38:39]
	s_and_saveexec_b64 s[2:3], s[0:1]
	s_cbranch_execz .LBB205_102
.LBB205_193:
	v_mov_b32_e32 v33, 0
	v_lshl_add_u64 v[0:1], s[34:35], 0, v[32:33]
	v_mov_b32_e32 v35, v33
	v_lshl_add_u64 v[0:1], v[0:1], 0, v[34:35]
	global_store_dwordx2 v33, v[0:1], s[36:37]
	s_endpgm
	.section	.rodata,"a",@progbits
	.p2align	6, 0x0
	.amdhsa_kernel _ZN7rocprim17ROCPRIM_400000_NS6detail17trampoline_kernelINS0_14default_configENS1_25partition_config_selectorILNS1_17partition_subalgoE8EiNS0_10empty_typeEbEEZZNS1_14partition_implILS5_8ELb0ES3_jPKiPS6_PKS6_NS0_5tupleIJPiS6_EEENSE_IJSB_SB_EEENS0_18inequality_wrapperIN6hipcub16HIPCUB_304000_NS8EqualityEEEPlJS6_EEE10hipError_tPvRmT3_T4_T5_T6_T7_T9_mT8_P12ihipStream_tbDpT10_ENKUlT_T0_E_clISt17integral_constantIbLb1EES16_IbLb0EEEEDaS12_S13_EUlS12_E_NS1_11comp_targetILNS1_3genE5ELNS1_11target_archE942ELNS1_3gpuE9ELNS1_3repE0EEENS1_30default_config_static_selectorELNS0_4arch9wavefront6targetE1EEEvT1_
		.amdhsa_group_segment_fixed_size 30728
		.amdhsa_private_segment_fixed_size 0
		.amdhsa_kernarg_size 112
		.amdhsa_user_sgpr_count 2
		.amdhsa_user_sgpr_dispatch_ptr 0
		.amdhsa_user_sgpr_queue_ptr 0
		.amdhsa_user_sgpr_kernarg_segment_ptr 1
		.amdhsa_user_sgpr_dispatch_id 0
		.amdhsa_user_sgpr_kernarg_preload_length 0
		.amdhsa_user_sgpr_kernarg_preload_offset 0
		.amdhsa_user_sgpr_private_segment_size 0
		.amdhsa_uses_dynamic_stack 0
		.amdhsa_enable_private_segment 0
		.amdhsa_system_sgpr_workgroup_id_x 1
		.amdhsa_system_sgpr_workgroup_id_y 0
		.amdhsa_system_sgpr_workgroup_id_z 0
		.amdhsa_system_sgpr_workgroup_info 0
		.amdhsa_system_vgpr_workitem_id 0
		.amdhsa_next_free_vgpr 74
		.amdhsa_next_free_sgpr 48
		.amdhsa_accum_offset 76
		.amdhsa_reserve_vcc 1
		.amdhsa_float_round_mode_32 0
		.amdhsa_float_round_mode_16_64 0
		.amdhsa_float_denorm_mode_32 3
		.amdhsa_float_denorm_mode_16_64 3
		.amdhsa_dx10_clamp 1
		.amdhsa_ieee_mode 1
		.amdhsa_fp16_overflow 0
		.amdhsa_tg_split 0
		.amdhsa_exception_fp_ieee_invalid_op 0
		.amdhsa_exception_fp_denorm_src 0
		.amdhsa_exception_fp_ieee_div_zero 0
		.amdhsa_exception_fp_ieee_overflow 0
		.amdhsa_exception_fp_ieee_underflow 0
		.amdhsa_exception_fp_ieee_inexact 0
		.amdhsa_exception_int_div_zero 0
	.end_amdhsa_kernel
	.section	.text._ZN7rocprim17ROCPRIM_400000_NS6detail17trampoline_kernelINS0_14default_configENS1_25partition_config_selectorILNS1_17partition_subalgoE8EiNS0_10empty_typeEbEEZZNS1_14partition_implILS5_8ELb0ES3_jPKiPS6_PKS6_NS0_5tupleIJPiS6_EEENSE_IJSB_SB_EEENS0_18inequality_wrapperIN6hipcub16HIPCUB_304000_NS8EqualityEEEPlJS6_EEE10hipError_tPvRmT3_T4_T5_T6_T7_T9_mT8_P12ihipStream_tbDpT10_ENKUlT_T0_E_clISt17integral_constantIbLb1EES16_IbLb0EEEEDaS12_S13_EUlS12_E_NS1_11comp_targetILNS1_3genE5ELNS1_11target_archE942ELNS1_3gpuE9ELNS1_3repE0EEENS1_30default_config_static_selectorELNS0_4arch9wavefront6targetE1EEEvT1_,"axG",@progbits,_ZN7rocprim17ROCPRIM_400000_NS6detail17trampoline_kernelINS0_14default_configENS1_25partition_config_selectorILNS1_17partition_subalgoE8EiNS0_10empty_typeEbEEZZNS1_14partition_implILS5_8ELb0ES3_jPKiPS6_PKS6_NS0_5tupleIJPiS6_EEENSE_IJSB_SB_EEENS0_18inequality_wrapperIN6hipcub16HIPCUB_304000_NS8EqualityEEEPlJS6_EEE10hipError_tPvRmT3_T4_T5_T6_T7_T9_mT8_P12ihipStream_tbDpT10_ENKUlT_T0_E_clISt17integral_constantIbLb1EES16_IbLb0EEEEDaS12_S13_EUlS12_E_NS1_11comp_targetILNS1_3genE5ELNS1_11target_archE942ELNS1_3gpuE9ELNS1_3repE0EEENS1_30default_config_static_selectorELNS0_4arch9wavefront6targetE1EEEvT1_,comdat
.Lfunc_end205:
	.size	_ZN7rocprim17ROCPRIM_400000_NS6detail17trampoline_kernelINS0_14default_configENS1_25partition_config_selectorILNS1_17partition_subalgoE8EiNS0_10empty_typeEbEEZZNS1_14partition_implILS5_8ELb0ES3_jPKiPS6_PKS6_NS0_5tupleIJPiS6_EEENSE_IJSB_SB_EEENS0_18inequality_wrapperIN6hipcub16HIPCUB_304000_NS8EqualityEEEPlJS6_EEE10hipError_tPvRmT3_T4_T5_T6_T7_T9_mT8_P12ihipStream_tbDpT10_ENKUlT_T0_E_clISt17integral_constantIbLb1EES16_IbLb0EEEEDaS12_S13_EUlS12_E_NS1_11comp_targetILNS1_3genE5ELNS1_11target_archE942ELNS1_3gpuE9ELNS1_3repE0EEENS1_30default_config_static_selectorELNS0_4arch9wavefront6targetE1EEEvT1_, .Lfunc_end205-_ZN7rocprim17ROCPRIM_400000_NS6detail17trampoline_kernelINS0_14default_configENS1_25partition_config_selectorILNS1_17partition_subalgoE8EiNS0_10empty_typeEbEEZZNS1_14partition_implILS5_8ELb0ES3_jPKiPS6_PKS6_NS0_5tupleIJPiS6_EEENSE_IJSB_SB_EEENS0_18inequality_wrapperIN6hipcub16HIPCUB_304000_NS8EqualityEEEPlJS6_EEE10hipError_tPvRmT3_T4_T5_T6_T7_T9_mT8_P12ihipStream_tbDpT10_ENKUlT_T0_E_clISt17integral_constantIbLb1EES16_IbLb0EEEEDaS12_S13_EUlS12_E_NS1_11comp_targetILNS1_3genE5ELNS1_11target_archE942ELNS1_3gpuE9ELNS1_3repE0EEENS1_30default_config_static_selectorELNS0_4arch9wavefront6targetE1EEEvT1_
                                        ; -- End function
	.section	.AMDGPU.csdata,"",@progbits
; Kernel info:
; codeLenInByte = 7932
; NumSgprs: 54
; NumVgprs: 74
; NumAgprs: 0
; TotalNumVgprs: 74
; ScratchSize: 0
; MemoryBound: 0
; FloatMode: 240
; IeeeMode: 1
; LDSByteSize: 30728 bytes/workgroup (compile time only)
; SGPRBlocks: 6
; VGPRBlocks: 9
; NumSGPRsForWavesPerEU: 54
; NumVGPRsForWavesPerEU: 74
; AccumOffset: 76
; Occupancy: 4
; WaveLimiterHint : 1
; COMPUTE_PGM_RSRC2:SCRATCH_EN: 0
; COMPUTE_PGM_RSRC2:USER_SGPR: 2
; COMPUTE_PGM_RSRC2:TRAP_HANDLER: 0
; COMPUTE_PGM_RSRC2:TGID_X_EN: 1
; COMPUTE_PGM_RSRC2:TGID_Y_EN: 0
; COMPUTE_PGM_RSRC2:TGID_Z_EN: 0
; COMPUTE_PGM_RSRC2:TIDIG_COMP_CNT: 0
; COMPUTE_PGM_RSRC3_GFX90A:ACCUM_OFFSET: 18
; COMPUTE_PGM_RSRC3_GFX90A:TG_SPLIT: 0
	.section	.text._ZN7rocprim17ROCPRIM_400000_NS6detail17trampoline_kernelINS0_14default_configENS1_25partition_config_selectorILNS1_17partition_subalgoE8EiNS0_10empty_typeEbEEZZNS1_14partition_implILS5_8ELb0ES3_jPKiPS6_PKS6_NS0_5tupleIJPiS6_EEENSE_IJSB_SB_EEENS0_18inequality_wrapperIN6hipcub16HIPCUB_304000_NS8EqualityEEEPlJS6_EEE10hipError_tPvRmT3_T4_T5_T6_T7_T9_mT8_P12ihipStream_tbDpT10_ENKUlT_T0_E_clISt17integral_constantIbLb1EES16_IbLb0EEEEDaS12_S13_EUlS12_E_NS1_11comp_targetILNS1_3genE4ELNS1_11target_archE910ELNS1_3gpuE8ELNS1_3repE0EEENS1_30default_config_static_selectorELNS0_4arch9wavefront6targetE1EEEvT1_,"axG",@progbits,_ZN7rocprim17ROCPRIM_400000_NS6detail17trampoline_kernelINS0_14default_configENS1_25partition_config_selectorILNS1_17partition_subalgoE8EiNS0_10empty_typeEbEEZZNS1_14partition_implILS5_8ELb0ES3_jPKiPS6_PKS6_NS0_5tupleIJPiS6_EEENSE_IJSB_SB_EEENS0_18inequality_wrapperIN6hipcub16HIPCUB_304000_NS8EqualityEEEPlJS6_EEE10hipError_tPvRmT3_T4_T5_T6_T7_T9_mT8_P12ihipStream_tbDpT10_ENKUlT_T0_E_clISt17integral_constantIbLb1EES16_IbLb0EEEEDaS12_S13_EUlS12_E_NS1_11comp_targetILNS1_3genE4ELNS1_11target_archE910ELNS1_3gpuE8ELNS1_3repE0EEENS1_30default_config_static_selectorELNS0_4arch9wavefront6targetE1EEEvT1_,comdat
	.protected	_ZN7rocprim17ROCPRIM_400000_NS6detail17trampoline_kernelINS0_14default_configENS1_25partition_config_selectorILNS1_17partition_subalgoE8EiNS0_10empty_typeEbEEZZNS1_14partition_implILS5_8ELb0ES3_jPKiPS6_PKS6_NS0_5tupleIJPiS6_EEENSE_IJSB_SB_EEENS0_18inequality_wrapperIN6hipcub16HIPCUB_304000_NS8EqualityEEEPlJS6_EEE10hipError_tPvRmT3_T4_T5_T6_T7_T9_mT8_P12ihipStream_tbDpT10_ENKUlT_T0_E_clISt17integral_constantIbLb1EES16_IbLb0EEEEDaS12_S13_EUlS12_E_NS1_11comp_targetILNS1_3genE4ELNS1_11target_archE910ELNS1_3gpuE8ELNS1_3repE0EEENS1_30default_config_static_selectorELNS0_4arch9wavefront6targetE1EEEvT1_ ; -- Begin function _ZN7rocprim17ROCPRIM_400000_NS6detail17trampoline_kernelINS0_14default_configENS1_25partition_config_selectorILNS1_17partition_subalgoE8EiNS0_10empty_typeEbEEZZNS1_14partition_implILS5_8ELb0ES3_jPKiPS6_PKS6_NS0_5tupleIJPiS6_EEENSE_IJSB_SB_EEENS0_18inequality_wrapperIN6hipcub16HIPCUB_304000_NS8EqualityEEEPlJS6_EEE10hipError_tPvRmT3_T4_T5_T6_T7_T9_mT8_P12ihipStream_tbDpT10_ENKUlT_T0_E_clISt17integral_constantIbLb1EES16_IbLb0EEEEDaS12_S13_EUlS12_E_NS1_11comp_targetILNS1_3genE4ELNS1_11target_archE910ELNS1_3gpuE8ELNS1_3repE0EEENS1_30default_config_static_selectorELNS0_4arch9wavefront6targetE1EEEvT1_
	.globl	_ZN7rocprim17ROCPRIM_400000_NS6detail17trampoline_kernelINS0_14default_configENS1_25partition_config_selectorILNS1_17partition_subalgoE8EiNS0_10empty_typeEbEEZZNS1_14partition_implILS5_8ELb0ES3_jPKiPS6_PKS6_NS0_5tupleIJPiS6_EEENSE_IJSB_SB_EEENS0_18inequality_wrapperIN6hipcub16HIPCUB_304000_NS8EqualityEEEPlJS6_EEE10hipError_tPvRmT3_T4_T5_T6_T7_T9_mT8_P12ihipStream_tbDpT10_ENKUlT_T0_E_clISt17integral_constantIbLb1EES16_IbLb0EEEEDaS12_S13_EUlS12_E_NS1_11comp_targetILNS1_3genE4ELNS1_11target_archE910ELNS1_3gpuE8ELNS1_3repE0EEENS1_30default_config_static_selectorELNS0_4arch9wavefront6targetE1EEEvT1_
	.p2align	8
	.type	_ZN7rocprim17ROCPRIM_400000_NS6detail17trampoline_kernelINS0_14default_configENS1_25partition_config_selectorILNS1_17partition_subalgoE8EiNS0_10empty_typeEbEEZZNS1_14partition_implILS5_8ELb0ES3_jPKiPS6_PKS6_NS0_5tupleIJPiS6_EEENSE_IJSB_SB_EEENS0_18inequality_wrapperIN6hipcub16HIPCUB_304000_NS8EqualityEEEPlJS6_EEE10hipError_tPvRmT3_T4_T5_T6_T7_T9_mT8_P12ihipStream_tbDpT10_ENKUlT_T0_E_clISt17integral_constantIbLb1EES16_IbLb0EEEEDaS12_S13_EUlS12_E_NS1_11comp_targetILNS1_3genE4ELNS1_11target_archE910ELNS1_3gpuE8ELNS1_3repE0EEENS1_30default_config_static_selectorELNS0_4arch9wavefront6targetE1EEEvT1_,@function
_ZN7rocprim17ROCPRIM_400000_NS6detail17trampoline_kernelINS0_14default_configENS1_25partition_config_selectorILNS1_17partition_subalgoE8EiNS0_10empty_typeEbEEZZNS1_14partition_implILS5_8ELb0ES3_jPKiPS6_PKS6_NS0_5tupleIJPiS6_EEENSE_IJSB_SB_EEENS0_18inequality_wrapperIN6hipcub16HIPCUB_304000_NS8EqualityEEEPlJS6_EEE10hipError_tPvRmT3_T4_T5_T6_T7_T9_mT8_P12ihipStream_tbDpT10_ENKUlT_T0_E_clISt17integral_constantIbLb1EES16_IbLb0EEEEDaS12_S13_EUlS12_E_NS1_11comp_targetILNS1_3genE4ELNS1_11target_archE910ELNS1_3gpuE8ELNS1_3repE0EEENS1_30default_config_static_selectorELNS0_4arch9wavefront6targetE1EEEvT1_: ; @_ZN7rocprim17ROCPRIM_400000_NS6detail17trampoline_kernelINS0_14default_configENS1_25partition_config_selectorILNS1_17partition_subalgoE8EiNS0_10empty_typeEbEEZZNS1_14partition_implILS5_8ELb0ES3_jPKiPS6_PKS6_NS0_5tupleIJPiS6_EEENSE_IJSB_SB_EEENS0_18inequality_wrapperIN6hipcub16HIPCUB_304000_NS8EqualityEEEPlJS6_EEE10hipError_tPvRmT3_T4_T5_T6_T7_T9_mT8_P12ihipStream_tbDpT10_ENKUlT_T0_E_clISt17integral_constantIbLb1EES16_IbLb0EEEEDaS12_S13_EUlS12_E_NS1_11comp_targetILNS1_3genE4ELNS1_11target_archE910ELNS1_3gpuE8ELNS1_3repE0EEENS1_30default_config_static_selectorELNS0_4arch9wavefront6targetE1EEEvT1_
; %bb.0:
	.section	.rodata,"a",@progbits
	.p2align	6, 0x0
	.amdhsa_kernel _ZN7rocprim17ROCPRIM_400000_NS6detail17trampoline_kernelINS0_14default_configENS1_25partition_config_selectorILNS1_17partition_subalgoE8EiNS0_10empty_typeEbEEZZNS1_14partition_implILS5_8ELb0ES3_jPKiPS6_PKS6_NS0_5tupleIJPiS6_EEENSE_IJSB_SB_EEENS0_18inequality_wrapperIN6hipcub16HIPCUB_304000_NS8EqualityEEEPlJS6_EEE10hipError_tPvRmT3_T4_T5_T6_T7_T9_mT8_P12ihipStream_tbDpT10_ENKUlT_T0_E_clISt17integral_constantIbLb1EES16_IbLb0EEEEDaS12_S13_EUlS12_E_NS1_11comp_targetILNS1_3genE4ELNS1_11target_archE910ELNS1_3gpuE8ELNS1_3repE0EEENS1_30default_config_static_selectorELNS0_4arch9wavefront6targetE1EEEvT1_
		.amdhsa_group_segment_fixed_size 0
		.amdhsa_private_segment_fixed_size 0
		.amdhsa_kernarg_size 112
		.amdhsa_user_sgpr_count 2
		.amdhsa_user_sgpr_dispatch_ptr 0
		.amdhsa_user_sgpr_queue_ptr 0
		.amdhsa_user_sgpr_kernarg_segment_ptr 1
		.amdhsa_user_sgpr_dispatch_id 0
		.amdhsa_user_sgpr_kernarg_preload_length 0
		.amdhsa_user_sgpr_kernarg_preload_offset 0
		.amdhsa_user_sgpr_private_segment_size 0
		.amdhsa_uses_dynamic_stack 0
		.amdhsa_enable_private_segment 0
		.amdhsa_system_sgpr_workgroup_id_x 1
		.amdhsa_system_sgpr_workgroup_id_y 0
		.amdhsa_system_sgpr_workgroup_id_z 0
		.amdhsa_system_sgpr_workgroup_info 0
		.amdhsa_system_vgpr_workitem_id 0
		.amdhsa_next_free_vgpr 1
		.amdhsa_next_free_sgpr 0
		.amdhsa_accum_offset 4
		.amdhsa_reserve_vcc 0
		.amdhsa_float_round_mode_32 0
		.amdhsa_float_round_mode_16_64 0
		.amdhsa_float_denorm_mode_32 3
		.amdhsa_float_denorm_mode_16_64 3
		.amdhsa_dx10_clamp 1
		.amdhsa_ieee_mode 1
		.amdhsa_fp16_overflow 0
		.amdhsa_tg_split 0
		.amdhsa_exception_fp_ieee_invalid_op 0
		.amdhsa_exception_fp_denorm_src 0
		.amdhsa_exception_fp_ieee_div_zero 0
		.amdhsa_exception_fp_ieee_overflow 0
		.amdhsa_exception_fp_ieee_underflow 0
		.amdhsa_exception_fp_ieee_inexact 0
		.amdhsa_exception_int_div_zero 0
	.end_amdhsa_kernel
	.section	.text._ZN7rocprim17ROCPRIM_400000_NS6detail17trampoline_kernelINS0_14default_configENS1_25partition_config_selectorILNS1_17partition_subalgoE8EiNS0_10empty_typeEbEEZZNS1_14partition_implILS5_8ELb0ES3_jPKiPS6_PKS6_NS0_5tupleIJPiS6_EEENSE_IJSB_SB_EEENS0_18inequality_wrapperIN6hipcub16HIPCUB_304000_NS8EqualityEEEPlJS6_EEE10hipError_tPvRmT3_T4_T5_T6_T7_T9_mT8_P12ihipStream_tbDpT10_ENKUlT_T0_E_clISt17integral_constantIbLb1EES16_IbLb0EEEEDaS12_S13_EUlS12_E_NS1_11comp_targetILNS1_3genE4ELNS1_11target_archE910ELNS1_3gpuE8ELNS1_3repE0EEENS1_30default_config_static_selectorELNS0_4arch9wavefront6targetE1EEEvT1_,"axG",@progbits,_ZN7rocprim17ROCPRIM_400000_NS6detail17trampoline_kernelINS0_14default_configENS1_25partition_config_selectorILNS1_17partition_subalgoE8EiNS0_10empty_typeEbEEZZNS1_14partition_implILS5_8ELb0ES3_jPKiPS6_PKS6_NS0_5tupleIJPiS6_EEENSE_IJSB_SB_EEENS0_18inequality_wrapperIN6hipcub16HIPCUB_304000_NS8EqualityEEEPlJS6_EEE10hipError_tPvRmT3_T4_T5_T6_T7_T9_mT8_P12ihipStream_tbDpT10_ENKUlT_T0_E_clISt17integral_constantIbLb1EES16_IbLb0EEEEDaS12_S13_EUlS12_E_NS1_11comp_targetILNS1_3genE4ELNS1_11target_archE910ELNS1_3gpuE8ELNS1_3repE0EEENS1_30default_config_static_selectorELNS0_4arch9wavefront6targetE1EEEvT1_,comdat
.Lfunc_end206:
	.size	_ZN7rocprim17ROCPRIM_400000_NS6detail17trampoline_kernelINS0_14default_configENS1_25partition_config_selectorILNS1_17partition_subalgoE8EiNS0_10empty_typeEbEEZZNS1_14partition_implILS5_8ELb0ES3_jPKiPS6_PKS6_NS0_5tupleIJPiS6_EEENSE_IJSB_SB_EEENS0_18inequality_wrapperIN6hipcub16HIPCUB_304000_NS8EqualityEEEPlJS6_EEE10hipError_tPvRmT3_T4_T5_T6_T7_T9_mT8_P12ihipStream_tbDpT10_ENKUlT_T0_E_clISt17integral_constantIbLb1EES16_IbLb0EEEEDaS12_S13_EUlS12_E_NS1_11comp_targetILNS1_3genE4ELNS1_11target_archE910ELNS1_3gpuE8ELNS1_3repE0EEENS1_30default_config_static_selectorELNS0_4arch9wavefront6targetE1EEEvT1_, .Lfunc_end206-_ZN7rocprim17ROCPRIM_400000_NS6detail17trampoline_kernelINS0_14default_configENS1_25partition_config_selectorILNS1_17partition_subalgoE8EiNS0_10empty_typeEbEEZZNS1_14partition_implILS5_8ELb0ES3_jPKiPS6_PKS6_NS0_5tupleIJPiS6_EEENSE_IJSB_SB_EEENS0_18inequality_wrapperIN6hipcub16HIPCUB_304000_NS8EqualityEEEPlJS6_EEE10hipError_tPvRmT3_T4_T5_T6_T7_T9_mT8_P12ihipStream_tbDpT10_ENKUlT_T0_E_clISt17integral_constantIbLb1EES16_IbLb0EEEEDaS12_S13_EUlS12_E_NS1_11comp_targetILNS1_3genE4ELNS1_11target_archE910ELNS1_3gpuE8ELNS1_3repE0EEENS1_30default_config_static_selectorELNS0_4arch9wavefront6targetE1EEEvT1_
                                        ; -- End function
	.section	.AMDGPU.csdata,"",@progbits
; Kernel info:
; codeLenInByte = 0
; NumSgprs: 6
; NumVgprs: 0
; NumAgprs: 0
; TotalNumVgprs: 0
; ScratchSize: 0
; MemoryBound: 0
; FloatMode: 240
; IeeeMode: 1
; LDSByteSize: 0 bytes/workgroup (compile time only)
; SGPRBlocks: 0
; VGPRBlocks: 0
; NumSGPRsForWavesPerEU: 6
; NumVGPRsForWavesPerEU: 1
; AccumOffset: 4
; Occupancy: 8
; WaveLimiterHint : 0
; COMPUTE_PGM_RSRC2:SCRATCH_EN: 0
; COMPUTE_PGM_RSRC2:USER_SGPR: 2
; COMPUTE_PGM_RSRC2:TRAP_HANDLER: 0
; COMPUTE_PGM_RSRC2:TGID_X_EN: 1
; COMPUTE_PGM_RSRC2:TGID_Y_EN: 0
; COMPUTE_PGM_RSRC2:TGID_Z_EN: 0
; COMPUTE_PGM_RSRC2:TIDIG_COMP_CNT: 0
; COMPUTE_PGM_RSRC3_GFX90A:ACCUM_OFFSET: 0
; COMPUTE_PGM_RSRC3_GFX90A:TG_SPLIT: 0
	.section	.text._ZN7rocprim17ROCPRIM_400000_NS6detail17trampoline_kernelINS0_14default_configENS1_25partition_config_selectorILNS1_17partition_subalgoE8EiNS0_10empty_typeEbEEZZNS1_14partition_implILS5_8ELb0ES3_jPKiPS6_PKS6_NS0_5tupleIJPiS6_EEENSE_IJSB_SB_EEENS0_18inequality_wrapperIN6hipcub16HIPCUB_304000_NS8EqualityEEEPlJS6_EEE10hipError_tPvRmT3_T4_T5_T6_T7_T9_mT8_P12ihipStream_tbDpT10_ENKUlT_T0_E_clISt17integral_constantIbLb1EES16_IbLb0EEEEDaS12_S13_EUlS12_E_NS1_11comp_targetILNS1_3genE3ELNS1_11target_archE908ELNS1_3gpuE7ELNS1_3repE0EEENS1_30default_config_static_selectorELNS0_4arch9wavefront6targetE1EEEvT1_,"axG",@progbits,_ZN7rocprim17ROCPRIM_400000_NS6detail17trampoline_kernelINS0_14default_configENS1_25partition_config_selectorILNS1_17partition_subalgoE8EiNS0_10empty_typeEbEEZZNS1_14partition_implILS5_8ELb0ES3_jPKiPS6_PKS6_NS0_5tupleIJPiS6_EEENSE_IJSB_SB_EEENS0_18inequality_wrapperIN6hipcub16HIPCUB_304000_NS8EqualityEEEPlJS6_EEE10hipError_tPvRmT3_T4_T5_T6_T7_T9_mT8_P12ihipStream_tbDpT10_ENKUlT_T0_E_clISt17integral_constantIbLb1EES16_IbLb0EEEEDaS12_S13_EUlS12_E_NS1_11comp_targetILNS1_3genE3ELNS1_11target_archE908ELNS1_3gpuE7ELNS1_3repE0EEENS1_30default_config_static_selectorELNS0_4arch9wavefront6targetE1EEEvT1_,comdat
	.protected	_ZN7rocprim17ROCPRIM_400000_NS6detail17trampoline_kernelINS0_14default_configENS1_25partition_config_selectorILNS1_17partition_subalgoE8EiNS0_10empty_typeEbEEZZNS1_14partition_implILS5_8ELb0ES3_jPKiPS6_PKS6_NS0_5tupleIJPiS6_EEENSE_IJSB_SB_EEENS0_18inequality_wrapperIN6hipcub16HIPCUB_304000_NS8EqualityEEEPlJS6_EEE10hipError_tPvRmT3_T4_T5_T6_T7_T9_mT8_P12ihipStream_tbDpT10_ENKUlT_T0_E_clISt17integral_constantIbLb1EES16_IbLb0EEEEDaS12_S13_EUlS12_E_NS1_11comp_targetILNS1_3genE3ELNS1_11target_archE908ELNS1_3gpuE7ELNS1_3repE0EEENS1_30default_config_static_selectorELNS0_4arch9wavefront6targetE1EEEvT1_ ; -- Begin function _ZN7rocprim17ROCPRIM_400000_NS6detail17trampoline_kernelINS0_14default_configENS1_25partition_config_selectorILNS1_17partition_subalgoE8EiNS0_10empty_typeEbEEZZNS1_14partition_implILS5_8ELb0ES3_jPKiPS6_PKS6_NS0_5tupleIJPiS6_EEENSE_IJSB_SB_EEENS0_18inequality_wrapperIN6hipcub16HIPCUB_304000_NS8EqualityEEEPlJS6_EEE10hipError_tPvRmT3_T4_T5_T6_T7_T9_mT8_P12ihipStream_tbDpT10_ENKUlT_T0_E_clISt17integral_constantIbLb1EES16_IbLb0EEEEDaS12_S13_EUlS12_E_NS1_11comp_targetILNS1_3genE3ELNS1_11target_archE908ELNS1_3gpuE7ELNS1_3repE0EEENS1_30default_config_static_selectorELNS0_4arch9wavefront6targetE1EEEvT1_
	.globl	_ZN7rocprim17ROCPRIM_400000_NS6detail17trampoline_kernelINS0_14default_configENS1_25partition_config_selectorILNS1_17partition_subalgoE8EiNS0_10empty_typeEbEEZZNS1_14partition_implILS5_8ELb0ES3_jPKiPS6_PKS6_NS0_5tupleIJPiS6_EEENSE_IJSB_SB_EEENS0_18inequality_wrapperIN6hipcub16HIPCUB_304000_NS8EqualityEEEPlJS6_EEE10hipError_tPvRmT3_T4_T5_T6_T7_T9_mT8_P12ihipStream_tbDpT10_ENKUlT_T0_E_clISt17integral_constantIbLb1EES16_IbLb0EEEEDaS12_S13_EUlS12_E_NS1_11comp_targetILNS1_3genE3ELNS1_11target_archE908ELNS1_3gpuE7ELNS1_3repE0EEENS1_30default_config_static_selectorELNS0_4arch9wavefront6targetE1EEEvT1_
	.p2align	8
	.type	_ZN7rocprim17ROCPRIM_400000_NS6detail17trampoline_kernelINS0_14default_configENS1_25partition_config_selectorILNS1_17partition_subalgoE8EiNS0_10empty_typeEbEEZZNS1_14partition_implILS5_8ELb0ES3_jPKiPS6_PKS6_NS0_5tupleIJPiS6_EEENSE_IJSB_SB_EEENS0_18inequality_wrapperIN6hipcub16HIPCUB_304000_NS8EqualityEEEPlJS6_EEE10hipError_tPvRmT3_T4_T5_T6_T7_T9_mT8_P12ihipStream_tbDpT10_ENKUlT_T0_E_clISt17integral_constantIbLb1EES16_IbLb0EEEEDaS12_S13_EUlS12_E_NS1_11comp_targetILNS1_3genE3ELNS1_11target_archE908ELNS1_3gpuE7ELNS1_3repE0EEENS1_30default_config_static_selectorELNS0_4arch9wavefront6targetE1EEEvT1_,@function
_ZN7rocprim17ROCPRIM_400000_NS6detail17trampoline_kernelINS0_14default_configENS1_25partition_config_selectorILNS1_17partition_subalgoE8EiNS0_10empty_typeEbEEZZNS1_14partition_implILS5_8ELb0ES3_jPKiPS6_PKS6_NS0_5tupleIJPiS6_EEENSE_IJSB_SB_EEENS0_18inequality_wrapperIN6hipcub16HIPCUB_304000_NS8EqualityEEEPlJS6_EEE10hipError_tPvRmT3_T4_T5_T6_T7_T9_mT8_P12ihipStream_tbDpT10_ENKUlT_T0_E_clISt17integral_constantIbLb1EES16_IbLb0EEEEDaS12_S13_EUlS12_E_NS1_11comp_targetILNS1_3genE3ELNS1_11target_archE908ELNS1_3gpuE7ELNS1_3repE0EEENS1_30default_config_static_selectorELNS0_4arch9wavefront6targetE1EEEvT1_: ; @_ZN7rocprim17ROCPRIM_400000_NS6detail17trampoline_kernelINS0_14default_configENS1_25partition_config_selectorILNS1_17partition_subalgoE8EiNS0_10empty_typeEbEEZZNS1_14partition_implILS5_8ELb0ES3_jPKiPS6_PKS6_NS0_5tupleIJPiS6_EEENSE_IJSB_SB_EEENS0_18inequality_wrapperIN6hipcub16HIPCUB_304000_NS8EqualityEEEPlJS6_EEE10hipError_tPvRmT3_T4_T5_T6_T7_T9_mT8_P12ihipStream_tbDpT10_ENKUlT_T0_E_clISt17integral_constantIbLb1EES16_IbLb0EEEEDaS12_S13_EUlS12_E_NS1_11comp_targetILNS1_3genE3ELNS1_11target_archE908ELNS1_3gpuE7ELNS1_3repE0EEENS1_30default_config_static_selectorELNS0_4arch9wavefront6targetE1EEEvT1_
; %bb.0:
	.section	.rodata,"a",@progbits
	.p2align	6, 0x0
	.amdhsa_kernel _ZN7rocprim17ROCPRIM_400000_NS6detail17trampoline_kernelINS0_14default_configENS1_25partition_config_selectorILNS1_17partition_subalgoE8EiNS0_10empty_typeEbEEZZNS1_14partition_implILS5_8ELb0ES3_jPKiPS6_PKS6_NS0_5tupleIJPiS6_EEENSE_IJSB_SB_EEENS0_18inequality_wrapperIN6hipcub16HIPCUB_304000_NS8EqualityEEEPlJS6_EEE10hipError_tPvRmT3_T4_T5_T6_T7_T9_mT8_P12ihipStream_tbDpT10_ENKUlT_T0_E_clISt17integral_constantIbLb1EES16_IbLb0EEEEDaS12_S13_EUlS12_E_NS1_11comp_targetILNS1_3genE3ELNS1_11target_archE908ELNS1_3gpuE7ELNS1_3repE0EEENS1_30default_config_static_selectorELNS0_4arch9wavefront6targetE1EEEvT1_
		.amdhsa_group_segment_fixed_size 0
		.amdhsa_private_segment_fixed_size 0
		.amdhsa_kernarg_size 112
		.amdhsa_user_sgpr_count 2
		.amdhsa_user_sgpr_dispatch_ptr 0
		.amdhsa_user_sgpr_queue_ptr 0
		.amdhsa_user_sgpr_kernarg_segment_ptr 1
		.amdhsa_user_sgpr_dispatch_id 0
		.amdhsa_user_sgpr_kernarg_preload_length 0
		.amdhsa_user_sgpr_kernarg_preload_offset 0
		.amdhsa_user_sgpr_private_segment_size 0
		.amdhsa_uses_dynamic_stack 0
		.amdhsa_enable_private_segment 0
		.amdhsa_system_sgpr_workgroup_id_x 1
		.amdhsa_system_sgpr_workgroup_id_y 0
		.amdhsa_system_sgpr_workgroup_id_z 0
		.amdhsa_system_sgpr_workgroup_info 0
		.amdhsa_system_vgpr_workitem_id 0
		.amdhsa_next_free_vgpr 1
		.amdhsa_next_free_sgpr 0
		.amdhsa_accum_offset 4
		.amdhsa_reserve_vcc 0
		.amdhsa_float_round_mode_32 0
		.amdhsa_float_round_mode_16_64 0
		.amdhsa_float_denorm_mode_32 3
		.amdhsa_float_denorm_mode_16_64 3
		.amdhsa_dx10_clamp 1
		.amdhsa_ieee_mode 1
		.amdhsa_fp16_overflow 0
		.amdhsa_tg_split 0
		.amdhsa_exception_fp_ieee_invalid_op 0
		.amdhsa_exception_fp_denorm_src 0
		.amdhsa_exception_fp_ieee_div_zero 0
		.amdhsa_exception_fp_ieee_overflow 0
		.amdhsa_exception_fp_ieee_underflow 0
		.amdhsa_exception_fp_ieee_inexact 0
		.amdhsa_exception_int_div_zero 0
	.end_amdhsa_kernel
	.section	.text._ZN7rocprim17ROCPRIM_400000_NS6detail17trampoline_kernelINS0_14default_configENS1_25partition_config_selectorILNS1_17partition_subalgoE8EiNS0_10empty_typeEbEEZZNS1_14partition_implILS5_8ELb0ES3_jPKiPS6_PKS6_NS0_5tupleIJPiS6_EEENSE_IJSB_SB_EEENS0_18inequality_wrapperIN6hipcub16HIPCUB_304000_NS8EqualityEEEPlJS6_EEE10hipError_tPvRmT3_T4_T5_T6_T7_T9_mT8_P12ihipStream_tbDpT10_ENKUlT_T0_E_clISt17integral_constantIbLb1EES16_IbLb0EEEEDaS12_S13_EUlS12_E_NS1_11comp_targetILNS1_3genE3ELNS1_11target_archE908ELNS1_3gpuE7ELNS1_3repE0EEENS1_30default_config_static_selectorELNS0_4arch9wavefront6targetE1EEEvT1_,"axG",@progbits,_ZN7rocprim17ROCPRIM_400000_NS6detail17trampoline_kernelINS0_14default_configENS1_25partition_config_selectorILNS1_17partition_subalgoE8EiNS0_10empty_typeEbEEZZNS1_14partition_implILS5_8ELb0ES3_jPKiPS6_PKS6_NS0_5tupleIJPiS6_EEENSE_IJSB_SB_EEENS0_18inequality_wrapperIN6hipcub16HIPCUB_304000_NS8EqualityEEEPlJS6_EEE10hipError_tPvRmT3_T4_T5_T6_T7_T9_mT8_P12ihipStream_tbDpT10_ENKUlT_T0_E_clISt17integral_constantIbLb1EES16_IbLb0EEEEDaS12_S13_EUlS12_E_NS1_11comp_targetILNS1_3genE3ELNS1_11target_archE908ELNS1_3gpuE7ELNS1_3repE0EEENS1_30default_config_static_selectorELNS0_4arch9wavefront6targetE1EEEvT1_,comdat
.Lfunc_end207:
	.size	_ZN7rocprim17ROCPRIM_400000_NS6detail17trampoline_kernelINS0_14default_configENS1_25partition_config_selectorILNS1_17partition_subalgoE8EiNS0_10empty_typeEbEEZZNS1_14partition_implILS5_8ELb0ES3_jPKiPS6_PKS6_NS0_5tupleIJPiS6_EEENSE_IJSB_SB_EEENS0_18inequality_wrapperIN6hipcub16HIPCUB_304000_NS8EqualityEEEPlJS6_EEE10hipError_tPvRmT3_T4_T5_T6_T7_T9_mT8_P12ihipStream_tbDpT10_ENKUlT_T0_E_clISt17integral_constantIbLb1EES16_IbLb0EEEEDaS12_S13_EUlS12_E_NS1_11comp_targetILNS1_3genE3ELNS1_11target_archE908ELNS1_3gpuE7ELNS1_3repE0EEENS1_30default_config_static_selectorELNS0_4arch9wavefront6targetE1EEEvT1_, .Lfunc_end207-_ZN7rocprim17ROCPRIM_400000_NS6detail17trampoline_kernelINS0_14default_configENS1_25partition_config_selectorILNS1_17partition_subalgoE8EiNS0_10empty_typeEbEEZZNS1_14partition_implILS5_8ELb0ES3_jPKiPS6_PKS6_NS0_5tupleIJPiS6_EEENSE_IJSB_SB_EEENS0_18inequality_wrapperIN6hipcub16HIPCUB_304000_NS8EqualityEEEPlJS6_EEE10hipError_tPvRmT3_T4_T5_T6_T7_T9_mT8_P12ihipStream_tbDpT10_ENKUlT_T0_E_clISt17integral_constantIbLb1EES16_IbLb0EEEEDaS12_S13_EUlS12_E_NS1_11comp_targetILNS1_3genE3ELNS1_11target_archE908ELNS1_3gpuE7ELNS1_3repE0EEENS1_30default_config_static_selectorELNS0_4arch9wavefront6targetE1EEEvT1_
                                        ; -- End function
	.section	.AMDGPU.csdata,"",@progbits
; Kernel info:
; codeLenInByte = 0
; NumSgprs: 6
; NumVgprs: 0
; NumAgprs: 0
; TotalNumVgprs: 0
; ScratchSize: 0
; MemoryBound: 0
; FloatMode: 240
; IeeeMode: 1
; LDSByteSize: 0 bytes/workgroup (compile time only)
; SGPRBlocks: 0
; VGPRBlocks: 0
; NumSGPRsForWavesPerEU: 6
; NumVGPRsForWavesPerEU: 1
; AccumOffset: 4
; Occupancy: 8
; WaveLimiterHint : 0
; COMPUTE_PGM_RSRC2:SCRATCH_EN: 0
; COMPUTE_PGM_RSRC2:USER_SGPR: 2
; COMPUTE_PGM_RSRC2:TRAP_HANDLER: 0
; COMPUTE_PGM_RSRC2:TGID_X_EN: 1
; COMPUTE_PGM_RSRC2:TGID_Y_EN: 0
; COMPUTE_PGM_RSRC2:TGID_Z_EN: 0
; COMPUTE_PGM_RSRC2:TIDIG_COMP_CNT: 0
; COMPUTE_PGM_RSRC3_GFX90A:ACCUM_OFFSET: 0
; COMPUTE_PGM_RSRC3_GFX90A:TG_SPLIT: 0
	.section	.text._ZN7rocprim17ROCPRIM_400000_NS6detail17trampoline_kernelINS0_14default_configENS1_25partition_config_selectorILNS1_17partition_subalgoE8EiNS0_10empty_typeEbEEZZNS1_14partition_implILS5_8ELb0ES3_jPKiPS6_PKS6_NS0_5tupleIJPiS6_EEENSE_IJSB_SB_EEENS0_18inequality_wrapperIN6hipcub16HIPCUB_304000_NS8EqualityEEEPlJS6_EEE10hipError_tPvRmT3_T4_T5_T6_T7_T9_mT8_P12ihipStream_tbDpT10_ENKUlT_T0_E_clISt17integral_constantIbLb1EES16_IbLb0EEEEDaS12_S13_EUlS12_E_NS1_11comp_targetILNS1_3genE2ELNS1_11target_archE906ELNS1_3gpuE6ELNS1_3repE0EEENS1_30default_config_static_selectorELNS0_4arch9wavefront6targetE1EEEvT1_,"axG",@progbits,_ZN7rocprim17ROCPRIM_400000_NS6detail17trampoline_kernelINS0_14default_configENS1_25partition_config_selectorILNS1_17partition_subalgoE8EiNS0_10empty_typeEbEEZZNS1_14partition_implILS5_8ELb0ES3_jPKiPS6_PKS6_NS0_5tupleIJPiS6_EEENSE_IJSB_SB_EEENS0_18inequality_wrapperIN6hipcub16HIPCUB_304000_NS8EqualityEEEPlJS6_EEE10hipError_tPvRmT3_T4_T5_T6_T7_T9_mT8_P12ihipStream_tbDpT10_ENKUlT_T0_E_clISt17integral_constantIbLb1EES16_IbLb0EEEEDaS12_S13_EUlS12_E_NS1_11comp_targetILNS1_3genE2ELNS1_11target_archE906ELNS1_3gpuE6ELNS1_3repE0EEENS1_30default_config_static_selectorELNS0_4arch9wavefront6targetE1EEEvT1_,comdat
	.protected	_ZN7rocprim17ROCPRIM_400000_NS6detail17trampoline_kernelINS0_14default_configENS1_25partition_config_selectorILNS1_17partition_subalgoE8EiNS0_10empty_typeEbEEZZNS1_14partition_implILS5_8ELb0ES3_jPKiPS6_PKS6_NS0_5tupleIJPiS6_EEENSE_IJSB_SB_EEENS0_18inequality_wrapperIN6hipcub16HIPCUB_304000_NS8EqualityEEEPlJS6_EEE10hipError_tPvRmT3_T4_T5_T6_T7_T9_mT8_P12ihipStream_tbDpT10_ENKUlT_T0_E_clISt17integral_constantIbLb1EES16_IbLb0EEEEDaS12_S13_EUlS12_E_NS1_11comp_targetILNS1_3genE2ELNS1_11target_archE906ELNS1_3gpuE6ELNS1_3repE0EEENS1_30default_config_static_selectorELNS0_4arch9wavefront6targetE1EEEvT1_ ; -- Begin function _ZN7rocprim17ROCPRIM_400000_NS6detail17trampoline_kernelINS0_14default_configENS1_25partition_config_selectorILNS1_17partition_subalgoE8EiNS0_10empty_typeEbEEZZNS1_14partition_implILS5_8ELb0ES3_jPKiPS6_PKS6_NS0_5tupleIJPiS6_EEENSE_IJSB_SB_EEENS0_18inequality_wrapperIN6hipcub16HIPCUB_304000_NS8EqualityEEEPlJS6_EEE10hipError_tPvRmT3_T4_T5_T6_T7_T9_mT8_P12ihipStream_tbDpT10_ENKUlT_T0_E_clISt17integral_constantIbLb1EES16_IbLb0EEEEDaS12_S13_EUlS12_E_NS1_11comp_targetILNS1_3genE2ELNS1_11target_archE906ELNS1_3gpuE6ELNS1_3repE0EEENS1_30default_config_static_selectorELNS0_4arch9wavefront6targetE1EEEvT1_
	.globl	_ZN7rocprim17ROCPRIM_400000_NS6detail17trampoline_kernelINS0_14default_configENS1_25partition_config_selectorILNS1_17partition_subalgoE8EiNS0_10empty_typeEbEEZZNS1_14partition_implILS5_8ELb0ES3_jPKiPS6_PKS6_NS0_5tupleIJPiS6_EEENSE_IJSB_SB_EEENS0_18inequality_wrapperIN6hipcub16HIPCUB_304000_NS8EqualityEEEPlJS6_EEE10hipError_tPvRmT3_T4_T5_T6_T7_T9_mT8_P12ihipStream_tbDpT10_ENKUlT_T0_E_clISt17integral_constantIbLb1EES16_IbLb0EEEEDaS12_S13_EUlS12_E_NS1_11comp_targetILNS1_3genE2ELNS1_11target_archE906ELNS1_3gpuE6ELNS1_3repE0EEENS1_30default_config_static_selectorELNS0_4arch9wavefront6targetE1EEEvT1_
	.p2align	8
	.type	_ZN7rocprim17ROCPRIM_400000_NS6detail17trampoline_kernelINS0_14default_configENS1_25partition_config_selectorILNS1_17partition_subalgoE8EiNS0_10empty_typeEbEEZZNS1_14partition_implILS5_8ELb0ES3_jPKiPS6_PKS6_NS0_5tupleIJPiS6_EEENSE_IJSB_SB_EEENS0_18inequality_wrapperIN6hipcub16HIPCUB_304000_NS8EqualityEEEPlJS6_EEE10hipError_tPvRmT3_T4_T5_T6_T7_T9_mT8_P12ihipStream_tbDpT10_ENKUlT_T0_E_clISt17integral_constantIbLb1EES16_IbLb0EEEEDaS12_S13_EUlS12_E_NS1_11comp_targetILNS1_3genE2ELNS1_11target_archE906ELNS1_3gpuE6ELNS1_3repE0EEENS1_30default_config_static_selectorELNS0_4arch9wavefront6targetE1EEEvT1_,@function
_ZN7rocprim17ROCPRIM_400000_NS6detail17trampoline_kernelINS0_14default_configENS1_25partition_config_selectorILNS1_17partition_subalgoE8EiNS0_10empty_typeEbEEZZNS1_14partition_implILS5_8ELb0ES3_jPKiPS6_PKS6_NS0_5tupleIJPiS6_EEENSE_IJSB_SB_EEENS0_18inequality_wrapperIN6hipcub16HIPCUB_304000_NS8EqualityEEEPlJS6_EEE10hipError_tPvRmT3_T4_T5_T6_T7_T9_mT8_P12ihipStream_tbDpT10_ENKUlT_T0_E_clISt17integral_constantIbLb1EES16_IbLb0EEEEDaS12_S13_EUlS12_E_NS1_11comp_targetILNS1_3genE2ELNS1_11target_archE906ELNS1_3gpuE6ELNS1_3repE0EEENS1_30default_config_static_selectorELNS0_4arch9wavefront6targetE1EEEvT1_: ; @_ZN7rocprim17ROCPRIM_400000_NS6detail17trampoline_kernelINS0_14default_configENS1_25partition_config_selectorILNS1_17partition_subalgoE8EiNS0_10empty_typeEbEEZZNS1_14partition_implILS5_8ELb0ES3_jPKiPS6_PKS6_NS0_5tupleIJPiS6_EEENSE_IJSB_SB_EEENS0_18inequality_wrapperIN6hipcub16HIPCUB_304000_NS8EqualityEEEPlJS6_EEE10hipError_tPvRmT3_T4_T5_T6_T7_T9_mT8_P12ihipStream_tbDpT10_ENKUlT_T0_E_clISt17integral_constantIbLb1EES16_IbLb0EEEEDaS12_S13_EUlS12_E_NS1_11comp_targetILNS1_3genE2ELNS1_11target_archE906ELNS1_3gpuE6ELNS1_3repE0EEENS1_30default_config_static_selectorELNS0_4arch9wavefront6targetE1EEEvT1_
; %bb.0:
	.section	.rodata,"a",@progbits
	.p2align	6, 0x0
	.amdhsa_kernel _ZN7rocprim17ROCPRIM_400000_NS6detail17trampoline_kernelINS0_14default_configENS1_25partition_config_selectorILNS1_17partition_subalgoE8EiNS0_10empty_typeEbEEZZNS1_14partition_implILS5_8ELb0ES3_jPKiPS6_PKS6_NS0_5tupleIJPiS6_EEENSE_IJSB_SB_EEENS0_18inequality_wrapperIN6hipcub16HIPCUB_304000_NS8EqualityEEEPlJS6_EEE10hipError_tPvRmT3_T4_T5_T6_T7_T9_mT8_P12ihipStream_tbDpT10_ENKUlT_T0_E_clISt17integral_constantIbLb1EES16_IbLb0EEEEDaS12_S13_EUlS12_E_NS1_11comp_targetILNS1_3genE2ELNS1_11target_archE906ELNS1_3gpuE6ELNS1_3repE0EEENS1_30default_config_static_selectorELNS0_4arch9wavefront6targetE1EEEvT1_
		.amdhsa_group_segment_fixed_size 0
		.amdhsa_private_segment_fixed_size 0
		.amdhsa_kernarg_size 112
		.amdhsa_user_sgpr_count 2
		.amdhsa_user_sgpr_dispatch_ptr 0
		.amdhsa_user_sgpr_queue_ptr 0
		.amdhsa_user_sgpr_kernarg_segment_ptr 1
		.amdhsa_user_sgpr_dispatch_id 0
		.amdhsa_user_sgpr_kernarg_preload_length 0
		.amdhsa_user_sgpr_kernarg_preload_offset 0
		.amdhsa_user_sgpr_private_segment_size 0
		.amdhsa_uses_dynamic_stack 0
		.amdhsa_enable_private_segment 0
		.amdhsa_system_sgpr_workgroup_id_x 1
		.amdhsa_system_sgpr_workgroup_id_y 0
		.amdhsa_system_sgpr_workgroup_id_z 0
		.amdhsa_system_sgpr_workgroup_info 0
		.amdhsa_system_vgpr_workitem_id 0
		.amdhsa_next_free_vgpr 1
		.amdhsa_next_free_sgpr 0
		.amdhsa_accum_offset 4
		.amdhsa_reserve_vcc 0
		.amdhsa_float_round_mode_32 0
		.amdhsa_float_round_mode_16_64 0
		.amdhsa_float_denorm_mode_32 3
		.amdhsa_float_denorm_mode_16_64 3
		.amdhsa_dx10_clamp 1
		.amdhsa_ieee_mode 1
		.amdhsa_fp16_overflow 0
		.amdhsa_tg_split 0
		.amdhsa_exception_fp_ieee_invalid_op 0
		.amdhsa_exception_fp_denorm_src 0
		.amdhsa_exception_fp_ieee_div_zero 0
		.amdhsa_exception_fp_ieee_overflow 0
		.amdhsa_exception_fp_ieee_underflow 0
		.amdhsa_exception_fp_ieee_inexact 0
		.amdhsa_exception_int_div_zero 0
	.end_amdhsa_kernel
	.section	.text._ZN7rocprim17ROCPRIM_400000_NS6detail17trampoline_kernelINS0_14default_configENS1_25partition_config_selectorILNS1_17partition_subalgoE8EiNS0_10empty_typeEbEEZZNS1_14partition_implILS5_8ELb0ES3_jPKiPS6_PKS6_NS0_5tupleIJPiS6_EEENSE_IJSB_SB_EEENS0_18inequality_wrapperIN6hipcub16HIPCUB_304000_NS8EqualityEEEPlJS6_EEE10hipError_tPvRmT3_T4_T5_T6_T7_T9_mT8_P12ihipStream_tbDpT10_ENKUlT_T0_E_clISt17integral_constantIbLb1EES16_IbLb0EEEEDaS12_S13_EUlS12_E_NS1_11comp_targetILNS1_3genE2ELNS1_11target_archE906ELNS1_3gpuE6ELNS1_3repE0EEENS1_30default_config_static_selectorELNS0_4arch9wavefront6targetE1EEEvT1_,"axG",@progbits,_ZN7rocprim17ROCPRIM_400000_NS6detail17trampoline_kernelINS0_14default_configENS1_25partition_config_selectorILNS1_17partition_subalgoE8EiNS0_10empty_typeEbEEZZNS1_14partition_implILS5_8ELb0ES3_jPKiPS6_PKS6_NS0_5tupleIJPiS6_EEENSE_IJSB_SB_EEENS0_18inequality_wrapperIN6hipcub16HIPCUB_304000_NS8EqualityEEEPlJS6_EEE10hipError_tPvRmT3_T4_T5_T6_T7_T9_mT8_P12ihipStream_tbDpT10_ENKUlT_T0_E_clISt17integral_constantIbLb1EES16_IbLb0EEEEDaS12_S13_EUlS12_E_NS1_11comp_targetILNS1_3genE2ELNS1_11target_archE906ELNS1_3gpuE6ELNS1_3repE0EEENS1_30default_config_static_selectorELNS0_4arch9wavefront6targetE1EEEvT1_,comdat
.Lfunc_end208:
	.size	_ZN7rocprim17ROCPRIM_400000_NS6detail17trampoline_kernelINS0_14default_configENS1_25partition_config_selectorILNS1_17partition_subalgoE8EiNS0_10empty_typeEbEEZZNS1_14partition_implILS5_8ELb0ES3_jPKiPS6_PKS6_NS0_5tupleIJPiS6_EEENSE_IJSB_SB_EEENS0_18inequality_wrapperIN6hipcub16HIPCUB_304000_NS8EqualityEEEPlJS6_EEE10hipError_tPvRmT3_T4_T5_T6_T7_T9_mT8_P12ihipStream_tbDpT10_ENKUlT_T0_E_clISt17integral_constantIbLb1EES16_IbLb0EEEEDaS12_S13_EUlS12_E_NS1_11comp_targetILNS1_3genE2ELNS1_11target_archE906ELNS1_3gpuE6ELNS1_3repE0EEENS1_30default_config_static_selectorELNS0_4arch9wavefront6targetE1EEEvT1_, .Lfunc_end208-_ZN7rocprim17ROCPRIM_400000_NS6detail17trampoline_kernelINS0_14default_configENS1_25partition_config_selectorILNS1_17partition_subalgoE8EiNS0_10empty_typeEbEEZZNS1_14partition_implILS5_8ELb0ES3_jPKiPS6_PKS6_NS0_5tupleIJPiS6_EEENSE_IJSB_SB_EEENS0_18inequality_wrapperIN6hipcub16HIPCUB_304000_NS8EqualityEEEPlJS6_EEE10hipError_tPvRmT3_T4_T5_T6_T7_T9_mT8_P12ihipStream_tbDpT10_ENKUlT_T0_E_clISt17integral_constantIbLb1EES16_IbLb0EEEEDaS12_S13_EUlS12_E_NS1_11comp_targetILNS1_3genE2ELNS1_11target_archE906ELNS1_3gpuE6ELNS1_3repE0EEENS1_30default_config_static_selectorELNS0_4arch9wavefront6targetE1EEEvT1_
                                        ; -- End function
	.section	.AMDGPU.csdata,"",@progbits
; Kernel info:
; codeLenInByte = 0
; NumSgprs: 6
; NumVgprs: 0
; NumAgprs: 0
; TotalNumVgprs: 0
; ScratchSize: 0
; MemoryBound: 0
; FloatMode: 240
; IeeeMode: 1
; LDSByteSize: 0 bytes/workgroup (compile time only)
; SGPRBlocks: 0
; VGPRBlocks: 0
; NumSGPRsForWavesPerEU: 6
; NumVGPRsForWavesPerEU: 1
; AccumOffset: 4
; Occupancy: 8
; WaveLimiterHint : 0
; COMPUTE_PGM_RSRC2:SCRATCH_EN: 0
; COMPUTE_PGM_RSRC2:USER_SGPR: 2
; COMPUTE_PGM_RSRC2:TRAP_HANDLER: 0
; COMPUTE_PGM_RSRC2:TGID_X_EN: 1
; COMPUTE_PGM_RSRC2:TGID_Y_EN: 0
; COMPUTE_PGM_RSRC2:TGID_Z_EN: 0
; COMPUTE_PGM_RSRC2:TIDIG_COMP_CNT: 0
; COMPUTE_PGM_RSRC3_GFX90A:ACCUM_OFFSET: 0
; COMPUTE_PGM_RSRC3_GFX90A:TG_SPLIT: 0
	.section	.text._ZN7rocprim17ROCPRIM_400000_NS6detail17trampoline_kernelINS0_14default_configENS1_25partition_config_selectorILNS1_17partition_subalgoE8EiNS0_10empty_typeEbEEZZNS1_14partition_implILS5_8ELb0ES3_jPKiPS6_PKS6_NS0_5tupleIJPiS6_EEENSE_IJSB_SB_EEENS0_18inequality_wrapperIN6hipcub16HIPCUB_304000_NS8EqualityEEEPlJS6_EEE10hipError_tPvRmT3_T4_T5_T6_T7_T9_mT8_P12ihipStream_tbDpT10_ENKUlT_T0_E_clISt17integral_constantIbLb1EES16_IbLb0EEEEDaS12_S13_EUlS12_E_NS1_11comp_targetILNS1_3genE10ELNS1_11target_archE1200ELNS1_3gpuE4ELNS1_3repE0EEENS1_30default_config_static_selectorELNS0_4arch9wavefront6targetE1EEEvT1_,"axG",@progbits,_ZN7rocprim17ROCPRIM_400000_NS6detail17trampoline_kernelINS0_14default_configENS1_25partition_config_selectorILNS1_17partition_subalgoE8EiNS0_10empty_typeEbEEZZNS1_14partition_implILS5_8ELb0ES3_jPKiPS6_PKS6_NS0_5tupleIJPiS6_EEENSE_IJSB_SB_EEENS0_18inequality_wrapperIN6hipcub16HIPCUB_304000_NS8EqualityEEEPlJS6_EEE10hipError_tPvRmT3_T4_T5_T6_T7_T9_mT8_P12ihipStream_tbDpT10_ENKUlT_T0_E_clISt17integral_constantIbLb1EES16_IbLb0EEEEDaS12_S13_EUlS12_E_NS1_11comp_targetILNS1_3genE10ELNS1_11target_archE1200ELNS1_3gpuE4ELNS1_3repE0EEENS1_30default_config_static_selectorELNS0_4arch9wavefront6targetE1EEEvT1_,comdat
	.protected	_ZN7rocprim17ROCPRIM_400000_NS6detail17trampoline_kernelINS0_14default_configENS1_25partition_config_selectorILNS1_17partition_subalgoE8EiNS0_10empty_typeEbEEZZNS1_14partition_implILS5_8ELb0ES3_jPKiPS6_PKS6_NS0_5tupleIJPiS6_EEENSE_IJSB_SB_EEENS0_18inequality_wrapperIN6hipcub16HIPCUB_304000_NS8EqualityEEEPlJS6_EEE10hipError_tPvRmT3_T4_T5_T6_T7_T9_mT8_P12ihipStream_tbDpT10_ENKUlT_T0_E_clISt17integral_constantIbLb1EES16_IbLb0EEEEDaS12_S13_EUlS12_E_NS1_11comp_targetILNS1_3genE10ELNS1_11target_archE1200ELNS1_3gpuE4ELNS1_3repE0EEENS1_30default_config_static_selectorELNS0_4arch9wavefront6targetE1EEEvT1_ ; -- Begin function _ZN7rocprim17ROCPRIM_400000_NS6detail17trampoline_kernelINS0_14default_configENS1_25partition_config_selectorILNS1_17partition_subalgoE8EiNS0_10empty_typeEbEEZZNS1_14partition_implILS5_8ELb0ES3_jPKiPS6_PKS6_NS0_5tupleIJPiS6_EEENSE_IJSB_SB_EEENS0_18inequality_wrapperIN6hipcub16HIPCUB_304000_NS8EqualityEEEPlJS6_EEE10hipError_tPvRmT3_T4_T5_T6_T7_T9_mT8_P12ihipStream_tbDpT10_ENKUlT_T0_E_clISt17integral_constantIbLb1EES16_IbLb0EEEEDaS12_S13_EUlS12_E_NS1_11comp_targetILNS1_3genE10ELNS1_11target_archE1200ELNS1_3gpuE4ELNS1_3repE0EEENS1_30default_config_static_selectorELNS0_4arch9wavefront6targetE1EEEvT1_
	.globl	_ZN7rocprim17ROCPRIM_400000_NS6detail17trampoline_kernelINS0_14default_configENS1_25partition_config_selectorILNS1_17partition_subalgoE8EiNS0_10empty_typeEbEEZZNS1_14partition_implILS5_8ELb0ES3_jPKiPS6_PKS6_NS0_5tupleIJPiS6_EEENSE_IJSB_SB_EEENS0_18inequality_wrapperIN6hipcub16HIPCUB_304000_NS8EqualityEEEPlJS6_EEE10hipError_tPvRmT3_T4_T5_T6_T7_T9_mT8_P12ihipStream_tbDpT10_ENKUlT_T0_E_clISt17integral_constantIbLb1EES16_IbLb0EEEEDaS12_S13_EUlS12_E_NS1_11comp_targetILNS1_3genE10ELNS1_11target_archE1200ELNS1_3gpuE4ELNS1_3repE0EEENS1_30default_config_static_selectorELNS0_4arch9wavefront6targetE1EEEvT1_
	.p2align	8
	.type	_ZN7rocprim17ROCPRIM_400000_NS6detail17trampoline_kernelINS0_14default_configENS1_25partition_config_selectorILNS1_17partition_subalgoE8EiNS0_10empty_typeEbEEZZNS1_14partition_implILS5_8ELb0ES3_jPKiPS6_PKS6_NS0_5tupleIJPiS6_EEENSE_IJSB_SB_EEENS0_18inequality_wrapperIN6hipcub16HIPCUB_304000_NS8EqualityEEEPlJS6_EEE10hipError_tPvRmT3_T4_T5_T6_T7_T9_mT8_P12ihipStream_tbDpT10_ENKUlT_T0_E_clISt17integral_constantIbLb1EES16_IbLb0EEEEDaS12_S13_EUlS12_E_NS1_11comp_targetILNS1_3genE10ELNS1_11target_archE1200ELNS1_3gpuE4ELNS1_3repE0EEENS1_30default_config_static_selectorELNS0_4arch9wavefront6targetE1EEEvT1_,@function
_ZN7rocprim17ROCPRIM_400000_NS6detail17trampoline_kernelINS0_14default_configENS1_25partition_config_selectorILNS1_17partition_subalgoE8EiNS0_10empty_typeEbEEZZNS1_14partition_implILS5_8ELb0ES3_jPKiPS6_PKS6_NS0_5tupleIJPiS6_EEENSE_IJSB_SB_EEENS0_18inequality_wrapperIN6hipcub16HIPCUB_304000_NS8EqualityEEEPlJS6_EEE10hipError_tPvRmT3_T4_T5_T6_T7_T9_mT8_P12ihipStream_tbDpT10_ENKUlT_T0_E_clISt17integral_constantIbLb1EES16_IbLb0EEEEDaS12_S13_EUlS12_E_NS1_11comp_targetILNS1_3genE10ELNS1_11target_archE1200ELNS1_3gpuE4ELNS1_3repE0EEENS1_30default_config_static_selectorELNS0_4arch9wavefront6targetE1EEEvT1_: ; @_ZN7rocprim17ROCPRIM_400000_NS6detail17trampoline_kernelINS0_14default_configENS1_25partition_config_selectorILNS1_17partition_subalgoE8EiNS0_10empty_typeEbEEZZNS1_14partition_implILS5_8ELb0ES3_jPKiPS6_PKS6_NS0_5tupleIJPiS6_EEENSE_IJSB_SB_EEENS0_18inequality_wrapperIN6hipcub16HIPCUB_304000_NS8EqualityEEEPlJS6_EEE10hipError_tPvRmT3_T4_T5_T6_T7_T9_mT8_P12ihipStream_tbDpT10_ENKUlT_T0_E_clISt17integral_constantIbLb1EES16_IbLb0EEEEDaS12_S13_EUlS12_E_NS1_11comp_targetILNS1_3genE10ELNS1_11target_archE1200ELNS1_3gpuE4ELNS1_3repE0EEENS1_30default_config_static_selectorELNS0_4arch9wavefront6targetE1EEEvT1_
; %bb.0:
	.section	.rodata,"a",@progbits
	.p2align	6, 0x0
	.amdhsa_kernel _ZN7rocprim17ROCPRIM_400000_NS6detail17trampoline_kernelINS0_14default_configENS1_25partition_config_selectorILNS1_17partition_subalgoE8EiNS0_10empty_typeEbEEZZNS1_14partition_implILS5_8ELb0ES3_jPKiPS6_PKS6_NS0_5tupleIJPiS6_EEENSE_IJSB_SB_EEENS0_18inequality_wrapperIN6hipcub16HIPCUB_304000_NS8EqualityEEEPlJS6_EEE10hipError_tPvRmT3_T4_T5_T6_T7_T9_mT8_P12ihipStream_tbDpT10_ENKUlT_T0_E_clISt17integral_constantIbLb1EES16_IbLb0EEEEDaS12_S13_EUlS12_E_NS1_11comp_targetILNS1_3genE10ELNS1_11target_archE1200ELNS1_3gpuE4ELNS1_3repE0EEENS1_30default_config_static_selectorELNS0_4arch9wavefront6targetE1EEEvT1_
		.amdhsa_group_segment_fixed_size 0
		.amdhsa_private_segment_fixed_size 0
		.amdhsa_kernarg_size 112
		.amdhsa_user_sgpr_count 2
		.amdhsa_user_sgpr_dispatch_ptr 0
		.amdhsa_user_sgpr_queue_ptr 0
		.amdhsa_user_sgpr_kernarg_segment_ptr 1
		.amdhsa_user_sgpr_dispatch_id 0
		.amdhsa_user_sgpr_kernarg_preload_length 0
		.amdhsa_user_sgpr_kernarg_preload_offset 0
		.amdhsa_user_sgpr_private_segment_size 0
		.amdhsa_uses_dynamic_stack 0
		.amdhsa_enable_private_segment 0
		.amdhsa_system_sgpr_workgroup_id_x 1
		.amdhsa_system_sgpr_workgroup_id_y 0
		.amdhsa_system_sgpr_workgroup_id_z 0
		.amdhsa_system_sgpr_workgroup_info 0
		.amdhsa_system_vgpr_workitem_id 0
		.amdhsa_next_free_vgpr 1
		.amdhsa_next_free_sgpr 0
		.amdhsa_accum_offset 4
		.amdhsa_reserve_vcc 0
		.amdhsa_float_round_mode_32 0
		.amdhsa_float_round_mode_16_64 0
		.amdhsa_float_denorm_mode_32 3
		.amdhsa_float_denorm_mode_16_64 3
		.amdhsa_dx10_clamp 1
		.amdhsa_ieee_mode 1
		.amdhsa_fp16_overflow 0
		.amdhsa_tg_split 0
		.amdhsa_exception_fp_ieee_invalid_op 0
		.amdhsa_exception_fp_denorm_src 0
		.amdhsa_exception_fp_ieee_div_zero 0
		.amdhsa_exception_fp_ieee_overflow 0
		.amdhsa_exception_fp_ieee_underflow 0
		.amdhsa_exception_fp_ieee_inexact 0
		.amdhsa_exception_int_div_zero 0
	.end_amdhsa_kernel
	.section	.text._ZN7rocprim17ROCPRIM_400000_NS6detail17trampoline_kernelINS0_14default_configENS1_25partition_config_selectorILNS1_17partition_subalgoE8EiNS0_10empty_typeEbEEZZNS1_14partition_implILS5_8ELb0ES3_jPKiPS6_PKS6_NS0_5tupleIJPiS6_EEENSE_IJSB_SB_EEENS0_18inequality_wrapperIN6hipcub16HIPCUB_304000_NS8EqualityEEEPlJS6_EEE10hipError_tPvRmT3_T4_T5_T6_T7_T9_mT8_P12ihipStream_tbDpT10_ENKUlT_T0_E_clISt17integral_constantIbLb1EES16_IbLb0EEEEDaS12_S13_EUlS12_E_NS1_11comp_targetILNS1_3genE10ELNS1_11target_archE1200ELNS1_3gpuE4ELNS1_3repE0EEENS1_30default_config_static_selectorELNS0_4arch9wavefront6targetE1EEEvT1_,"axG",@progbits,_ZN7rocprim17ROCPRIM_400000_NS6detail17trampoline_kernelINS0_14default_configENS1_25partition_config_selectorILNS1_17partition_subalgoE8EiNS0_10empty_typeEbEEZZNS1_14partition_implILS5_8ELb0ES3_jPKiPS6_PKS6_NS0_5tupleIJPiS6_EEENSE_IJSB_SB_EEENS0_18inequality_wrapperIN6hipcub16HIPCUB_304000_NS8EqualityEEEPlJS6_EEE10hipError_tPvRmT3_T4_T5_T6_T7_T9_mT8_P12ihipStream_tbDpT10_ENKUlT_T0_E_clISt17integral_constantIbLb1EES16_IbLb0EEEEDaS12_S13_EUlS12_E_NS1_11comp_targetILNS1_3genE10ELNS1_11target_archE1200ELNS1_3gpuE4ELNS1_3repE0EEENS1_30default_config_static_selectorELNS0_4arch9wavefront6targetE1EEEvT1_,comdat
.Lfunc_end209:
	.size	_ZN7rocprim17ROCPRIM_400000_NS6detail17trampoline_kernelINS0_14default_configENS1_25partition_config_selectorILNS1_17partition_subalgoE8EiNS0_10empty_typeEbEEZZNS1_14partition_implILS5_8ELb0ES3_jPKiPS6_PKS6_NS0_5tupleIJPiS6_EEENSE_IJSB_SB_EEENS0_18inequality_wrapperIN6hipcub16HIPCUB_304000_NS8EqualityEEEPlJS6_EEE10hipError_tPvRmT3_T4_T5_T6_T7_T9_mT8_P12ihipStream_tbDpT10_ENKUlT_T0_E_clISt17integral_constantIbLb1EES16_IbLb0EEEEDaS12_S13_EUlS12_E_NS1_11comp_targetILNS1_3genE10ELNS1_11target_archE1200ELNS1_3gpuE4ELNS1_3repE0EEENS1_30default_config_static_selectorELNS0_4arch9wavefront6targetE1EEEvT1_, .Lfunc_end209-_ZN7rocprim17ROCPRIM_400000_NS6detail17trampoline_kernelINS0_14default_configENS1_25partition_config_selectorILNS1_17partition_subalgoE8EiNS0_10empty_typeEbEEZZNS1_14partition_implILS5_8ELb0ES3_jPKiPS6_PKS6_NS0_5tupleIJPiS6_EEENSE_IJSB_SB_EEENS0_18inequality_wrapperIN6hipcub16HIPCUB_304000_NS8EqualityEEEPlJS6_EEE10hipError_tPvRmT3_T4_T5_T6_T7_T9_mT8_P12ihipStream_tbDpT10_ENKUlT_T0_E_clISt17integral_constantIbLb1EES16_IbLb0EEEEDaS12_S13_EUlS12_E_NS1_11comp_targetILNS1_3genE10ELNS1_11target_archE1200ELNS1_3gpuE4ELNS1_3repE0EEENS1_30default_config_static_selectorELNS0_4arch9wavefront6targetE1EEEvT1_
                                        ; -- End function
	.section	.AMDGPU.csdata,"",@progbits
; Kernel info:
; codeLenInByte = 0
; NumSgprs: 6
; NumVgprs: 0
; NumAgprs: 0
; TotalNumVgprs: 0
; ScratchSize: 0
; MemoryBound: 0
; FloatMode: 240
; IeeeMode: 1
; LDSByteSize: 0 bytes/workgroup (compile time only)
; SGPRBlocks: 0
; VGPRBlocks: 0
; NumSGPRsForWavesPerEU: 6
; NumVGPRsForWavesPerEU: 1
; AccumOffset: 4
; Occupancy: 8
; WaveLimiterHint : 0
; COMPUTE_PGM_RSRC2:SCRATCH_EN: 0
; COMPUTE_PGM_RSRC2:USER_SGPR: 2
; COMPUTE_PGM_RSRC2:TRAP_HANDLER: 0
; COMPUTE_PGM_RSRC2:TGID_X_EN: 1
; COMPUTE_PGM_RSRC2:TGID_Y_EN: 0
; COMPUTE_PGM_RSRC2:TGID_Z_EN: 0
; COMPUTE_PGM_RSRC2:TIDIG_COMP_CNT: 0
; COMPUTE_PGM_RSRC3_GFX90A:ACCUM_OFFSET: 0
; COMPUTE_PGM_RSRC3_GFX90A:TG_SPLIT: 0
	.section	.text._ZN7rocprim17ROCPRIM_400000_NS6detail17trampoline_kernelINS0_14default_configENS1_25partition_config_selectorILNS1_17partition_subalgoE8EiNS0_10empty_typeEbEEZZNS1_14partition_implILS5_8ELb0ES3_jPKiPS6_PKS6_NS0_5tupleIJPiS6_EEENSE_IJSB_SB_EEENS0_18inequality_wrapperIN6hipcub16HIPCUB_304000_NS8EqualityEEEPlJS6_EEE10hipError_tPvRmT3_T4_T5_T6_T7_T9_mT8_P12ihipStream_tbDpT10_ENKUlT_T0_E_clISt17integral_constantIbLb1EES16_IbLb0EEEEDaS12_S13_EUlS12_E_NS1_11comp_targetILNS1_3genE9ELNS1_11target_archE1100ELNS1_3gpuE3ELNS1_3repE0EEENS1_30default_config_static_selectorELNS0_4arch9wavefront6targetE1EEEvT1_,"axG",@progbits,_ZN7rocprim17ROCPRIM_400000_NS6detail17trampoline_kernelINS0_14default_configENS1_25partition_config_selectorILNS1_17partition_subalgoE8EiNS0_10empty_typeEbEEZZNS1_14partition_implILS5_8ELb0ES3_jPKiPS6_PKS6_NS0_5tupleIJPiS6_EEENSE_IJSB_SB_EEENS0_18inequality_wrapperIN6hipcub16HIPCUB_304000_NS8EqualityEEEPlJS6_EEE10hipError_tPvRmT3_T4_T5_T6_T7_T9_mT8_P12ihipStream_tbDpT10_ENKUlT_T0_E_clISt17integral_constantIbLb1EES16_IbLb0EEEEDaS12_S13_EUlS12_E_NS1_11comp_targetILNS1_3genE9ELNS1_11target_archE1100ELNS1_3gpuE3ELNS1_3repE0EEENS1_30default_config_static_selectorELNS0_4arch9wavefront6targetE1EEEvT1_,comdat
	.protected	_ZN7rocprim17ROCPRIM_400000_NS6detail17trampoline_kernelINS0_14default_configENS1_25partition_config_selectorILNS1_17partition_subalgoE8EiNS0_10empty_typeEbEEZZNS1_14partition_implILS5_8ELb0ES3_jPKiPS6_PKS6_NS0_5tupleIJPiS6_EEENSE_IJSB_SB_EEENS0_18inequality_wrapperIN6hipcub16HIPCUB_304000_NS8EqualityEEEPlJS6_EEE10hipError_tPvRmT3_T4_T5_T6_T7_T9_mT8_P12ihipStream_tbDpT10_ENKUlT_T0_E_clISt17integral_constantIbLb1EES16_IbLb0EEEEDaS12_S13_EUlS12_E_NS1_11comp_targetILNS1_3genE9ELNS1_11target_archE1100ELNS1_3gpuE3ELNS1_3repE0EEENS1_30default_config_static_selectorELNS0_4arch9wavefront6targetE1EEEvT1_ ; -- Begin function _ZN7rocprim17ROCPRIM_400000_NS6detail17trampoline_kernelINS0_14default_configENS1_25partition_config_selectorILNS1_17partition_subalgoE8EiNS0_10empty_typeEbEEZZNS1_14partition_implILS5_8ELb0ES3_jPKiPS6_PKS6_NS0_5tupleIJPiS6_EEENSE_IJSB_SB_EEENS0_18inequality_wrapperIN6hipcub16HIPCUB_304000_NS8EqualityEEEPlJS6_EEE10hipError_tPvRmT3_T4_T5_T6_T7_T9_mT8_P12ihipStream_tbDpT10_ENKUlT_T0_E_clISt17integral_constantIbLb1EES16_IbLb0EEEEDaS12_S13_EUlS12_E_NS1_11comp_targetILNS1_3genE9ELNS1_11target_archE1100ELNS1_3gpuE3ELNS1_3repE0EEENS1_30default_config_static_selectorELNS0_4arch9wavefront6targetE1EEEvT1_
	.globl	_ZN7rocprim17ROCPRIM_400000_NS6detail17trampoline_kernelINS0_14default_configENS1_25partition_config_selectorILNS1_17partition_subalgoE8EiNS0_10empty_typeEbEEZZNS1_14partition_implILS5_8ELb0ES3_jPKiPS6_PKS6_NS0_5tupleIJPiS6_EEENSE_IJSB_SB_EEENS0_18inequality_wrapperIN6hipcub16HIPCUB_304000_NS8EqualityEEEPlJS6_EEE10hipError_tPvRmT3_T4_T5_T6_T7_T9_mT8_P12ihipStream_tbDpT10_ENKUlT_T0_E_clISt17integral_constantIbLb1EES16_IbLb0EEEEDaS12_S13_EUlS12_E_NS1_11comp_targetILNS1_3genE9ELNS1_11target_archE1100ELNS1_3gpuE3ELNS1_3repE0EEENS1_30default_config_static_selectorELNS0_4arch9wavefront6targetE1EEEvT1_
	.p2align	8
	.type	_ZN7rocprim17ROCPRIM_400000_NS6detail17trampoline_kernelINS0_14default_configENS1_25partition_config_selectorILNS1_17partition_subalgoE8EiNS0_10empty_typeEbEEZZNS1_14partition_implILS5_8ELb0ES3_jPKiPS6_PKS6_NS0_5tupleIJPiS6_EEENSE_IJSB_SB_EEENS0_18inequality_wrapperIN6hipcub16HIPCUB_304000_NS8EqualityEEEPlJS6_EEE10hipError_tPvRmT3_T4_T5_T6_T7_T9_mT8_P12ihipStream_tbDpT10_ENKUlT_T0_E_clISt17integral_constantIbLb1EES16_IbLb0EEEEDaS12_S13_EUlS12_E_NS1_11comp_targetILNS1_3genE9ELNS1_11target_archE1100ELNS1_3gpuE3ELNS1_3repE0EEENS1_30default_config_static_selectorELNS0_4arch9wavefront6targetE1EEEvT1_,@function
_ZN7rocprim17ROCPRIM_400000_NS6detail17trampoline_kernelINS0_14default_configENS1_25partition_config_selectorILNS1_17partition_subalgoE8EiNS0_10empty_typeEbEEZZNS1_14partition_implILS5_8ELb0ES3_jPKiPS6_PKS6_NS0_5tupleIJPiS6_EEENSE_IJSB_SB_EEENS0_18inequality_wrapperIN6hipcub16HIPCUB_304000_NS8EqualityEEEPlJS6_EEE10hipError_tPvRmT3_T4_T5_T6_T7_T9_mT8_P12ihipStream_tbDpT10_ENKUlT_T0_E_clISt17integral_constantIbLb1EES16_IbLb0EEEEDaS12_S13_EUlS12_E_NS1_11comp_targetILNS1_3genE9ELNS1_11target_archE1100ELNS1_3gpuE3ELNS1_3repE0EEENS1_30default_config_static_selectorELNS0_4arch9wavefront6targetE1EEEvT1_: ; @_ZN7rocprim17ROCPRIM_400000_NS6detail17trampoline_kernelINS0_14default_configENS1_25partition_config_selectorILNS1_17partition_subalgoE8EiNS0_10empty_typeEbEEZZNS1_14partition_implILS5_8ELb0ES3_jPKiPS6_PKS6_NS0_5tupleIJPiS6_EEENSE_IJSB_SB_EEENS0_18inequality_wrapperIN6hipcub16HIPCUB_304000_NS8EqualityEEEPlJS6_EEE10hipError_tPvRmT3_T4_T5_T6_T7_T9_mT8_P12ihipStream_tbDpT10_ENKUlT_T0_E_clISt17integral_constantIbLb1EES16_IbLb0EEEEDaS12_S13_EUlS12_E_NS1_11comp_targetILNS1_3genE9ELNS1_11target_archE1100ELNS1_3gpuE3ELNS1_3repE0EEENS1_30default_config_static_selectorELNS0_4arch9wavefront6targetE1EEEvT1_
; %bb.0:
	.section	.rodata,"a",@progbits
	.p2align	6, 0x0
	.amdhsa_kernel _ZN7rocprim17ROCPRIM_400000_NS6detail17trampoline_kernelINS0_14default_configENS1_25partition_config_selectorILNS1_17partition_subalgoE8EiNS0_10empty_typeEbEEZZNS1_14partition_implILS5_8ELb0ES3_jPKiPS6_PKS6_NS0_5tupleIJPiS6_EEENSE_IJSB_SB_EEENS0_18inequality_wrapperIN6hipcub16HIPCUB_304000_NS8EqualityEEEPlJS6_EEE10hipError_tPvRmT3_T4_T5_T6_T7_T9_mT8_P12ihipStream_tbDpT10_ENKUlT_T0_E_clISt17integral_constantIbLb1EES16_IbLb0EEEEDaS12_S13_EUlS12_E_NS1_11comp_targetILNS1_3genE9ELNS1_11target_archE1100ELNS1_3gpuE3ELNS1_3repE0EEENS1_30default_config_static_selectorELNS0_4arch9wavefront6targetE1EEEvT1_
		.amdhsa_group_segment_fixed_size 0
		.amdhsa_private_segment_fixed_size 0
		.amdhsa_kernarg_size 112
		.amdhsa_user_sgpr_count 2
		.amdhsa_user_sgpr_dispatch_ptr 0
		.amdhsa_user_sgpr_queue_ptr 0
		.amdhsa_user_sgpr_kernarg_segment_ptr 1
		.amdhsa_user_sgpr_dispatch_id 0
		.amdhsa_user_sgpr_kernarg_preload_length 0
		.amdhsa_user_sgpr_kernarg_preload_offset 0
		.amdhsa_user_sgpr_private_segment_size 0
		.amdhsa_uses_dynamic_stack 0
		.amdhsa_enable_private_segment 0
		.amdhsa_system_sgpr_workgroup_id_x 1
		.amdhsa_system_sgpr_workgroup_id_y 0
		.amdhsa_system_sgpr_workgroup_id_z 0
		.amdhsa_system_sgpr_workgroup_info 0
		.amdhsa_system_vgpr_workitem_id 0
		.amdhsa_next_free_vgpr 1
		.amdhsa_next_free_sgpr 0
		.amdhsa_accum_offset 4
		.amdhsa_reserve_vcc 0
		.amdhsa_float_round_mode_32 0
		.amdhsa_float_round_mode_16_64 0
		.amdhsa_float_denorm_mode_32 3
		.amdhsa_float_denorm_mode_16_64 3
		.amdhsa_dx10_clamp 1
		.amdhsa_ieee_mode 1
		.amdhsa_fp16_overflow 0
		.amdhsa_tg_split 0
		.amdhsa_exception_fp_ieee_invalid_op 0
		.amdhsa_exception_fp_denorm_src 0
		.amdhsa_exception_fp_ieee_div_zero 0
		.amdhsa_exception_fp_ieee_overflow 0
		.amdhsa_exception_fp_ieee_underflow 0
		.amdhsa_exception_fp_ieee_inexact 0
		.amdhsa_exception_int_div_zero 0
	.end_amdhsa_kernel
	.section	.text._ZN7rocprim17ROCPRIM_400000_NS6detail17trampoline_kernelINS0_14default_configENS1_25partition_config_selectorILNS1_17partition_subalgoE8EiNS0_10empty_typeEbEEZZNS1_14partition_implILS5_8ELb0ES3_jPKiPS6_PKS6_NS0_5tupleIJPiS6_EEENSE_IJSB_SB_EEENS0_18inequality_wrapperIN6hipcub16HIPCUB_304000_NS8EqualityEEEPlJS6_EEE10hipError_tPvRmT3_T4_T5_T6_T7_T9_mT8_P12ihipStream_tbDpT10_ENKUlT_T0_E_clISt17integral_constantIbLb1EES16_IbLb0EEEEDaS12_S13_EUlS12_E_NS1_11comp_targetILNS1_3genE9ELNS1_11target_archE1100ELNS1_3gpuE3ELNS1_3repE0EEENS1_30default_config_static_selectorELNS0_4arch9wavefront6targetE1EEEvT1_,"axG",@progbits,_ZN7rocprim17ROCPRIM_400000_NS6detail17trampoline_kernelINS0_14default_configENS1_25partition_config_selectorILNS1_17partition_subalgoE8EiNS0_10empty_typeEbEEZZNS1_14partition_implILS5_8ELb0ES3_jPKiPS6_PKS6_NS0_5tupleIJPiS6_EEENSE_IJSB_SB_EEENS0_18inequality_wrapperIN6hipcub16HIPCUB_304000_NS8EqualityEEEPlJS6_EEE10hipError_tPvRmT3_T4_T5_T6_T7_T9_mT8_P12ihipStream_tbDpT10_ENKUlT_T0_E_clISt17integral_constantIbLb1EES16_IbLb0EEEEDaS12_S13_EUlS12_E_NS1_11comp_targetILNS1_3genE9ELNS1_11target_archE1100ELNS1_3gpuE3ELNS1_3repE0EEENS1_30default_config_static_selectorELNS0_4arch9wavefront6targetE1EEEvT1_,comdat
.Lfunc_end210:
	.size	_ZN7rocprim17ROCPRIM_400000_NS6detail17trampoline_kernelINS0_14default_configENS1_25partition_config_selectorILNS1_17partition_subalgoE8EiNS0_10empty_typeEbEEZZNS1_14partition_implILS5_8ELb0ES3_jPKiPS6_PKS6_NS0_5tupleIJPiS6_EEENSE_IJSB_SB_EEENS0_18inequality_wrapperIN6hipcub16HIPCUB_304000_NS8EqualityEEEPlJS6_EEE10hipError_tPvRmT3_T4_T5_T6_T7_T9_mT8_P12ihipStream_tbDpT10_ENKUlT_T0_E_clISt17integral_constantIbLb1EES16_IbLb0EEEEDaS12_S13_EUlS12_E_NS1_11comp_targetILNS1_3genE9ELNS1_11target_archE1100ELNS1_3gpuE3ELNS1_3repE0EEENS1_30default_config_static_selectorELNS0_4arch9wavefront6targetE1EEEvT1_, .Lfunc_end210-_ZN7rocprim17ROCPRIM_400000_NS6detail17trampoline_kernelINS0_14default_configENS1_25partition_config_selectorILNS1_17partition_subalgoE8EiNS0_10empty_typeEbEEZZNS1_14partition_implILS5_8ELb0ES3_jPKiPS6_PKS6_NS0_5tupleIJPiS6_EEENSE_IJSB_SB_EEENS0_18inequality_wrapperIN6hipcub16HIPCUB_304000_NS8EqualityEEEPlJS6_EEE10hipError_tPvRmT3_T4_T5_T6_T7_T9_mT8_P12ihipStream_tbDpT10_ENKUlT_T0_E_clISt17integral_constantIbLb1EES16_IbLb0EEEEDaS12_S13_EUlS12_E_NS1_11comp_targetILNS1_3genE9ELNS1_11target_archE1100ELNS1_3gpuE3ELNS1_3repE0EEENS1_30default_config_static_selectorELNS0_4arch9wavefront6targetE1EEEvT1_
                                        ; -- End function
	.section	.AMDGPU.csdata,"",@progbits
; Kernel info:
; codeLenInByte = 0
; NumSgprs: 6
; NumVgprs: 0
; NumAgprs: 0
; TotalNumVgprs: 0
; ScratchSize: 0
; MemoryBound: 0
; FloatMode: 240
; IeeeMode: 1
; LDSByteSize: 0 bytes/workgroup (compile time only)
; SGPRBlocks: 0
; VGPRBlocks: 0
; NumSGPRsForWavesPerEU: 6
; NumVGPRsForWavesPerEU: 1
; AccumOffset: 4
; Occupancy: 8
; WaveLimiterHint : 0
; COMPUTE_PGM_RSRC2:SCRATCH_EN: 0
; COMPUTE_PGM_RSRC2:USER_SGPR: 2
; COMPUTE_PGM_RSRC2:TRAP_HANDLER: 0
; COMPUTE_PGM_RSRC2:TGID_X_EN: 1
; COMPUTE_PGM_RSRC2:TGID_Y_EN: 0
; COMPUTE_PGM_RSRC2:TGID_Z_EN: 0
; COMPUTE_PGM_RSRC2:TIDIG_COMP_CNT: 0
; COMPUTE_PGM_RSRC3_GFX90A:ACCUM_OFFSET: 0
; COMPUTE_PGM_RSRC3_GFX90A:TG_SPLIT: 0
	.section	.text._ZN7rocprim17ROCPRIM_400000_NS6detail17trampoline_kernelINS0_14default_configENS1_25partition_config_selectorILNS1_17partition_subalgoE8EiNS0_10empty_typeEbEEZZNS1_14partition_implILS5_8ELb0ES3_jPKiPS6_PKS6_NS0_5tupleIJPiS6_EEENSE_IJSB_SB_EEENS0_18inequality_wrapperIN6hipcub16HIPCUB_304000_NS8EqualityEEEPlJS6_EEE10hipError_tPvRmT3_T4_T5_T6_T7_T9_mT8_P12ihipStream_tbDpT10_ENKUlT_T0_E_clISt17integral_constantIbLb1EES16_IbLb0EEEEDaS12_S13_EUlS12_E_NS1_11comp_targetILNS1_3genE8ELNS1_11target_archE1030ELNS1_3gpuE2ELNS1_3repE0EEENS1_30default_config_static_selectorELNS0_4arch9wavefront6targetE1EEEvT1_,"axG",@progbits,_ZN7rocprim17ROCPRIM_400000_NS6detail17trampoline_kernelINS0_14default_configENS1_25partition_config_selectorILNS1_17partition_subalgoE8EiNS0_10empty_typeEbEEZZNS1_14partition_implILS5_8ELb0ES3_jPKiPS6_PKS6_NS0_5tupleIJPiS6_EEENSE_IJSB_SB_EEENS0_18inequality_wrapperIN6hipcub16HIPCUB_304000_NS8EqualityEEEPlJS6_EEE10hipError_tPvRmT3_T4_T5_T6_T7_T9_mT8_P12ihipStream_tbDpT10_ENKUlT_T0_E_clISt17integral_constantIbLb1EES16_IbLb0EEEEDaS12_S13_EUlS12_E_NS1_11comp_targetILNS1_3genE8ELNS1_11target_archE1030ELNS1_3gpuE2ELNS1_3repE0EEENS1_30default_config_static_selectorELNS0_4arch9wavefront6targetE1EEEvT1_,comdat
	.protected	_ZN7rocprim17ROCPRIM_400000_NS6detail17trampoline_kernelINS0_14default_configENS1_25partition_config_selectorILNS1_17partition_subalgoE8EiNS0_10empty_typeEbEEZZNS1_14partition_implILS5_8ELb0ES3_jPKiPS6_PKS6_NS0_5tupleIJPiS6_EEENSE_IJSB_SB_EEENS0_18inequality_wrapperIN6hipcub16HIPCUB_304000_NS8EqualityEEEPlJS6_EEE10hipError_tPvRmT3_T4_T5_T6_T7_T9_mT8_P12ihipStream_tbDpT10_ENKUlT_T0_E_clISt17integral_constantIbLb1EES16_IbLb0EEEEDaS12_S13_EUlS12_E_NS1_11comp_targetILNS1_3genE8ELNS1_11target_archE1030ELNS1_3gpuE2ELNS1_3repE0EEENS1_30default_config_static_selectorELNS0_4arch9wavefront6targetE1EEEvT1_ ; -- Begin function _ZN7rocprim17ROCPRIM_400000_NS6detail17trampoline_kernelINS0_14default_configENS1_25partition_config_selectorILNS1_17partition_subalgoE8EiNS0_10empty_typeEbEEZZNS1_14partition_implILS5_8ELb0ES3_jPKiPS6_PKS6_NS0_5tupleIJPiS6_EEENSE_IJSB_SB_EEENS0_18inequality_wrapperIN6hipcub16HIPCUB_304000_NS8EqualityEEEPlJS6_EEE10hipError_tPvRmT3_T4_T5_T6_T7_T9_mT8_P12ihipStream_tbDpT10_ENKUlT_T0_E_clISt17integral_constantIbLb1EES16_IbLb0EEEEDaS12_S13_EUlS12_E_NS1_11comp_targetILNS1_3genE8ELNS1_11target_archE1030ELNS1_3gpuE2ELNS1_3repE0EEENS1_30default_config_static_selectorELNS0_4arch9wavefront6targetE1EEEvT1_
	.globl	_ZN7rocprim17ROCPRIM_400000_NS6detail17trampoline_kernelINS0_14default_configENS1_25partition_config_selectorILNS1_17partition_subalgoE8EiNS0_10empty_typeEbEEZZNS1_14partition_implILS5_8ELb0ES3_jPKiPS6_PKS6_NS0_5tupleIJPiS6_EEENSE_IJSB_SB_EEENS0_18inequality_wrapperIN6hipcub16HIPCUB_304000_NS8EqualityEEEPlJS6_EEE10hipError_tPvRmT3_T4_T5_T6_T7_T9_mT8_P12ihipStream_tbDpT10_ENKUlT_T0_E_clISt17integral_constantIbLb1EES16_IbLb0EEEEDaS12_S13_EUlS12_E_NS1_11comp_targetILNS1_3genE8ELNS1_11target_archE1030ELNS1_3gpuE2ELNS1_3repE0EEENS1_30default_config_static_selectorELNS0_4arch9wavefront6targetE1EEEvT1_
	.p2align	8
	.type	_ZN7rocprim17ROCPRIM_400000_NS6detail17trampoline_kernelINS0_14default_configENS1_25partition_config_selectorILNS1_17partition_subalgoE8EiNS0_10empty_typeEbEEZZNS1_14partition_implILS5_8ELb0ES3_jPKiPS6_PKS6_NS0_5tupleIJPiS6_EEENSE_IJSB_SB_EEENS0_18inequality_wrapperIN6hipcub16HIPCUB_304000_NS8EqualityEEEPlJS6_EEE10hipError_tPvRmT3_T4_T5_T6_T7_T9_mT8_P12ihipStream_tbDpT10_ENKUlT_T0_E_clISt17integral_constantIbLb1EES16_IbLb0EEEEDaS12_S13_EUlS12_E_NS1_11comp_targetILNS1_3genE8ELNS1_11target_archE1030ELNS1_3gpuE2ELNS1_3repE0EEENS1_30default_config_static_selectorELNS0_4arch9wavefront6targetE1EEEvT1_,@function
_ZN7rocprim17ROCPRIM_400000_NS6detail17trampoline_kernelINS0_14default_configENS1_25partition_config_selectorILNS1_17partition_subalgoE8EiNS0_10empty_typeEbEEZZNS1_14partition_implILS5_8ELb0ES3_jPKiPS6_PKS6_NS0_5tupleIJPiS6_EEENSE_IJSB_SB_EEENS0_18inequality_wrapperIN6hipcub16HIPCUB_304000_NS8EqualityEEEPlJS6_EEE10hipError_tPvRmT3_T4_T5_T6_T7_T9_mT8_P12ihipStream_tbDpT10_ENKUlT_T0_E_clISt17integral_constantIbLb1EES16_IbLb0EEEEDaS12_S13_EUlS12_E_NS1_11comp_targetILNS1_3genE8ELNS1_11target_archE1030ELNS1_3gpuE2ELNS1_3repE0EEENS1_30default_config_static_selectorELNS0_4arch9wavefront6targetE1EEEvT1_: ; @_ZN7rocprim17ROCPRIM_400000_NS6detail17trampoline_kernelINS0_14default_configENS1_25partition_config_selectorILNS1_17partition_subalgoE8EiNS0_10empty_typeEbEEZZNS1_14partition_implILS5_8ELb0ES3_jPKiPS6_PKS6_NS0_5tupleIJPiS6_EEENSE_IJSB_SB_EEENS0_18inequality_wrapperIN6hipcub16HIPCUB_304000_NS8EqualityEEEPlJS6_EEE10hipError_tPvRmT3_T4_T5_T6_T7_T9_mT8_P12ihipStream_tbDpT10_ENKUlT_T0_E_clISt17integral_constantIbLb1EES16_IbLb0EEEEDaS12_S13_EUlS12_E_NS1_11comp_targetILNS1_3genE8ELNS1_11target_archE1030ELNS1_3gpuE2ELNS1_3repE0EEENS1_30default_config_static_selectorELNS0_4arch9wavefront6targetE1EEEvT1_
; %bb.0:
	.section	.rodata,"a",@progbits
	.p2align	6, 0x0
	.amdhsa_kernel _ZN7rocprim17ROCPRIM_400000_NS6detail17trampoline_kernelINS0_14default_configENS1_25partition_config_selectorILNS1_17partition_subalgoE8EiNS0_10empty_typeEbEEZZNS1_14partition_implILS5_8ELb0ES3_jPKiPS6_PKS6_NS0_5tupleIJPiS6_EEENSE_IJSB_SB_EEENS0_18inequality_wrapperIN6hipcub16HIPCUB_304000_NS8EqualityEEEPlJS6_EEE10hipError_tPvRmT3_T4_T5_T6_T7_T9_mT8_P12ihipStream_tbDpT10_ENKUlT_T0_E_clISt17integral_constantIbLb1EES16_IbLb0EEEEDaS12_S13_EUlS12_E_NS1_11comp_targetILNS1_3genE8ELNS1_11target_archE1030ELNS1_3gpuE2ELNS1_3repE0EEENS1_30default_config_static_selectorELNS0_4arch9wavefront6targetE1EEEvT1_
		.amdhsa_group_segment_fixed_size 0
		.amdhsa_private_segment_fixed_size 0
		.amdhsa_kernarg_size 112
		.amdhsa_user_sgpr_count 2
		.amdhsa_user_sgpr_dispatch_ptr 0
		.amdhsa_user_sgpr_queue_ptr 0
		.amdhsa_user_sgpr_kernarg_segment_ptr 1
		.amdhsa_user_sgpr_dispatch_id 0
		.amdhsa_user_sgpr_kernarg_preload_length 0
		.amdhsa_user_sgpr_kernarg_preload_offset 0
		.amdhsa_user_sgpr_private_segment_size 0
		.amdhsa_uses_dynamic_stack 0
		.amdhsa_enable_private_segment 0
		.amdhsa_system_sgpr_workgroup_id_x 1
		.amdhsa_system_sgpr_workgroup_id_y 0
		.amdhsa_system_sgpr_workgroup_id_z 0
		.amdhsa_system_sgpr_workgroup_info 0
		.amdhsa_system_vgpr_workitem_id 0
		.amdhsa_next_free_vgpr 1
		.amdhsa_next_free_sgpr 0
		.amdhsa_accum_offset 4
		.amdhsa_reserve_vcc 0
		.amdhsa_float_round_mode_32 0
		.amdhsa_float_round_mode_16_64 0
		.amdhsa_float_denorm_mode_32 3
		.amdhsa_float_denorm_mode_16_64 3
		.amdhsa_dx10_clamp 1
		.amdhsa_ieee_mode 1
		.amdhsa_fp16_overflow 0
		.amdhsa_tg_split 0
		.amdhsa_exception_fp_ieee_invalid_op 0
		.amdhsa_exception_fp_denorm_src 0
		.amdhsa_exception_fp_ieee_div_zero 0
		.amdhsa_exception_fp_ieee_overflow 0
		.amdhsa_exception_fp_ieee_underflow 0
		.amdhsa_exception_fp_ieee_inexact 0
		.amdhsa_exception_int_div_zero 0
	.end_amdhsa_kernel
	.section	.text._ZN7rocprim17ROCPRIM_400000_NS6detail17trampoline_kernelINS0_14default_configENS1_25partition_config_selectorILNS1_17partition_subalgoE8EiNS0_10empty_typeEbEEZZNS1_14partition_implILS5_8ELb0ES3_jPKiPS6_PKS6_NS0_5tupleIJPiS6_EEENSE_IJSB_SB_EEENS0_18inequality_wrapperIN6hipcub16HIPCUB_304000_NS8EqualityEEEPlJS6_EEE10hipError_tPvRmT3_T4_T5_T6_T7_T9_mT8_P12ihipStream_tbDpT10_ENKUlT_T0_E_clISt17integral_constantIbLb1EES16_IbLb0EEEEDaS12_S13_EUlS12_E_NS1_11comp_targetILNS1_3genE8ELNS1_11target_archE1030ELNS1_3gpuE2ELNS1_3repE0EEENS1_30default_config_static_selectorELNS0_4arch9wavefront6targetE1EEEvT1_,"axG",@progbits,_ZN7rocprim17ROCPRIM_400000_NS6detail17trampoline_kernelINS0_14default_configENS1_25partition_config_selectorILNS1_17partition_subalgoE8EiNS0_10empty_typeEbEEZZNS1_14partition_implILS5_8ELb0ES3_jPKiPS6_PKS6_NS0_5tupleIJPiS6_EEENSE_IJSB_SB_EEENS0_18inequality_wrapperIN6hipcub16HIPCUB_304000_NS8EqualityEEEPlJS6_EEE10hipError_tPvRmT3_T4_T5_T6_T7_T9_mT8_P12ihipStream_tbDpT10_ENKUlT_T0_E_clISt17integral_constantIbLb1EES16_IbLb0EEEEDaS12_S13_EUlS12_E_NS1_11comp_targetILNS1_3genE8ELNS1_11target_archE1030ELNS1_3gpuE2ELNS1_3repE0EEENS1_30default_config_static_selectorELNS0_4arch9wavefront6targetE1EEEvT1_,comdat
.Lfunc_end211:
	.size	_ZN7rocprim17ROCPRIM_400000_NS6detail17trampoline_kernelINS0_14default_configENS1_25partition_config_selectorILNS1_17partition_subalgoE8EiNS0_10empty_typeEbEEZZNS1_14partition_implILS5_8ELb0ES3_jPKiPS6_PKS6_NS0_5tupleIJPiS6_EEENSE_IJSB_SB_EEENS0_18inequality_wrapperIN6hipcub16HIPCUB_304000_NS8EqualityEEEPlJS6_EEE10hipError_tPvRmT3_T4_T5_T6_T7_T9_mT8_P12ihipStream_tbDpT10_ENKUlT_T0_E_clISt17integral_constantIbLb1EES16_IbLb0EEEEDaS12_S13_EUlS12_E_NS1_11comp_targetILNS1_3genE8ELNS1_11target_archE1030ELNS1_3gpuE2ELNS1_3repE0EEENS1_30default_config_static_selectorELNS0_4arch9wavefront6targetE1EEEvT1_, .Lfunc_end211-_ZN7rocprim17ROCPRIM_400000_NS6detail17trampoline_kernelINS0_14default_configENS1_25partition_config_selectorILNS1_17partition_subalgoE8EiNS0_10empty_typeEbEEZZNS1_14partition_implILS5_8ELb0ES3_jPKiPS6_PKS6_NS0_5tupleIJPiS6_EEENSE_IJSB_SB_EEENS0_18inequality_wrapperIN6hipcub16HIPCUB_304000_NS8EqualityEEEPlJS6_EEE10hipError_tPvRmT3_T4_T5_T6_T7_T9_mT8_P12ihipStream_tbDpT10_ENKUlT_T0_E_clISt17integral_constantIbLb1EES16_IbLb0EEEEDaS12_S13_EUlS12_E_NS1_11comp_targetILNS1_3genE8ELNS1_11target_archE1030ELNS1_3gpuE2ELNS1_3repE0EEENS1_30default_config_static_selectorELNS0_4arch9wavefront6targetE1EEEvT1_
                                        ; -- End function
	.section	.AMDGPU.csdata,"",@progbits
; Kernel info:
; codeLenInByte = 0
; NumSgprs: 6
; NumVgprs: 0
; NumAgprs: 0
; TotalNumVgprs: 0
; ScratchSize: 0
; MemoryBound: 0
; FloatMode: 240
; IeeeMode: 1
; LDSByteSize: 0 bytes/workgroup (compile time only)
; SGPRBlocks: 0
; VGPRBlocks: 0
; NumSGPRsForWavesPerEU: 6
; NumVGPRsForWavesPerEU: 1
; AccumOffset: 4
; Occupancy: 8
; WaveLimiterHint : 0
; COMPUTE_PGM_RSRC2:SCRATCH_EN: 0
; COMPUTE_PGM_RSRC2:USER_SGPR: 2
; COMPUTE_PGM_RSRC2:TRAP_HANDLER: 0
; COMPUTE_PGM_RSRC2:TGID_X_EN: 1
; COMPUTE_PGM_RSRC2:TGID_Y_EN: 0
; COMPUTE_PGM_RSRC2:TGID_Z_EN: 0
; COMPUTE_PGM_RSRC2:TIDIG_COMP_CNT: 0
; COMPUTE_PGM_RSRC3_GFX90A:ACCUM_OFFSET: 0
; COMPUTE_PGM_RSRC3_GFX90A:TG_SPLIT: 0
	.section	.text._ZN7rocprim17ROCPRIM_400000_NS6detail31init_lookback_scan_state_kernelINS1_19lookback_scan_stateIjLb0ELb1EEENS1_16block_id_wrapperIjLb1EEEEEvT_jT0_jPNS7_10value_typeE,"axG",@progbits,_ZN7rocprim17ROCPRIM_400000_NS6detail31init_lookback_scan_state_kernelINS1_19lookback_scan_stateIjLb0ELb1EEENS1_16block_id_wrapperIjLb1EEEEEvT_jT0_jPNS7_10value_typeE,comdat
	.protected	_ZN7rocprim17ROCPRIM_400000_NS6detail31init_lookback_scan_state_kernelINS1_19lookback_scan_stateIjLb0ELb1EEENS1_16block_id_wrapperIjLb1EEEEEvT_jT0_jPNS7_10value_typeE ; -- Begin function _ZN7rocprim17ROCPRIM_400000_NS6detail31init_lookback_scan_state_kernelINS1_19lookback_scan_stateIjLb0ELb1EEENS1_16block_id_wrapperIjLb1EEEEEvT_jT0_jPNS7_10value_typeE
	.globl	_ZN7rocprim17ROCPRIM_400000_NS6detail31init_lookback_scan_state_kernelINS1_19lookback_scan_stateIjLb0ELb1EEENS1_16block_id_wrapperIjLb1EEEEEvT_jT0_jPNS7_10value_typeE
	.p2align	8
	.type	_ZN7rocprim17ROCPRIM_400000_NS6detail31init_lookback_scan_state_kernelINS1_19lookback_scan_stateIjLb0ELb1EEENS1_16block_id_wrapperIjLb1EEEEEvT_jT0_jPNS7_10value_typeE,@function
_ZN7rocprim17ROCPRIM_400000_NS6detail31init_lookback_scan_state_kernelINS1_19lookback_scan_stateIjLb0ELb1EEENS1_16block_id_wrapperIjLb1EEEEEvT_jT0_jPNS7_10value_typeE: ; @_ZN7rocprim17ROCPRIM_400000_NS6detail31init_lookback_scan_state_kernelINS1_19lookback_scan_stateIjLb0ELb1EEENS1_16block_id_wrapperIjLb1EEEEEvT_jT0_jPNS7_10value_typeE
; %bb.0:
	s_load_dword s3, s[0:1], 0x34
	s_load_dwordx2 s[6:7], s[0:1], 0x20
	s_load_dwordx2 s[4:5], s[0:1], 0x0
	s_load_dword s10, s[0:1], 0x8
	s_waitcnt lgkmcnt(0)
	s_and_b32 s3, s3, 0xffff
	s_mul_i32 s2, s2, s3
	s_cmp_eq_u64 s[6:7], 0
	v_add_u32_e32 v0, s2, v0
	s_cbranch_scc1 .LBB212_6
; %bb.1:
	s_load_dword s8, s[0:1], 0x18
	s_mov_b32 s9, 0
	s_waitcnt lgkmcnt(0)
	s_cmp_lt_u32 s8, s10
	s_cselect_b32 s2, s8, 0
	v_cmp_eq_u32_e32 vcc, s2, v0
	s_and_saveexec_b64 s[2:3], vcc
	s_cbranch_execz .LBB212_5
; %bb.2:
	s_add_i32 s8, s8, 64
	s_lshl_b64 s[8:9], s[8:9], 3
	s_add_u32 s8, s4, s8
	s_addc_u32 s9, s5, s9
	v_mov_b32_e32 v4, 0
	global_load_dwordx2 v[2:3], v4, s[8:9] sc1
	s_waitcnt vmcnt(0)
	v_and_b32_e32 v5, 0xff, v3
	v_cmp_ne_u64_e32 vcc, 0, v[4:5]
	s_cbranch_vccnz .LBB212_4
.LBB212_3:                              ; =>This Inner Loop Header: Depth=1
	global_load_dwordx2 v[2:3], v4, s[8:9] sc1
	s_waitcnt vmcnt(0)
	v_and_b32_e32 v5, 0xff, v3
	v_cmp_eq_u64_e32 vcc, 0, v[4:5]
	s_cbranch_vccnz .LBB212_3
.LBB212_4:
	v_mov_b32_e32 v1, 0
	global_store_dword v1, v2, s[6:7]
.LBB212_5:
	s_or_b64 exec, exec, s[2:3]
.LBB212_6:
	v_cmp_eq_u32_e32 vcc, 0, v0
	s_and_saveexec_b64 s[2:3], vcc
	s_cbranch_execnz .LBB212_10
; %bb.7:
	s_or_b64 exec, exec, s[2:3]
	v_cmp_gt_u32_e32 vcc, s10, v0
	s_and_saveexec_b64 s[0:1], vcc
	s_cbranch_execnz .LBB212_11
.LBB212_8:
	s_or_b64 exec, exec, s[0:1]
	v_cmp_gt_u32_e32 vcc, 64, v0
	s_and_saveexec_b64 s[0:1], vcc
	s_cbranch_execnz .LBB212_12
.LBB212_9:
	s_endpgm
.LBB212_10:
	s_load_dwordx2 s[0:1], s[0:1], 0x10
	v_mov_b32_e32 v1, 0
	s_waitcnt lgkmcnt(0)
	global_store_dword v1, v1, s[0:1]
	s_or_b64 exec, exec, s[2:3]
	v_cmp_gt_u32_e32 vcc, s10, v0
	s_and_saveexec_b64 s[0:1], vcc
	s_cbranch_execz .LBB212_8
.LBB212_11:
	v_add_u32_e32 v2, 64, v0
	v_mov_b32_e32 v3, 0
	v_lshl_add_u64 v[4:5], v[2:3], 3, s[4:5]
	v_mov_b32_e32 v2, v3
	global_store_dwordx2 v[4:5], v[2:3], off
	s_or_b64 exec, exec, s[0:1]
	v_cmp_gt_u32_e32 vcc, 64, v0
	s_and_saveexec_b64 s[0:1], vcc
	s_cbranch_execz .LBB212_9
.LBB212_12:
	v_mov_b32_e32 v1, 0
	v_lshl_add_u64 v[2:3], v[0:1], 3, s[4:5]
	v_mov_b32_e32 v5, 0xff
	v_mov_b32_e32 v4, v1
	global_store_dwordx2 v[2:3], v[4:5], off
	s_endpgm
	.section	.rodata,"a",@progbits
	.p2align	6, 0x0
	.amdhsa_kernel _ZN7rocprim17ROCPRIM_400000_NS6detail31init_lookback_scan_state_kernelINS1_19lookback_scan_stateIjLb0ELb1EEENS1_16block_id_wrapperIjLb1EEEEEvT_jT0_jPNS7_10value_typeE
		.amdhsa_group_segment_fixed_size 0
		.amdhsa_private_segment_fixed_size 0
		.amdhsa_kernarg_size 296
		.amdhsa_user_sgpr_count 2
		.amdhsa_user_sgpr_dispatch_ptr 0
		.amdhsa_user_sgpr_queue_ptr 0
		.amdhsa_user_sgpr_kernarg_segment_ptr 1
		.amdhsa_user_sgpr_dispatch_id 0
		.amdhsa_user_sgpr_kernarg_preload_length 0
		.amdhsa_user_sgpr_kernarg_preload_offset 0
		.amdhsa_user_sgpr_private_segment_size 0
		.amdhsa_uses_dynamic_stack 0
		.amdhsa_enable_private_segment 0
		.amdhsa_system_sgpr_workgroup_id_x 1
		.amdhsa_system_sgpr_workgroup_id_y 0
		.amdhsa_system_sgpr_workgroup_id_z 0
		.amdhsa_system_sgpr_workgroup_info 0
		.amdhsa_system_vgpr_workitem_id 0
		.amdhsa_next_free_vgpr 6
		.amdhsa_next_free_sgpr 11
		.amdhsa_accum_offset 8
		.amdhsa_reserve_vcc 1
		.amdhsa_float_round_mode_32 0
		.amdhsa_float_round_mode_16_64 0
		.amdhsa_float_denorm_mode_32 3
		.amdhsa_float_denorm_mode_16_64 3
		.amdhsa_dx10_clamp 1
		.amdhsa_ieee_mode 1
		.amdhsa_fp16_overflow 0
		.amdhsa_tg_split 0
		.amdhsa_exception_fp_ieee_invalid_op 0
		.amdhsa_exception_fp_denorm_src 0
		.amdhsa_exception_fp_ieee_div_zero 0
		.amdhsa_exception_fp_ieee_overflow 0
		.amdhsa_exception_fp_ieee_underflow 0
		.amdhsa_exception_fp_ieee_inexact 0
		.amdhsa_exception_int_div_zero 0
	.end_amdhsa_kernel
	.section	.text._ZN7rocprim17ROCPRIM_400000_NS6detail31init_lookback_scan_state_kernelINS1_19lookback_scan_stateIjLb0ELb1EEENS1_16block_id_wrapperIjLb1EEEEEvT_jT0_jPNS7_10value_typeE,"axG",@progbits,_ZN7rocprim17ROCPRIM_400000_NS6detail31init_lookback_scan_state_kernelINS1_19lookback_scan_stateIjLb0ELb1EEENS1_16block_id_wrapperIjLb1EEEEEvT_jT0_jPNS7_10value_typeE,comdat
.Lfunc_end212:
	.size	_ZN7rocprim17ROCPRIM_400000_NS6detail31init_lookback_scan_state_kernelINS1_19lookback_scan_stateIjLb0ELb1EEENS1_16block_id_wrapperIjLb1EEEEEvT_jT0_jPNS7_10value_typeE, .Lfunc_end212-_ZN7rocprim17ROCPRIM_400000_NS6detail31init_lookback_scan_state_kernelINS1_19lookback_scan_stateIjLb0ELb1EEENS1_16block_id_wrapperIjLb1EEEEEvT_jT0_jPNS7_10value_typeE
                                        ; -- End function
	.section	.AMDGPU.csdata,"",@progbits
; Kernel info:
; codeLenInByte = 356
; NumSgprs: 17
; NumVgprs: 6
; NumAgprs: 0
; TotalNumVgprs: 6
; ScratchSize: 0
; MemoryBound: 0
; FloatMode: 240
; IeeeMode: 1
; LDSByteSize: 0 bytes/workgroup (compile time only)
; SGPRBlocks: 2
; VGPRBlocks: 0
; NumSGPRsForWavesPerEU: 17
; NumVGPRsForWavesPerEU: 6
; AccumOffset: 8
; Occupancy: 8
; WaveLimiterHint : 0
; COMPUTE_PGM_RSRC2:SCRATCH_EN: 0
; COMPUTE_PGM_RSRC2:USER_SGPR: 2
; COMPUTE_PGM_RSRC2:TRAP_HANDLER: 0
; COMPUTE_PGM_RSRC2:TGID_X_EN: 1
; COMPUTE_PGM_RSRC2:TGID_Y_EN: 0
; COMPUTE_PGM_RSRC2:TGID_Z_EN: 0
; COMPUTE_PGM_RSRC2:TIDIG_COMP_CNT: 0
; COMPUTE_PGM_RSRC3_GFX90A:ACCUM_OFFSET: 1
; COMPUTE_PGM_RSRC3_GFX90A:TG_SPLIT: 0
	.section	.text._ZN7rocprim17ROCPRIM_400000_NS6detail17trampoline_kernelINS0_14default_configENS1_25partition_config_selectorILNS1_17partition_subalgoE8EiNS0_10empty_typeEbEEZZNS1_14partition_implILS5_8ELb0ES3_jPKiPS6_PKS6_NS0_5tupleIJPiS6_EEENSE_IJSB_SB_EEENS0_18inequality_wrapperIN6hipcub16HIPCUB_304000_NS8EqualityEEEPlJS6_EEE10hipError_tPvRmT3_T4_T5_T6_T7_T9_mT8_P12ihipStream_tbDpT10_ENKUlT_T0_E_clISt17integral_constantIbLb0EES16_IbLb1EEEEDaS12_S13_EUlS12_E_NS1_11comp_targetILNS1_3genE0ELNS1_11target_archE4294967295ELNS1_3gpuE0ELNS1_3repE0EEENS1_30default_config_static_selectorELNS0_4arch9wavefront6targetE1EEEvT1_,"axG",@progbits,_ZN7rocprim17ROCPRIM_400000_NS6detail17trampoline_kernelINS0_14default_configENS1_25partition_config_selectorILNS1_17partition_subalgoE8EiNS0_10empty_typeEbEEZZNS1_14partition_implILS5_8ELb0ES3_jPKiPS6_PKS6_NS0_5tupleIJPiS6_EEENSE_IJSB_SB_EEENS0_18inequality_wrapperIN6hipcub16HIPCUB_304000_NS8EqualityEEEPlJS6_EEE10hipError_tPvRmT3_T4_T5_T6_T7_T9_mT8_P12ihipStream_tbDpT10_ENKUlT_T0_E_clISt17integral_constantIbLb0EES16_IbLb1EEEEDaS12_S13_EUlS12_E_NS1_11comp_targetILNS1_3genE0ELNS1_11target_archE4294967295ELNS1_3gpuE0ELNS1_3repE0EEENS1_30default_config_static_selectorELNS0_4arch9wavefront6targetE1EEEvT1_,comdat
	.protected	_ZN7rocprim17ROCPRIM_400000_NS6detail17trampoline_kernelINS0_14default_configENS1_25partition_config_selectorILNS1_17partition_subalgoE8EiNS0_10empty_typeEbEEZZNS1_14partition_implILS5_8ELb0ES3_jPKiPS6_PKS6_NS0_5tupleIJPiS6_EEENSE_IJSB_SB_EEENS0_18inequality_wrapperIN6hipcub16HIPCUB_304000_NS8EqualityEEEPlJS6_EEE10hipError_tPvRmT3_T4_T5_T6_T7_T9_mT8_P12ihipStream_tbDpT10_ENKUlT_T0_E_clISt17integral_constantIbLb0EES16_IbLb1EEEEDaS12_S13_EUlS12_E_NS1_11comp_targetILNS1_3genE0ELNS1_11target_archE4294967295ELNS1_3gpuE0ELNS1_3repE0EEENS1_30default_config_static_selectorELNS0_4arch9wavefront6targetE1EEEvT1_ ; -- Begin function _ZN7rocprim17ROCPRIM_400000_NS6detail17trampoline_kernelINS0_14default_configENS1_25partition_config_selectorILNS1_17partition_subalgoE8EiNS0_10empty_typeEbEEZZNS1_14partition_implILS5_8ELb0ES3_jPKiPS6_PKS6_NS0_5tupleIJPiS6_EEENSE_IJSB_SB_EEENS0_18inequality_wrapperIN6hipcub16HIPCUB_304000_NS8EqualityEEEPlJS6_EEE10hipError_tPvRmT3_T4_T5_T6_T7_T9_mT8_P12ihipStream_tbDpT10_ENKUlT_T0_E_clISt17integral_constantIbLb0EES16_IbLb1EEEEDaS12_S13_EUlS12_E_NS1_11comp_targetILNS1_3genE0ELNS1_11target_archE4294967295ELNS1_3gpuE0ELNS1_3repE0EEENS1_30default_config_static_selectorELNS0_4arch9wavefront6targetE1EEEvT1_
	.globl	_ZN7rocprim17ROCPRIM_400000_NS6detail17trampoline_kernelINS0_14default_configENS1_25partition_config_selectorILNS1_17partition_subalgoE8EiNS0_10empty_typeEbEEZZNS1_14partition_implILS5_8ELb0ES3_jPKiPS6_PKS6_NS0_5tupleIJPiS6_EEENSE_IJSB_SB_EEENS0_18inequality_wrapperIN6hipcub16HIPCUB_304000_NS8EqualityEEEPlJS6_EEE10hipError_tPvRmT3_T4_T5_T6_T7_T9_mT8_P12ihipStream_tbDpT10_ENKUlT_T0_E_clISt17integral_constantIbLb0EES16_IbLb1EEEEDaS12_S13_EUlS12_E_NS1_11comp_targetILNS1_3genE0ELNS1_11target_archE4294967295ELNS1_3gpuE0ELNS1_3repE0EEENS1_30default_config_static_selectorELNS0_4arch9wavefront6targetE1EEEvT1_
	.p2align	8
	.type	_ZN7rocprim17ROCPRIM_400000_NS6detail17trampoline_kernelINS0_14default_configENS1_25partition_config_selectorILNS1_17partition_subalgoE8EiNS0_10empty_typeEbEEZZNS1_14partition_implILS5_8ELb0ES3_jPKiPS6_PKS6_NS0_5tupleIJPiS6_EEENSE_IJSB_SB_EEENS0_18inequality_wrapperIN6hipcub16HIPCUB_304000_NS8EqualityEEEPlJS6_EEE10hipError_tPvRmT3_T4_T5_T6_T7_T9_mT8_P12ihipStream_tbDpT10_ENKUlT_T0_E_clISt17integral_constantIbLb0EES16_IbLb1EEEEDaS12_S13_EUlS12_E_NS1_11comp_targetILNS1_3genE0ELNS1_11target_archE4294967295ELNS1_3gpuE0ELNS1_3repE0EEENS1_30default_config_static_selectorELNS0_4arch9wavefront6targetE1EEEvT1_,@function
_ZN7rocprim17ROCPRIM_400000_NS6detail17trampoline_kernelINS0_14default_configENS1_25partition_config_selectorILNS1_17partition_subalgoE8EiNS0_10empty_typeEbEEZZNS1_14partition_implILS5_8ELb0ES3_jPKiPS6_PKS6_NS0_5tupleIJPiS6_EEENSE_IJSB_SB_EEENS0_18inequality_wrapperIN6hipcub16HIPCUB_304000_NS8EqualityEEEPlJS6_EEE10hipError_tPvRmT3_T4_T5_T6_T7_T9_mT8_P12ihipStream_tbDpT10_ENKUlT_T0_E_clISt17integral_constantIbLb0EES16_IbLb1EEEEDaS12_S13_EUlS12_E_NS1_11comp_targetILNS1_3genE0ELNS1_11target_archE4294967295ELNS1_3gpuE0ELNS1_3repE0EEENS1_30default_config_static_selectorELNS0_4arch9wavefront6targetE1EEEvT1_: ; @_ZN7rocprim17ROCPRIM_400000_NS6detail17trampoline_kernelINS0_14default_configENS1_25partition_config_selectorILNS1_17partition_subalgoE8EiNS0_10empty_typeEbEEZZNS1_14partition_implILS5_8ELb0ES3_jPKiPS6_PKS6_NS0_5tupleIJPiS6_EEENSE_IJSB_SB_EEENS0_18inequality_wrapperIN6hipcub16HIPCUB_304000_NS8EqualityEEEPlJS6_EEE10hipError_tPvRmT3_T4_T5_T6_T7_T9_mT8_P12ihipStream_tbDpT10_ENKUlT_T0_E_clISt17integral_constantIbLb0EES16_IbLb1EEEEDaS12_S13_EUlS12_E_NS1_11comp_targetILNS1_3genE0ELNS1_11target_archE4294967295ELNS1_3gpuE0ELNS1_3repE0EEENS1_30default_config_static_selectorELNS0_4arch9wavefront6targetE1EEEvT1_
; %bb.0:
	.section	.rodata,"a",@progbits
	.p2align	6, 0x0
	.amdhsa_kernel _ZN7rocprim17ROCPRIM_400000_NS6detail17trampoline_kernelINS0_14default_configENS1_25partition_config_selectorILNS1_17partition_subalgoE8EiNS0_10empty_typeEbEEZZNS1_14partition_implILS5_8ELb0ES3_jPKiPS6_PKS6_NS0_5tupleIJPiS6_EEENSE_IJSB_SB_EEENS0_18inequality_wrapperIN6hipcub16HIPCUB_304000_NS8EqualityEEEPlJS6_EEE10hipError_tPvRmT3_T4_T5_T6_T7_T9_mT8_P12ihipStream_tbDpT10_ENKUlT_T0_E_clISt17integral_constantIbLb0EES16_IbLb1EEEEDaS12_S13_EUlS12_E_NS1_11comp_targetILNS1_3genE0ELNS1_11target_archE4294967295ELNS1_3gpuE0ELNS1_3repE0EEENS1_30default_config_static_selectorELNS0_4arch9wavefront6targetE1EEEvT1_
		.amdhsa_group_segment_fixed_size 0
		.amdhsa_private_segment_fixed_size 0
		.amdhsa_kernarg_size 128
		.amdhsa_user_sgpr_count 2
		.amdhsa_user_sgpr_dispatch_ptr 0
		.amdhsa_user_sgpr_queue_ptr 0
		.amdhsa_user_sgpr_kernarg_segment_ptr 1
		.amdhsa_user_sgpr_dispatch_id 0
		.amdhsa_user_sgpr_kernarg_preload_length 0
		.amdhsa_user_sgpr_kernarg_preload_offset 0
		.amdhsa_user_sgpr_private_segment_size 0
		.amdhsa_uses_dynamic_stack 0
		.amdhsa_enable_private_segment 0
		.amdhsa_system_sgpr_workgroup_id_x 1
		.amdhsa_system_sgpr_workgroup_id_y 0
		.amdhsa_system_sgpr_workgroup_id_z 0
		.amdhsa_system_sgpr_workgroup_info 0
		.amdhsa_system_vgpr_workitem_id 0
		.amdhsa_next_free_vgpr 1
		.amdhsa_next_free_sgpr 0
		.amdhsa_accum_offset 4
		.amdhsa_reserve_vcc 0
		.amdhsa_float_round_mode_32 0
		.amdhsa_float_round_mode_16_64 0
		.amdhsa_float_denorm_mode_32 3
		.amdhsa_float_denorm_mode_16_64 3
		.amdhsa_dx10_clamp 1
		.amdhsa_ieee_mode 1
		.amdhsa_fp16_overflow 0
		.amdhsa_tg_split 0
		.amdhsa_exception_fp_ieee_invalid_op 0
		.amdhsa_exception_fp_denorm_src 0
		.amdhsa_exception_fp_ieee_div_zero 0
		.amdhsa_exception_fp_ieee_overflow 0
		.amdhsa_exception_fp_ieee_underflow 0
		.amdhsa_exception_fp_ieee_inexact 0
		.amdhsa_exception_int_div_zero 0
	.end_amdhsa_kernel
	.section	.text._ZN7rocprim17ROCPRIM_400000_NS6detail17trampoline_kernelINS0_14default_configENS1_25partition_config_selectorILNS1_17partition_subalgoE8EiNS0_10empty_typeEbEEZZNS1_14partition_implILS5_8ELb0ES3_jPKiPS6_PKS6_NS0_5tupleIJPiS6_EEENSE_IJSB_SB_EEENS0_18inequality_wrapperIN6hipcub16HIPCUB_304000_NS8EqualityEEEPlJS6_EEE10hipError_tPvRmT3_T4_T5_T6_T7_T9_mT8_P12ihipStream_tbDpT10_ENKUlT_T0_E_clISt17integral_constantIbLb0EES16_IbLb1EEEEDaS12_S13_EUlS12_E_NS1_11comp_targetILNS1_3genE0ELNS1_11target_archE4294967295ELNS1_3gpuE0ELNS1_3repE0EEENS1_30default_config_static_selectorELNS0_4arch9wavefront6targetE1EEEvT1_,"axG",@progbits,_ZN7rocprim17ROCPRIM_400000_NS6detail17trampoline_kernelINS0_14default_configENS1_25partition_config_selectorILNS1_17partition_subalgoE8EiNS0_10empty_typeEbEEZZNS1_14partition_implILS5_8ELb0ES3_jPKiPS6_PKS6_NS0_5tupleIJPiS6_EEENSE_IJSB_SB_EEENS0_18inequality_wrapperIN6hipcub16HIPCUB_304000_NS8EqualityEEEPlJS6_EEE10hipError_tPvRmT3_T4_T5_T6_T7_T9_mT8_P12ihipStream_tbDpT10_ENKUlT_T0_E_clISt17integral_constantIbLb0EES16_IbLb1EEEEDaS12_S13_EUlS12_E_NS1_11comp_targetILNS1_3genE0ELNS1_11target_archE4294967295ELNS1_3gpuE0ELNS1_3repE0EEENS1_30default_config_static_selectorELNS0_4arch9wavefront6targetE1EEEvT1_,comdat
.Lfunc_end213:
	.size	_ZN7rocprim17ROCPRIM_400000_NS6detail17trampoline_kernelINS0_14default_configENS1_25partition_config_selectorILNS1_17partition_subalgoE8EiNS0_10empty_typeEbEEZZNS1_14partition_implILS5_8ELb0ES3_jPKiPS6_PKS6_NS0_5tupleIJPiS6_EEENSE_IJSB_SB_EEENS0_18inequality_wrapperIN6hipcub16HIPCUB_304000_NS8EqualityEEEPlJS6_EEE10hipError_tPvRmT3_T4_T5_T6_T7_T9_mT8_P12ihipStream_tbDpT10_ENKUlT_T0_E_clISt17integral_constantIbLb0EES16_IbLb1EEEEDaS12_S13_EUlS12_E_NS1_11comp_targetILNS1_3genE0ELNS1_11target_archE4294967295ELNS1_3gpuE0ELNS1_3repE0EEENS1_30default_config_static_selectorELNS0_4arch9wavefront6targetE1EEEvT1_, .Lfunc_end213-_ZN7rocprim17ROCPRIM_400000_NS6detail17trampoline_kernelINS0_14default_configENS1_25partition_config_selectorILNS1_17partition_subalgoE8EiNS0_10empty_typeEbEEZZNS1_14partition_implILS5_8ELb0ES3_jPKiPS6_PKS6_NS0_5tupleIJPiS6_EEENSE_IJSB_SB_EEENS0_18inequality_wrapperIN6hipcub16HIPCUB_304000_NS8EqualityEEEPlJS6_EEE10hipError_tPvRmT3_T4_T5_T6_T7_T9_mT8_P12ihipStream_tbDpT10_ENKUlT_T0_E_clISt17integral_constantIbLb0EES16_IbLb1EEEEDaS12_S13_EUlS12_E_NS1_11comp_targetILNS1_3genE0ELNS1_11target_archE4294967295ELNS1_3gpuE0ELNS1_3repE0EEENS1_30default_config_static_selectorELNS0_4arch9wavefront6targetE1EEEvT1_
                                        ; -- End function
	.section	.AMDGPU.csdata,"",@progbits
; Kernel info:
; codeLenInByte = 0
; NumSgprs: 6
; NumVgprs: 0
; NumAgprs: 0
; TotalNumVgprs: 0
; ScratchSize: 0
; MemoryBound: 0
; FloatMode: 240
; IeeeMode: 1
; LDSByteSize: 0 bytes/workgroup (compile time only)
; SGPRBlocks: 0
; VGPRBlocks: 0
; NumSGPRsForWavesPerEU: 6
; NumVGPRsForWavesPerEU: 1
; AccumOffset: 4
; Occupancy: 8
; WaveLimiterHint : 0
; COMPUTE_PGM_RSRC2:SCRATCH_EN: 0
; COMPUTE_PGM_RSRC2:USER_SGPR: 2
; COMPUTE_PGM_RSRC2:TRAP_HANDLER: 0
; COMPUTE_PGM_RSRC2:TGID_X_EN: 1
; COMPUTE_PGM_RSRC2:TGID_Y_EN: 0
; COMPUTE_PGM_RSRC2:TGID_Z_EN: 0
; COMPUTE_PGM_RSRC2:TIDIG_COMP_CNT: 0
; COMPUTE_PGM_RSRC3_GFX90A:ACCUM_OFFSET: 0
; COMPUTE_PGM_RSRC3_GFX90A:TG_SPLIT: 0
	.section	.text._ZN7rocprim17ROCPRIM_400000_NS6detail17trampoline_kernelINS0_14default_configENS1_25partition_config_selectorILNS1_17partition_subalgoE8EiNS0_10empty_typeEbEEZZNS1_14partition_implILS5_8ELb0ES3_jPKiPS6_PKS6_NS0_5tupleIJPiS6_EEENSE_IJSB_SB_EEENS0_18inequality_wrapperIN6hipcub16HIPCUB_304000_NS8EqualityEEEPlJS6_EEE10hipError_tPvRmT3_T4_T5_T6_T7_T9_mT8_P12ihipStream_tbDpT10_ENKUlT_T0_E_clISt17integral_constantIbLb0EES16_IbLb1EEEEDaS12_S13_EUlS12_E_NS1_11comp_targetILNS1_3genE5ELNS1_11target_archE942ELNS1_3gpuE9ELNS1_3repE0EEENS1_30default_config_static_selectorELNS0_4arch9wavefront6targetE1EEEvT1_,"axG",@progbits,_ZN7rocprim17ROCPRIM_400000_NS6detail17trampoline_kernelINS0_14default_configENS1_25partition_config_selectorILNS1_17partition_subalgoE8EiNS0_10empty_typeEbEEZZNS1_14partition_implILS5_8ELb0ES3_jPKiPS6_PKS6_NS0_5tupleIJPiS6_EEENSE_IJSB_SB_EEENS0_18inequality_wrapperIN6hipcub16HIPCUB_304000_NS8EqualityEEEPlJS6_EEE10hipError_tPvRmT3_T4_T5_T6_T7_T9_mT8_P12ihipStream_tbDpT10_ENKUlT_T0_E_clISt17integral_constantIbLb0EES16_IbLb1EEEEDaS12_S13_EUlS12_E_NS1_11comp_targetILNS1_3genE5ELNS1_11target_archE942ELNS1_3gpuE9ELNS1_3repE0EEENS1_30default_config_static_selectorELNS0_4arch9wavefront6targetE1EEEvT1_,comdat
	.protected	_ZN7rocprim17ROCPRIM_400000_NS6detail17trampoline_kernelINS0_14default_configENS1_25partition_config_selectorILNS1_17partition_subalgoE8EiNS0_10empty_typeEbEEZZNS1_14partition_implILS5_8ELb0ES3_jPKiPS6_PKS6_NS0_5tupleIJPiS6_EEENSE_IJSB_SB_EEENS0_18inequality_wrapperIN6hipcub16HIPCUB_304000_NS8EqualityEEEPlJS6_EEE10hipError_tPvRmT3_T4_T5_T6_T7_T9_mT8_P12ihipStream_tbDpT10_ENKUlT_T0_E_clISt17integral_constantIbLb0EES16_IbLb1EEEEDaS12_S13_EUlS12_E_NS1_11comp_targetILNS1_3genE5ELNS1_11target_archE942ELNS1_3gpuE9ELNS1_3repE0EEENS1_30default_config_static_selectorELNS0_4arch9wavefront6targetE1EEEvT1_ ; -- Begin function _ZN7rocprim17ROCPRIM_400000_NS6detail17trampoline_kernelINS0_14default_configENS1_25partition_config_selectorILNS1_17partition_subalgoE8EiNS0_10empty_typeEbEEZZNS1_14partition_implILS5_8ELb0ES3_jPKiPS6_PKS6_NS0_5tupleIJPiS6_EEENSE_IJSB_SB_EEENS0_18inequality_wrapperIN6hipcub16HIPCUB_304000_NS8EqualityEEEPlJS6_EEE10hipError_tPvRmT3_T4_T5_T6_T7_T9_mT8_P12ihipStream_tbDpT10_ENKUlT_T0_E_clISt17integral_constantIbLb0EES16_IbLb1EEEEDaS12_S13_EUlS12_E_NS1_11comp_targetILNS1_3genE5ELNS1_11target_archE942ELNS1_3gpuE9ELNS1_3repE0EEENS1_30default_config_static_selectorELNS0_4arch9wavefront6targetE1EEEvT1_
	.globl	_ZN7rocprim17ROCPRIM_400000_NS6detail17trampoline_kernelINS0_14default_configENS1_25partition_config_selectorILNS1_17partition_subalgoE8EiNS0_10empty_typeEbEEZZNS1_14partition_implILS5_8ELb0ES3_jPKiPS6_PKS6_NS0_5tupleIJPiS6_EEENSE_IJSB_SB_EEENS0_18inequality_wrapperIN6hipcub16HIPCUB_304000_NS8EqualityEEEPlJS6_EEE10hipError_tPvRmT3_T4_T5_T6_T7_T9_mT8_P12ihipStream_tbDpT10_ENKUlT_T0_E_clISt17integral_constantIbLb0EES16_IbLb1EEEEDaS12_S13_EUlS12_E_NS1_11comp_targetILNS1_3genE5ELNS1_11target_archE942ELNS1_3gpuE9ELNS1_3repE0EEENS1_30default_config_static_selectorELNS0_4arch9wavefront6targetE1EEEvT1_
	.p2align	8
	.type	_ZN7rocprim17ROCPRIM_400000_NS6detail17trampoline_kernelINS0_14default_configENS1_25partition_config_selectorILNS1_17partition_subalgoE8EiNS0_10empty_typeEbEEZZNS1_14partition_implILS5_8ELb0ES3_jPKiPS6_PKS6_NS0_5tupleIJPiS6_EEENSE_IJSB_SB_EEENS0_18inequality_wrapperIN6hipcub16HIPCUB_304000_NS8EqualityEEEPlJS6_EEE10hipError_tPvRmT3_T4_T5_T6_T7_T9_mT8_P12ihipStream_tbDpT10_ENKUlT_T0_E_clISt17integral_constantIbLb0EES16_IbLb1EEEEDaS12_S13_EUlS12_E_NS1_11comp_targetILNS1_3genE5ELNS1_11target_archE942ELNS1_3gpuE9ELNS1_3repE0EEENS1_30default_config_static_selectorELNS0_4arch9wavefront6targetE1EEEvT1_,@function
_ZN7rocprim17ROCPRIM_400000_NS6detail17trampoline_kernelINS0_14default_configENS1_25partition_config_selectorILNS1_17partition_subalgoE8EiNS0_10empty_typeEbEEZZNS1_14partition_implILS5_8ELb0ES3_jPKiPS6_PKS6_NS0_5tupleIJPiS6_EEENSE_IJSB_SB_EEENS0_18inequality_wrapperIN6hipcub16HIPCUB_304000_NS8EqualityEEEPlJS6_EEE10hipError_tPvRmT3_T4_T5_T6_T7_T9_mT8_P12ihipStream_tbDpT10_ENKUlT_T0_E_clISt17integral_constantIbLb0EES16_IbLb1EEEEDaS12_S13_EUlS12_E_NS1_11comp_targetILNS1_3genE5ELNS1_11target_archE942ELNS1_3gpuE9ELNS1_3repE0EEENS1_30default_config_static_selectorELNS0_4arch9wavefront6targetE1EEEvT1_: ; @_ZN7rocprim17ROCPRIM_400000_NS6detail17trampoline_kernelINS0_14default_configENS1_25partition_config_selectorILNS1_17partition_subalgoE8EiNS0_10empty_typeEbEEZZNS1_14partition_implILS5_8ELb0ES3_jPKiPS6_PKS6_NS0_5tupleIJPiS6_EEENSE_IJSB_SB_EEENS0_18inequality_wrapperIN6hipcub16HIPCUB_304000_NS8EqualityEEEPlJS6_EEE10hipError_tPvRmT3_T4_T5_T6_T7_T9_mT8_P12ihipStream_tbDpT10_ENKUlT_T0_E_clISt17integral_constantIbLb0EES16_IbLb1EEEEDaS12_S13_EUlS12_E_NS1_11comp_targetILNS1_3genE5ELNS1_11target_archE942ELNS1_3gpuE9ELNS1_3repE0EEENS1_30default_config_static_selectorELNS0_4arch9wavefront6targetE1EEEvT1_
; %bb.0:
	s_load_dwordx4 s[36:39], s[0:1], 0x40
	s_load_dwordx2 s[8:9], s[0:1], 0x50
	s_load_dwordx2 s[42:43], s[0:1], 0x60
	v_cmp_ne_u32_e64 s[2:3], 0, v0
	v_cmp_eq_u32_e64 s[18:19], 0, v0
	s_and_saveexec_b64 s[4:5], s[18:19]
	s_cbranch_execz .LBB214_4
; %bb.1:
	s_mov_b64 s[10:11], exec
	v_mbcnt_lo_u32_b32 v1, s10, 0
	v_mbcnt_hi_u32_b32 v1, s11, v1
	v_cmp_eq_u32_e32 vcc, 0, v1
                                        ; implicit-def: $vgpr2
	s_and_saveexec_b64 s[6:7], vcc
	s_cbranch_execz .LBB214_3
; %bb.2:
	s_load_dwordx2 s[12:13], s[0:1], 0x70
	s_bcnt1_i32_b64 s10, s[10:11]
	v_mov_b32_e32 v2, 0
	v_mov_b32_e32 v3, s10
	s_waitcnt lgkmcnt(0)
	global_atomic_add v2, v2, v3, s[12:13] sc0
.LBB214_3:
	s_or_b64 exec, exec, s[6:7]
	s_waitcnt vmcnt(0)
	v_readfirstlane_b32 s6, v2
	v_mov_b32_e32 v2, 0
	s_nop 0
	v_add_u32_e32 v1, s6, v1
	ds_write_b32 v2, v1
.LBB214_4:
	s_or_b64 exec, exec, s[4:5]
	v_mov_b32_e32 v3, 0
	s_load_dwordx4 s[4:7], s[0:1], 0x8
	s_load_dwordx2 s[40:41], s[0:1], 0x28
	s_load_dword s10, s[0:1], 0x68
	s_waitcnt lgkmcnt(0)
	s_barrier
	ds_read_b32 v1, v3
	s_waitcnt lgkmcnt(0)
	s_barrier
	global_load_dwordx2 v[18:19], v3, s[38:39]
	s_lshl_b64 s[0:1], s[6:7], 2
	s_add_u32 s4, s4, s0
	s_movk_i32 s0, 0x1e00
	v_mul_lo_u32 v2, v1, s0
	s_mul_i32 s0, s10, 0x1e00
	s_addc_u32 s5, s5, s1
	s_add_i32 s1, s0, s6
	v_mov_b32_e32 v5, s9
	s_add_i32 s9, s10, -1
	s_sub_i32 s50, s8, s1
	s_add_u32 s0, s6, s0
	v_readfirstlane_b32 s33, v1
	s_addc_u32 s1, s7, 0
	v_mov_b32_e32 v4, s8
	s_cmp_eq_u32 s33, s9
	v_cmp_ge_u64_e32 vcc, s[0:1], v[4:5]
	s_cselect_b64 s[34:35], -1, 0
	s_and_b64 s[44:45], vcc, s[34:35]
	s_xor_b64 s[38:39], s[44:45], -1
	v_lshlrev_b64 v[4:5], 2, v[2:3]
	s_mov_b64 s[0:1], -1
	v_lshl_add_u64 v[34:35], s[4:5], 0, v[4:5]
	s_and_b64 vcc, exec, s[38:39]
	s_cbranch_vccz .LBB214_6
; %bb.5:
	v_lshlrev_b32_e32 v2, 2, v0
	v_lshl_add_u64 v[4:5], v[34:35], 0, v[2:3]
	v_add_co_u32_e32 v6, vcc, 0x1000, v4
	v_readfirstlane_b32 s0, v34
	s_nop 0
	v_addc_co_u32_e32 v7, vcc, 0, v5, vcc
	v_add_co_u32_e32 v8, vcc, 0x2000, v4
	v_readfirstlane_b32 s1, v35
	s_nop 0
	v_addc_co_u32_e32 v9, vcc, 0, v5, vcc
	v_add_co_u32_e32 v10, vcc, 0x3000, v4
	s_nop 1
	global_load_dword v1, v2, s[0:1]
	global_load_dword v3, v2, s[0:1] offset:2048
	v_addc_co_u32_e32 v11, vcc, 0, v5, vcc
	v_add_co_u32_e32 v12, vcc, 0x4000, v4
	s_mov_b64 s[0:1], 0
	s_nop 0
	v_addc_co_u32_e32 v13, vcc, 0, v5, vcc
	global_load_dword v14, v[6:7], off
	global_load_dword v15, v[6:7], off offset:2048
	global_load_dword v16, v[8:9], off
	global_load_dword v17, v[8:9], off offset:2048
	;; [unrolled: 2-line block ×4, first 2 shown]
	v_add_co_u32_e32 v6, vcc, 0x5000, v4
	s_nop 1
	v_addc_co_u32_e32 v7, vcc, 0, v5, vcc
	v_add_co_u32_e32 v8, vcc, 0x6000, v4
	s_nop 1
	v_addc_co_u32_e32 v9, vcc, 0, v5, vcc
	global_load_dword v10, v[6:7], off
	global_load_dword v11, v[6:7], off offset:2048
	global_load_dword v12, v[8:9], off
	global_load_dword v13, v[8:9], off offset:2048
	v_add_co_u32_e32 v4, vcc, 0x7000, v4
	s_nop 1
	v_addc_co_u32_e32 v5, vcc, 0, v5, vcc
	global_load_dword v4, v[4:5], off
	s_waitcnt vmcnt(13)
	ds_write2st64_b32 v2, v1, v3 offset1:8
	s_waitcnt vmcnt(11)
	ds_write2st64_b32 v2, v14, v15 offset0:16 offset1:24
	s_waitcnt vmcnt(9)
	ds_write2st64_b32 v2, v16, v17 offset0:32 offset1:40
	;; [unrolled: 2-line block ×6, first 2 shown]
	s_waitcnt vmcnt(0)
	ds_write_b32 v2, v4 offset:28672
	s_waitcnt lgkmcnt(0)
	s_barrier
.LBB214_6:
	s_andn2_b64 vcc, exec, s[0:1]
	s_addk_i32 s50, 0x1e00
	s_cbranch_vccnz .LBB214_38
; %bb.7:
	v_cmp_gt_u32_e32 vcc, s50, v0
                                        ; implicit-def: $vgpr2_vgpr3_vgpr4_vgpr5_vgpr6_vgpr7_vgpr8_vgpr9_vgpr10_vgpr11_vgpr12_vgpr13_vgpr14_vgpr15_vgpr16_vgpr17
	s_and_saveexec_b64 s[0:1], vcc
	s_cbranch_execz .LBB214_9
; %bb.8:
	v_lshlrev_b32_e32 v1, 2, v0
	v_readfirstlane_b32 s4, v34
	v_readfirstlane_b32 s5, v35
	s_nop 4
	global_load_dword v2, v1, s[4:5]
.LBB214_9:
	s_or_b64 exec, exec, s[0:1]
	v_or_b32_e32 v1, 0x200, v0
	v_cmp_gt_u32_e32 vcc, s50, v1
	s_and_saveexec_b64 s[0:1], vcc
	s_cbranch_execz .LBB214_11
; %bb.10:
	v_lshlrev_b32_e32 v1, 2, v0
	v_readfirstlane_b32 s4, v34
	v_readfirstlane_b32 s5, v35
	s_nop 4
	global_load_dword v3, v1, s[4:5] offset:2048
.LBB214_11:
	s_or_b64 exec, exec, s[0:1]
	v_or_b32_e32 v1, 0x400, v0
	v_cmp_gt_u32_e32 vcc, s50, v1
	s_and_saveexec_b64 s[0:1], vcc
	s_cbranch_execz .LBB214_13
; %bb.12:
	v_lshlrev_b32_e32 v1, 2, v1
	v_readfirstlane_b32 s4, v34
	v_readfirstlane_b32 s5, v35
	s_nop 4
	global_load_dword v4, v1, s[4:5]
.LBB214_13:
	s_or_b64 exec, exec, s[0:1]
	v_or_b32_e32 v1, 0x600, v0
	v_cmp_gt_u32_e32 vcc, s50, v1
	s_and_saveexec_b64 s[0:1], vcc
	s_cbranch_execz .LBB214_15
; %bb.14:
	v_lshlrev_b32_e32 v1, 2, v1
	v_readfirstlane_b32 s4, v34
	v_readfirstlane_b32 s5, v35
	s_nop 4
	global_load_dword v5, v1, s[4:5]
.LBB214_15:
	;; [unrolled: 12-line block ×13, first 2 shown]
	s_or_b64 exec, exec, s[0:1]
	v_lshlrev_b32_e32 v1, 2, v0
	s_waitcnt vmcnt(0)
	ds_write2st64_b32 v1, v2, v3 offset1:8
	ds_write2st64_b32 v1, v4, v5 offset0:16 offset1:24
	ds_write2st64_b32 v1, v6, v7 offset0:32 offset1:40
	;; [unrolled: 1-line block ×6, first 2 shown]
	ds_write_b32 v1, v16 offset:28672
	s_waitcnt lgkmcnt(0)
	s_barrier
.LBB214_38:
	v_mul_u32_u24_e32 v10, 15, v0
	v_lshlrev_b32_e32 v17, 2, v10
	ds_read2_b32 v[32:33], v17 offset1:1
	ds_read2_b32 v[30:31], v17 offset0:2 offset1:3
	ds_read2_b32 v[28:29], v17 offset0:4 offset1:5
	;; [unrolled: 1-line block ×6, first 2 shown]
	ds_read_b32 v1, v17 offset:56
	s_cmp_lg_u32 s33, 0
	s_cselect_b64 s[46:47], -1, 0
	s_cmp_lg_u64 s[6:7], 0
	s_cselect_b64 s[0:1], -1, 0
	s_or_b64 s[0:1], s[0:1], s[46:47]
	v_mad_u32_u24 v15, v0, 15, 1
	v_mad_u32_u24 v11, v0, 15, 2
	v_mad_u32_u24 v12, v0, 15, 3
	v_mad_u32_u24 v6, v0, 15, 4
	v_mad_u32_u24 v7, v0, 15, 5
	v_mad_u32_u24 v3, v0, 15, 6
	v_mad_u32_u24 v16, v0, 15, 7
	v_mad_u32_u24 v13, v0, 15, 8
	v_mad_u32_u24 v14, v0, 15, 9
	v_mad_u32_u24 v8, v0, 15, 10
	v_mad_u32_u24 v9, v0, 15, 11
	v_mad_u32_u24 v4, v0, 15, 12
	v_mad_u32_u24 v5, v0, 15, 13
	v_mad_u32_u24 v2, v0, 15, 14
	s_mov_b64 s[48:49], 0
	s_and_b64 vcc, exec, s[0:1]
	s_waitcnt lgkmcnt(0)
	s_barrier
	s_cbranch_vccz .LBB214_43
; %bb.39:
	global_load_dword v34, v[34:35], off offset:-4
	v_lshlrev_b32_e32 v35, 2, v0
	s_and_b64 vcc, exec, s[38:39]
	ds_write_b32 v35, v1
	s_cbranch_vccz .LBB214_45
; %bb.40:
	s_waitcnt vmcnt(0)
	v_mov_b32_e32 v36, v34
	s_waitcnt lgkmcnt(0)
	s_barrier
	s_and_saveexec_b64 s[0:1], s[2:3]
	s_cbranch_execz .LBB214_42
; %bb.41:
	v_add_u32_e32 v36, -4, v35
	ds_read_b32 v36, v36
.LBB214_42:
	s_or_b64 exec, exec, s[0:1]
	v_cmp_ne_u32_e32 vcc, v21, v1
	s_waitcnt lgkmcnt(0)
	v_cmp_ne_u32_e64 s[0:1], v36, v32
	v_cndmask_b32_e64 v37, 0, 1, vcc
	v_cmp_ne_u32_e32 vcc, v20, v21
	s_nop 1
	v_cndmask_b32_e64 v40, 0, 1, vcc
	v_cmp_ne_u32_e32 vcc, v23, v20
	s_nop 1
	;; [unrolled: 3-line block ×13, first 2 shown]
	v_cndmask_b32_e64 v52, 0, 1, vcc
	s_branch .LBB214_49
.LBB214_43:
                                        ; implicit-def: $sgpr0_sgpr1
                                        ; implicit-def: $vgpr37
                                        ; implicit-def: $vgpr40
                                        ; implicit-def: $vgpr41
                                        ; implicit-def: $vgpr42
                                        ; implicit-def: $vgpr43
                                        ; implicit-def: $vgpr44
                                        ; implicit-def: $vgpr45
                                        ; implicit-def: $vgpr46
                                        ; implicit-def: $vgpr52
                                        ; implicit-def: $vgpr51
                                        ; implicit-def: $vgpr50
                                        ; implicit-def: $vgpr49
                                        ; implicit-def: $vgpr48
                                        ; implicit-def: $vgpr47
	s_branch .LBB214_50
.LBB214_44:
                                        ; implicit-def: $sgpr6
	s_branch .LBB214_58
.LBB214_45:
                                        ; implicit-def: $sgpr0_sgpr1
                                        ; implicit-def: $vgpr37
                                        ; implicit-def: $vgpr40
                                        ; implicit-def: $vgpr41
                                        ; implicit-def: $vgpr42
                                        ; implicit-def: $vgpr43
                                        ; implicit-def: $vgpr44
                                        ; implicit-def: $vgpr45
                                        ; implicit-def: $vgpr46
                                        ; implicit-def: $vgpr52
                                        ; implicit-def: $vgpr51
                                        ; implicit-def: $vgpr50
                                        ; implicit-def: $vgpr49
                                        ; implicit-def: $vgpr48
                                        ; implicit-def: $vgpr47
	s_cbranch_execz .LBB214_49
; %bb.46:
	s_waitcnt lgkmcnt(0)
	s_barrier
	s_and_saveexec_b64 s[0:1], s[2:3]
	s_cbranch_execz .LBB214_48
; %bb.47:
	s_waitcnt vmcnt(0)
	v_add_u32_e32 v34, -4, v35
	ds_read_b32 v34, v34
.LBB214_48:
	s_or_b64 exec, exec, s[0:1]
	v_cmp_gt_u32_e32 vcc, s50, v2
	v_cmp_ne_u32_e64 s[0:1], v21, v1
	s_and_b64 s[0:1], vcc, s[0:1]
	v_cmp_gt_u32_e32 vcc, s50, v5
	v_cndmask_b32_e64 v37, 0, 1, s[0:1]
	v_cmp_ne_u32_e64 s[0:1], v20, v21
	s_and_b64 s[0:1], vcc, s[0:1]
	v_cmp_gt_u32_e32 vcc, s50, v4
	v_cndmask_b32_e64 v40, 0, 1, s[0:1]
	;; [unrolled: 4-line block ×14, first 2 shown]
	s_waitcnt vmcnt(0) lgkmcnt(0)
	v_cmp_ne_u32_e64 s[0:1], v34, v32
	s_and_b64 s[0:1], vcc, s[0:1]
.LBB214_49:
	s_mov_b64 s[48:49], -1
	s_cbranch_execnz .LBB214_44
.LBB214_50:
	s_movk_i32 s0, 0xffc8
	v_mad_i32_i24 v17, v0, s0, v17
	s_and_b64 vcc, exec, s[38:39]
	v_cmp_ne_u32_e64 s[0:1], v21, v1
	v_cmp_ne_u32_e64 s[4:5], v20, v21
	;; [unrolled: 1-line block ×14, first 2 shown]
	ds_write_b32 v17, v1
	s_cbranch_vccz .LBB214_54
; %bb.51:
	v_cndmask_b32_e64 v37, 0, 1, s[0:1]
	v_cndmask_b32_e64 v40, 0, 1, s[4:5]
	;; [unrolled: 1-line block ×14, first 2 shown]
	s_waitcnt lgkmcnt(0)
	s_barrier
	s_waitcnt lgkmcnt(0)
                                        ; implicit-def: $sgpr0_sgpr1
	s_and_saveexec_b64 s[4:5], s[2:3]
	s_xor_b64 s[4:5], exec, s[4:5]
	s_cbranch_execz .LBB214_53
; %bb.52:
	s_waitcnt vmcnt(0)
	v_add_u32_e32 v34, -4, v17
	ds_read_b32 v34, v34
	s_or_b64 s[48:49], s[48:49], exec
	s_waitcnt lgkmcnt(0)
	v_cmp_ne_u32_e32 vcc, v34, v32
	s_and_b64 s[0:1], vcc, exec
.LBB214_53:
	s_or_b64 exec, exec, s[4:5]
	s_mov_b32 s6, 1
	s_branch .LBB214_58
.LBB214_54:
                                        ; implicit-def: $sgpr0_sgpr1
                                        ; implicit-def: $vgpr37
                                        ; implicit-def: $vgpr40
                                        ; implicit-def: $vgpr41
                                        ; implicit-def: $vgpr42
                                        ; implicit-def: $vgpr43
                                        ; implicit-def: $vgpr44
                                        ; implicit-def: $vgpr45
                                        ; implicit-def: $vgpr46
                                        ; implicit-def: $vgpr52
                                        ; implicit-def: $vgpr51
                                        ; implicit-def: $vgpr50
                                        ; implicit-def: $vgpr49
                                        ; implicit-def: $vgpr48
                                        ; implicit-def: $vgpr47
                                        ; implicit-def: $sgpr6
	s_cbranch_execz .LBB214_58
; %bb.55:
	v_cmp_gt_u32_e32 vcc, s50, v2
	v_cmp_ne_u32_e64 s[0:1], v21, v1
	s_and_b64 s[0:1], vcc, s[0:1]
	v_cmp_gt_u32_e32 vcc, s50, v5
	v_cndmask_b32_e64 v37, 0, 1, s[0:1]
	v_cmp_ne_u32_e64 s[0:1], v20, v21
	s_and_b64 s[0:1], vcc, s[0:1]
	v_cmp_gt_u32_e32 vcc, s50, v4
	v_cndmask_b32_e64 v40, 0, 1, s[0:1]
	;; [unrolled: 4-line block ×13, first 2 shown]
	v_cmp_ne_u32_e64 s[0:1], v32, v33
	s_and_b64 s[0:1], vcc, s[0:1]
	s_waitcnt lgkmcnt(0)
	v_cndmask_b32_e64 v52, 0, 1, s[0:1]
	s_barrier
	s_waitcnt lgkmcnt(0)
                                        ; implicit-def: $sgpr0_sgpr1
	s_and_saveexec_b64 s[4:5], s[2:3]
	s_cbranch_execz .LBB214_57
; %bb.56:
	v_add_u32_e32 v17, -4, v17
	ds_read_b32 v17, v17
	v_cmp_gt_u32_e32 vcc, s50, v10
	s_or_b64 s[48:49], s[48:49], exec
	s_waitcnt lgkmcnt(0)
	v_cmp_ne_u32_e64 s[0:1], v17, v32
	s_and_b64 s[0:1], vcc, s[0:1]
	s_and_b64 s[0:1], s[0:1], exec
.LBB214_57:
	s_or_b64 exec, exec, s[4:5]
	s_mov_b32 s6, 1
.LBB214_58:
	v_mov_b32_e32 v53, s6
	s_and_saveexec_b64 s[2:3], s[48:49]
; %bb.59:
	v_cndmask_b32_e64 v53, 0, 1, s[0:1]
; %bb.60:
	s_or_b64 exec, exec, s[2:3]
	s_andn2_b64 vcc, exec, s[44:45]
	s_cbranch_vccnz .LBB214_62
; %bb.61:
	v_cmp_gt_u32_e32 vcc, s50, v10
	s_nop 1
	v_cndmask_b32_e32 v53, 0, v53, vcc
	v_cmp_gt_u32_e32 vcc, s50, v15
	s_nop 1
	v_cndmask_b32_e32 v52, 0, v52, vcc
	;; [unrolled: 3-line block ×15, first 2 shown]
.LBB214_62:
	v_and_b32_e32 v56, 0xff, v49
	v_and_b32_e32 v57, 0xff, v48
	;; [unrolled: 1-line block ×5, first 2 shown]
	v_add3_u32 v3, v57, v58, v56
	v_and_b32_e32 v38, 0xff, v53
	v_and_b32_e32 v39, 0xff, v52
	v_add3_u32 v3, v3, v55, v54
	v_and_b32_e32 v59, 0xff, v46
	v_and_b32_e32 v60, 0xff, v45
	;; [unrolled: 3-line block ×5, first 2 shown]
	v_add3_u32 v3, v3, v63, v64
	v_add3_u32 v68, v3, v65, v2
	v_mbcnt_lo_u32_b32 v2, -1, 0
	v_mbcnt_hi_u32_b32 v66, -1, v2
	v_and_b32_e32 v2, 15, v66
	v_cmp_eq_u32_e64 s[14:15], 0, v2
	v_cmp_lt_u32_e64 s[12:13], 1, v2
	v_cmp_lt_u32_e64 s[10:11], 3, v2
	;; [unrolled: 1-line block ×3, first 2 shown]
	v_and_b32_e32 v2, 16, v66
	v_cmp_eq_u32_e64 s[6:7], 0, v2
	v_or_b32_e32 v2, 63, v0
	v_cmp_lt_u32_e64 s[2:3], 31, v66
	v_lshrrev_b32_e32 v67, 6, v0
	v_cmp_eq_u32_e64 s[4:5], v2, v0
	s_and_b64 vcc, exec, s[46:47]
	s_waitcnt lgkmcnt(0)
	s_barrier
	s_cbranch_vccz .LBB214_89
; %bb.63:
	v_mov_b32_dpp v2, v68 row_shr:1 row_mask:0xf bank_mask:0xf
	v_cndmask_b32_e64 v2, v2, 0, s[14:15]
	v_add_u32_e32 v2, v2, v68
	s_nop 1
	v_mov_b32_dpp v3, v2 row_shr:2 row_mask:0xf bank_mask:0xf
	v_cndmask_b32_e64 v3, 0, v3, s[12:13]
	v_add_u32_e32 v2, v2, v3
	s_nop 1
	;; [unrolled: 4-line block ×4, first 2 shown]
	v_mov_b32_dpp v3, v2 row_bcast:15 row_mask:0xf bank_mask:0xf
	v_cndmask_b32_e64 v3, v3, 0, s[6:7]
	v_add_u32_e32 v2, v2, v3
	s_nop 1
	v_mov_b32_dpp v3, v2 row_bcast:31 row_mask:0xf bank_mask:0xf
	v_cndmask_b32_e64 v3, 0, v3, s[2:3]
	v_add_u32_e32 v2, v2, v3
	s_and_saveexec_b64 s[0:1], s[4:5]
	s_cbranch_execz .LBB214_65
; %bb.64:
	v_lshlrev_b32_e32 v3, 2, v67
	ds_write_b32 v3, v2
.LBB214_65:
	s_or_b64 exec, exec, s[0:1]
	v_cmp_gt_u32_e32 vcc, 8, v0
	s_waitcnt lgkmcnt(0)
	s_barrier
	s_and_saveexec_b64 s[0:1], vcc
	s_cbranch_execz .LBB214_67
; %bb.66:
	v_lshlrev_b32_e32 v3, 2, v0
	ds_read_b32 v4, v3
	v_and_b32_e32 v5, 7, v66
	v_cmp_ne_u32_e32 vcc, 0, v5
	s_waitcnt lgkmcnt(0)
	v_mov_b32_dpp v6, v4 row_shr:1 row_mask:0xf bank_mask:0xf
	v_cndmask_b32_e32 v6, 0, v6, vcc
	v_add_u32_e32 v4, v6, v4
	v_cmp_lt_u32_e32 vcc, 1, v5
	s_nop 0
	v_mov_b32_dpp v6, v4 row_shr:2 row_mask:0xf bank_mask:0xf
	v_cndmask_b32_e32 v6, 0, v6, vcc
	v_add_u32_e32 v4, v4, v6
	v_cmp_lt_u32_e32 vcc, 3, v5
	s_nop 0
	v_mov_b32_dpp v6, v4 row_shr:4 row_mask:0xf bank_mask:0xf
	v_cndmask_b32_e32 v5, 0, v6, vcc
	v_add_u32_e32 v4, v4, v5
	ds_write_b32 v3, v4
.LBB214_67:
	s_or_b64 exec, exec, s[0:1]
	v_cmp_gt_u32_e32 vcc, 64, v0
	v_cmp_lt_u32_e64 s[0:1], 63, v0
	s_waitcnt lgkmcnt(0)
	s_barrier
	s_waitcnt lgkmcnt(0)
                                        ; implicit-def: $vgpr12
	s_and_saveexec_b64 s[16:17], s[0:1]
	s_cbranch_execz .LBB214_69
; %bb.68:
	v_lshl_add_u32 v3, v67, 2, -4
	ds_read_b32 v12, v3
	s_waitcnt lgkmcnt(0)
	v_add_u32_e32 v2, v12, v2
.LBB214_69:
	s_or_b64 exec, exec, s[16:17]
	v_add_u32_e32 v3, -1, v66
	v_and_b32_e32 v4, 64, v66
	v_cmp_lt_i32_e64 s[0:1], v3, v4
	v_cmp_eq_u32_e64 s[16:17], 0, v66
	s_nop 0
	v_cndmask_b32_e64 v3, v3, v66, s[0:1]
	v_lshlrev_b32_e32 v3, 2, v3
	ds_bpermute_b32 v13, v3, v2
	s_and_saveexec_b64 s[0:1], vcc
	s_cbranch_execz .LBB214_88
; %bb.70:
	v_mov_b32_e32 v9, 0
	ds_read_b32 v2, v9 offset:28
	s_and_saveexec_b64 s[20:21], s[16:17]
	s_cbranch_execz .LBB214_72
; %bb.71:
	s_add_i32 s22, s33, 64
	s_mov_b32 s23, 0
	s_lshl_b64 s[22:23], s[22:23], 3
	s_add_u32 s22, s42, s22
	v_mov_b32_e32 v3, 1
	s_addc_u32 s23, s43, s23
	s_waitcnt lgkmcnt(0)
	global_store_dwordx2 v9, v[2:3], s[22:23] sc1
.LBB214_72:
	s_or_b64 exec, exec, s[20:21]
	v_xad_u32 v4, v66, -1, s33
	v_add_u32_e32 v8, 64, v4
	v_lshl_add_u64 v[10:11], v[8:9], 3, s[42:43]
	global_load_dwordx2 v[6:7], v[10:11], off sc1
	s_waitcnt vmcnt(0)
	v_cmp_eq_u16_sdwa s[22:23], v7, v9 src0_sel:BYTE_0 src1_sel:DWORD
	s_and_saveexec_b64 s[20:21], s[22:23]
	s_cbranch_execz .LBB214_76
; %bb.73:
	s_mov_b64 s[22:23], 0
	v_mov_b32_e32 v3, 0
.LBB214_74:                             ; =>This Inner Loop Header: Depth=1
	global_load_dwordx2 v[6:7], v[10:11], off sc1
	s_waitcnt vmcnt(0)
	v_cmp_ne_u16_sdwa s[24:25], v7, v3 src0_sel:BYTE_0 src1_sel:DWORD
	s_or_b64 s[22:23], s[24:25], s[22:23]
	s_andn2_b64 exec, exec, s[22:23]
	s_cbranch_execnz .LBB214_74
; %bb.75:
	s_or_b64 exec, exec, s[22:23]
.LBB214_76:
	s_or_b64 exec, exec, s[20:21]
	v_and_b32_e32 v15, 63, v66
	v_mov_b32_e32 v14, 2
	v_cmp_ne_u32_e32 vcc, 63, v15
	v_cmp_eq_u16_sdwa s[20:21], v7, v14 src0_sel:BYTE_0 src1_sel:DWORD
	v_lshlrev_b64 v[8:9], v66, -1
	v_addc_co_u32_e32 v10, vcc, 0, v66, vcc
	v_and_b32_e32 v3, s21, v9
	v_lshlrev_b32_e32 v16, 2, v10
	v_or_b32_e32 v3, 0x80000000, v3
	ds_bpermute_b32 v10, v16, v6
	v_and_b32_e32 v5, s20, v8
	v_ffbl_b32_e32 v3, v3
	v_add_u32_e32 v3, 32, v3
	v_ffbl_b32_e32 v5, v5
	v_min_u32_e32 v3, v5, v3
	v_cmp_lt_u32_e32 vcc, v15, v3
	v_add_u32_e32 v34, 2, v15
	v_add_u32_e32 v36, 4, v15
	s_waitcnt lgkmcnt(0)
	v_cndmask_b32_e32 v5, 0, v10, vcc
	v_cmp_gt_u32_e32 vcc, 62, v15
	v_add_u32_e32 v5, v5, v6
	v_add_u32_e32 v70, 8, v15
	v_cndmask_b32_e64 v6, 0, 1, vcc
	v_lshlrev_b32_e32 v6, 1, v6
	v_add_lshl_u32 v17, v6, v66, 2
	ds_bpermute_b32 v6, v17, v5
	v_cmp_le_u32_e32 vcc, v34, v3
	v_add_u32_e32 v72, 16, v15
	v_add_u32_e32 v74, 32, v15
	s_waitcnt lgkmcnt(0)
	v_cndmask_b32_e32 v6, 0, v6, vcc
	v_cmp_gt_u32_e32 vcc, 60, v15
	v_add_u32_e32 v5, v5, v6
	s_nop 0
	v_cndmask_b32_e64 v6, 0, 1, vcc
	v_lshlrev_b32_e32 v6, 2, v6
	v_add_lshl_u32 v35, v6, v66, 2
	ds_bpermute_b32 v6, v35, v5
	v_cmp_le_u32_e32 vcc, v36, v3
	s_waitcnt lgkmcnt(0)
	s_nop 0
	v_cndmask_b32_e32 v6, 0, v6, vcc
	v_cmp_gt_u32_e32 vcc, 56, v15
	v_add_u32_e32 v5, v5, v6
	s_nop 0
	v_cndmask_b32_e64 v6, 0, 1, vcc
	v_lshlrev_b32_e32 v6, 3, v6
	v_add_lshl_u32 v69, v6, v66, 2
	ds_bpermute_b32 v6, v69, v5
	v_cmp_le_u32_e32 vcc, v70, v3
	s_waitcnt lgkmcnt(0)
	s_nop 0
	;; [unrolled: 11-line block ×4, first 2 shown]
	v_cndmask_b32_e32 v3, 0, v6, vcc
	v_add_u32_e32 v6, v5, v3
	v_mov_b32_e32 v5, 0
	s_branch .LBB214_78
.LBB214_77:                             ;   in Loop: Header=BB214_78 Depth=1
	s_or_b64 exec, exec, s[20:21]
	v_cmp_eq_u16_sdwa s[20:21], v7, v14 src0_sel:BYTE_0 src1_sel:DWORD
	ds_bpermute_b32 v75, v16, v6
	v_subrev_u32_e32 v4, 64, v4
	v_and_b32_e32 v10, s21, v9
	v_or_b32_e32 v10, 0x80000000, v10
	v_and_b32_e32 v11, s20, v8
	v_ffbl_b32_e32 v10, v10
	v_add_u32_e32 v10, 32, v10
	v_ffbl_b32_e32 v11, v11
	v_min_u32_e32 v10, v11, v10
	v_cmp_lt_u32_e32 vcc, v15, v10
	s_waitcnt lgkmcnt(0)
	s_nop 0
	v_cndmask_b32_e32 v11, 0, v75, vcc
	v_add_u32_e32 v6, v11, v6
	ds_bpermute_b32 v11, v17, v6
	v_cmp_le_u32_e32 vcc, v34, v10
	s_waitcnt lgkmcnt(0)
	s_nop 0
	v_cndmask_b32_e32 v11, 0, v11, vcc
	v_add_u32_e32 v6, v6, v11
	ds_bpermute_b32 v11, v35, v6
	v_cmp_le_u32_e32 vcc, v36, v10
	;; [unrolled: 6-line block ×5, first 2 shown]
	s_waitcnt lgkmcnt(0)
	s_nop 0
	v_cndmask_b32_e32 v10, 0, v11, vcc
	v_add3_u32 v6, v10, v3, v6
.LBB214_78:                             ; =>This Loop Header: Depth=1
                                        ;     Child Loop BB214_81 Depth 2
	v_cmp_ne_u16_sdwa s[20:21], v7, v14 src0_sel:BYTE_0 src1_sel:DWORD
	s_nop 1
	v_cndmask_b32_e64 v3, 0, 1, s[20:21]
	;;#ASMSTART
	;;#ASMEND
	s_nop 0
	v_cmp_ne_u32_e32 vcc, 0, v3
	s_cmp_lg_u64 vcc, exec
	v_mov_b32_e32 v3, v6
	s_cbranch_scc1 .LBB214_83
; %bb.79:                               ;   in Loop: Header=BB214_78 Depth=1
	v_lshl_add_u64 v[10:11], v[4:5], 3, s[42:43]
	global_load_dwordx2 v[6:7], v[10:11], off sc1
	s_waitcnt vmcnt(0)
	v_cmp_eq_u16_sdwa s[22:23], v7, v5 src0_sel:BYTE_0 src1_sel:DWORD
	s_and_saveexec_b64 s[20:21], s[22:23]
	s_cbranch_execz .LBB214_77
; %bb.80:                               ;   in Loop: Header=BB214_78 Depth=1
	s_mov_b64 s[22:23], 0
.LBB214_81:                             ;   Parent Loop BB214_78 Depth=1
                                        ; =>  This Inner Loop Header: Depth=2
	global_load_dwordx2 v[6:7], v[10:11], off sc1
	s_waitcnt vmcnt(0)
	v_cmp_ne_u16_sdwa s[24:25], v7, v5 src0_sel:BYTE_0 src1_sel:DWORD
	s_or_b64 s[22:23], s[24:25], s[22:23]
	s_andn2_b64 exec, exec, s[22:23]
	s_cbranch_execnz .LBB214_81
; %bb.82:                               ;   in Loop: Header=BB214_78 Depth=1
	s_or_b64 exec, exec, s[22:23]
	s_branch .LBB214_77
.LBB214_83:                             ;   in Loop: Header=BB214_78 Depth=1
                                        ; implicit-def: $vgpr6
                                        ; implicit-def: $vgpr7
	s_cbranch_execz .LBB214_78
; %bb.84:
	s_and_saveexec_b64 s[20:21], s[16:17]
	s_cbranch_execz .LBB214_86
; %bb.85:
	s_add_i32 s22, s33, 64
	s_mov_b32 s23, 0
	s_lshl_b64 s[22:23], s[22:23], 3
	s_add_u32 s22, s42, s22
	v_add_u32_e32 v4, v3, v2
	v_mov_b32_e32 v5, 2
	s_addc_u32 s23, s43, s23
	v_mov_b32_e32 v6, 0
	global_store_dwordx2 v6, v[4:5], s[22:23] sc1
	ds_write_b64 v6, v[2:3] offset:30720
.LBB214_86:
	s_or_b64 exec, exec, s[20:21]
	s_and_b64 exec, exec, s[18:19]
	s_cbranch_execz .LBB214_88
; %bb.87:
	v_mov_b32_e32 v2, 0
	ds_write_b32 v2, v3 offset:28
.LBB214_88:
	s_or_b64 exec, exec, s[0:1]
	v_mov_b32_e32 v14, 0
	s_waitcnt lgkmcnt(0)
	s_barrier
	ds_read_b32 v2, v14 offset:28
	v_cndmask_b32_e64 v3, v13, v12, s[16:17]
	v_cndmask_b32_e64 v3, v3, 0, s[18:19]
	s_waitcnt lgkmcnt(0)
	s_barrier
	v_add_u32_e32 v2, v2, v3
	v_add_u32_e32 v3, v2, v38
	;; [unrolled: 1-line block ×10, first 2 shown]
	s_waitcnt vmcnt(0)
	ds_read_b64 v[34:35], v14 offset:30720
	v_add_u32_e32 v12, v11, v61
	v_add_u32_e32 v13, v12, v62
	;; [unrolled: 1-line block ×5, first 2 shown]
	s_waitcnt lgkmcnt(0)
	v_mov_b32_e32 v36, v35
	s_branch .LBB214_99
.LBB214_89:
                                        ; implicit-def: $vgpr36
                                        ; implicit-def: $vgpr34
                                        ; implicit-def: $vgpr2_vgpr3_vgpr4_vgpr5_vgpr6_vgpr7_vgpr8_vgpr9_vgpr10_vgpr11_vgpr12_vgpr13_vgpr14_vgpr15_vgpr16_vgpr17
	s_cbranch_execz .LBB214_99
; %bb.90:
	s_nop 0
	v_mov_b32_dpp v2, v68 row_shr:1 row_mask:0xf bank_mask:0xf
	v_cndmask_b32_e64 v2, v2, 0, s[14:15]
	v_add_u32_e32 v2, v2, v68
	s_nop 1
	v_mov_b32_dpp v3, v2 row_shr:2 row_mask:0xf bank_mask:0xf
	v_cndmask_b32_e64 v3, 0, v3, s[12:13]
	v_add_u32_e32 v2, v2, v3
	;; [unrolled: 4-line block ×4, first 2 shown]
	s_nop 1
	v_mov_b32_dpp v3, v2 row_bcast:15 row_mask:0xf bank_mask:0xf
	v_cndmask_b32_e64 v3, v3, 0, s[6:7]
	v_add_u32_e32 v2, v2, v3
	s_nop 1
	v_mov_b32_dpp v3, v2 row_bcast:31 row_mask:0xf bank_mask:0xf
	v_cndmask_b32_e64 v3, 0, v3, s[2:3]
	v_add_u32_e32 v2, v2, v3
	s_and_saveexec_b64 s[0:1], s[4:5]
	s_cbranch_execz .LBB214_92
; %bb.91:
	v_lshlrev_b32_e32 v3, 2, v67
	ds_write_b32 v3, v2
.LBB214_92:
	s_or_b64 exec, exec, s[0:1]
	v_cmp_gt_u32_e32 vcc, 8, v0
	s_waitcnt lgkmcnt(0)
	s_barrier
	s_and_saveexec_b64 s[0:1], vcc
	s_cbranch_execz .LBB214_94
; %bb.93:
	v_lshlrev_b32_e32 v3, 2, v0
	ds_read_b32 v4, v3
	v_and_b32_e32 v5, 7, v66
	v_cmp_ne_u32_e32 vcc, 0, v5
	s_waitcnt lgkmcnt(0)
	v_mov_b32_dpp v6, v4 row_shr:1 row_mask:0xf bank_mask:0xf
	v_cndmask_b32_e32 v6, 0, v6, vcc
	v_add_u32_e32 v4, v6, v4
	v_cmp_lt_u32_e32 vcc, 1, v5
	s_nop 0
	v_mov_b32_dpp v6, v4 row_shr:2 row_mask:0xf bank_mask:0xf
	v_cndmask_b32_e32 v6, 0, v6, vcc
	v_add_u32_e32 v4, v4, v6
	v_cmp_lt_u32_e32 vcc, 3, v5
	s_nop 0
	v_mov_b32_dpp v6, v4 row_shr:4 row_mask:0xf bank_mask:0xf
	v_cndmask_b32_e32 v5, 0, v6, vcc
	v_add_u32_e32 v4, v4, v5
	ds_write_b32 v3, v4
.LBB214_94:
	s_or_b64 exec, exec, s[0:1]
	v_cmp_lt_u32_e32 vcc, 63, v0
	v_mov_b32_e32 v4, 0
	v_mov_b32_e32 v3, 0
	s_waitcnt lgkmcnt(0)
	s_barrier
	s_and_saveexec_b64 s[0:1], vcc
	s_cbranch_execz .LBB214_96
; %bb.95:
	v_lshl_add_u32 v3, v67, 2, -4
	ds_read_b32 v3, v3
.LBB214_96:
	s_or_b64 exec, exec, s[0:1]
	v_add_u32_e32 v5, -1, v66
	v_and_b32_e32 v6, 64, v66
	v_cmp_lt_i32_e32 vcc, v5, v6
	s_waitcnt lgkmcnt(0)
	v_add_u32_e32 v2, v3, v2
	s_waitcnt vmcnt(0)
	ds_read_b32 v34, v4 offset:28
	v_cndmask_b32_e32 v5, v5, v66, vcc
	v_lshlrev_b32_e32 v5, 2, v5
	ds_bpermute_b32 v2, v5, v2
	s_and_saveexec_b64 s[0:1], s[18:19]
	s_cbranch_execz .LBB214_98
; %bb.97:
	v_mov_b32_e32 v4, 0
	v_mov_b32_e32 v35, 2
	s_waitcnt lgkmcnt(1)
	global_store_dwordx2 v4, v[34:35], s[42:43] offset:512 sc1
.LBB214_98:
	s_or_b64 exec, exec, s[0:1]
	v_cmp_eq_u32_e32 vcc, 0, v66
	v_mov_b32_e32 v36, 0
	s_waitcnt lgkmcnt(0)
	v_cndmask_b32_e32 v2, v2, v3, vcc
	v_cndmask_b32_e64 v2, v2, 0, s[18:19]
	v_add_u32_e32 v3, v2, v38
	v_add_u32_e32 v4, v3, v39
	;; [unrolled: 1-line block ×14, first 2 shown]
	s_barrier
.LBB214_99:
	s_movk_i32 s0, 0x201
	s_waitcnt vmcnt(0)
	v_cmp_gt_u32_e32 vcc, s0, v34
	s_mov_b64 s[0:1], -1
	s_cbranch_vccnz .LBB214_103
; %bb.100:
	s_and_b64 vcc, exec, s[0:1]
	s_cbranch_vccnz .LBB214_149
.LBB214_101:
	s_and_b64 s[0:1], s[18:19], s[34:35]
	s_and_saveexec_b64 s[2:3], s[0:1]
	s_cbranch_execnz .LBB214_193
.LBB214_102:
	s_endpgm
.LBB214_103:
	v_add_u32_e32 v17, v36, v34
	v_lshlrev_b64 v[38:39], 2, v[18:19]
	v_cmp_lt_u32_e32 vcc, v2, v17
	v_lshl_add_u64 v[38:39], s[40:41], 0, v[38:39]
	s_or_b64 s[2:3], s[38:39], vcc
	s_and_saveexec_b64 s[0:1], s[2:3]
	s_cbranch_execz .LBB214_106
; %bb.104:
	v_and_b32_e32 v35, 1, v53
	v_cmp_eq_u32_e32 vcc, 1, v35
	s_and_b64 exec, exec, vcc
	s_cbranch_execz .LBB214_106
; %bb.105:
	v_mov_b32_e32 v55, 0
	v_mov_b32_e32 v54, v2
	v_lshl_add_u64 v[54:55], v[54:55], 2, v[38:39]
	global_store_dword v[54:55], v32, off
.LBB214_106:
	s_or_b64 exec, exec, s[0:1]
	v_cmp_lt_u32_e32 vcc, v3, v17
	s_or_b64 s[2:3], s[38:39], vcc
	s_and_saveexec_b64 s[0:1], s[2:3]
	s_cbranch_execz .LBB214_109
; %bb.107:
	v_and_b32_e32 v35, 1, v52
	v_cmp_eq_u32_e32 vcc, 1, v35
	s_and_b64 exec, exec, vcc
	s_cbranch_execz .LBB214_109
; %bb.108:
	v_mov_b32_e32 v55, 0
	v_mov_b32_e32 v54, v3
	v_lshl_add_u64 v[54:55], v[54:55], 2, v[38:39]
	global_store_dword v[54:55], v33, off
.LBB214_109:
	s_or_b64 exec, exec, s[0:1]
	v_cmp_lt_u32_e32 vcc, v4, v17
	;; [unrolled: 16-line block ×14, first 2 shown]
	s_or_b64 s[2:3], s[38:39], vcc
	s_and_saveexec_b64 s[0:1], s[2:3]
	s_cbranch_execz .LBB214_148
; %bb.146:
	v_and_b32_e32 v17, 1, v37
	v_cmp_eq_u32_e32 vcc, 1, v17
	s_and_b64 exec, exec, vcc
	s_cbranch_execz .LBB214_148
; %bb.147:
	v_mov_b32_e32 v17, 0
	v_lshl_add_u64 v[38:39], v[16:17], 2, v[38:39]
	global_store_dword v[38:39], v1, off
.LBB214_148:
	s_or_b64 exec, exec, s[0:1]
	s_branch .LBB214_101
.LBB214_149:
	v_and_b32_e32 v17, 1, v53
	v_cmp_eq_u32_e32 vcc, 1, v17
	s_and_saveexec_b64 s[0:1], vcc
	s_cbranch_execz .LBB214_151
; %bb.150:
	v_sub_u32_e32 v2, v2, v36
	v_lshlrev_b32_e32 v2, 2, v2
	ds_write_b32 v2, v32
.LBB214_151:
	s_or_b64 exec, exec, s[0:1]
	v_and_b32_e32 v2, 1, v52
	v_cmp_eq_u32_e32 vcc, 1, v2
	s_and_saveexec_b64 s[0:1], vcc
	s_cbranch_execz .LBB214_153
; %bb.152:
	v_sub_u32_e32 v2, v3, v36
	v_lshlrev_b32_e32 v2, 2, v2
	ds_write_b32 v2, v33
.LBB214_153:
	s_or_b64 exec, exec, s[0:1]
	;; [unrolled: 10-line block ×15, first 2 shown]
	v_cmp_lt_u32_e32 vcc, v0, v34
	s_waitcnt lgkmcnt(0)
	s_barrier
	s_and_saveexec_b64 s[0:1], vcc
	s_cbranch_execz .LBB214_192
; %bb.180:
	v_mov_b32_e32 v37, 0
	v_lshlrev_b64 v[2:3], 2, v[18:19]
	v_lshl_add_u64 v[2:3], s[40:41], 0, v[2:3]
	v_lshlrev_b64 v[4:5], 2, v[36:37]
	v_xad_u32 v1, v0, -1, v34
	s_movk_i32 s2, 0x1ff
	v_lshl_add_u64 v[2:3], v[2:3], 0, v[4:5]
	v_cmp_lt_u32_e32 vcc, s2, v1
	s_mov_b64 s[4:5], -1
	s_and_saveexec_b64 s[2:3], vcc
	s_cbranch_execz .LBB214_189
; %bb.181:
	v_lshrrev_b32_e32 v8, 9, v1
	v_add_u32_e32 v4, -1, v8
	v_or_b32_e32 v1, 0x200, v0
	v_lshrrev_b32_e32 v5, 1, v4
	v_add_u32_e32 v10, 1, v5
	v_cmp_lt_u32_e32 vcc, 13, v4
	v_lshlrev_b32_e32 v9, 2, v0
	v_mov_b64_e32 v[4:5], v[0:1]
	s_and_saveexec_b64 s[4:5], vcc
	s_cbranch_execz .LBB214_185
; %bb.182:
	v_and_b32_e32 v11, -8, v10
	s_mov_b32 s8, 0
	s_mov_b64 s[6:7], 0
	v_mov_b32_e32 v7, 0
	v_mov_b32_e32 v12, v9
	v_mov_b64_e32 v[4:5], v[0:1]
.LBB214_183:                            ; =>This Inner Loop Header: Depth=1
	ds_read2st64_b32 v[14:15], v12 offset1:8
	v_mov_b32_e32 v6, v4
	ds_read2st64_b32 v[28:29], v12 offset0:48 offset1:56
	v_lshl_add_u64 v[50:51], v[6:7], 2, v[2:3]
	v_mov_b32_e32 v6, v5
	ds_read2st64_b32 v[20:21], v12 offset0:16 offset1:24
	ds_read2st64_b32 v[32:33], v12 offset0:64 offset1:72
	v_lshl_add_u64 v[52:53], v[6:7], 2, v[2:3]
	v_add_u32_e32 v6, 0x400, v4
	ds_read2st64_b32 v[40:41], v12 offset0:80 offset1:88
	v_lshl_add_u64 v[54:55], v[6:7], 2, v[2:3]
	v_add_u32_e32 v6, 0x800, v4
	v_add_u32_e32 v16, 0x400, v5
	v_mov_b32_e32 v17, v7
	v_add_u32_e32 v22, 0x800, v5
	ds_read2st64_b32 v[24:25], v12 offset0:32 offset1:40
	v_mov_b32_e32 v23, v7
	ds_read2st64_b32 v[44:45], v12 offset0:96 offset1:104
	v_lshl_add_u64 v[56:57], v[6:7], 2, v[2:3]
	v_add_u32_e32 v6, 0xc00, v4
	v_add_u32_e32 v26, 0xc00, v5
	v_mov_b32_e32 v27, v7
	ds_read2st64_b32 v[48:49], v12 offset0:112 offset1:120
	v_lshl_add_u64 v[16:17], v[16:17], 2, v[2:3]
	v_lshl_add_u64 v[22:23], v[22:23], 2, v[2:3]
	s_waitcnt lgkmcnt(7)
	global_store_dword v[50:51], v14, off
	global_store_dword v[52:53], v15, off
	s_waitcnt lgkmcnt(5)
	global_store_dword v[54:55], v20, off
	global_store_dword v[16:17], v21, off
	;; [unrolled: 3-line block ×3, first 2 shown]
	v_lshl_add_u64 v[14:15], v[6:7], 2, v[2:3]
	v_add_u32_e32 v6, 0x1000, v4
	v_add_u32_e32 v30, 0x1000, v5
	v_mov_b32_e32 v31, v7
	v_lshl_add_u64 v[26:27], v[26:27], 2, v[2:3]
	global_store_dword v[14:15], v28, off
	global_store_dword v[26:27], v29, off
	v_lshl_add_u64 v[14:15], v[6:7], 2, v[2:3]
	v_add_u32_e32 v6, 0x1400, v4
	v_add_u32_e32 v38, 0x1400, v5
	v_mov_b32_e32 v39, v7
	v_add_u32_e32 v11, -8, v11
	v_lshl_add_u64 v[30:31], v[30:31], 2, v[2:3]
	global_store_dword v[14:15], v32, off
	global_store_dword v[30:31], v33, off
	v_lshl_add_u64 v[14:15], v[6:7], 2, v[2:3]
	v_add_u32_e32 v6, 0x1800, v4
	v_add_u32_e32 v42, 0x1800, v5
	v_mov_b32_e32 v43, v7
	s_add_i32 s8, s8, 16
	v_lshl_add_u64 v[38:39], v[38:39], 2, v[2:3]
	v_cmp_eq_u32_e32 vcc, 0, v11
	global_store_dword v[14:15], v40, off
	global_store_dword v[38:39], v41, off
	v_lshl_add_u64 v[14:15], v[6:7], 2, v[2:3]
	v_add_u32_e32 v6, 0x1c00, v4
	v_add_u32_e32 v46, 0x1c00, v5
	v_mov_b32_e32 v47, v7
	v_add_u32_e32 v12, 0x8000, v12
	v_lshl_add_u64 v[42:43], v[42:43], 2, v[2:3]
	v_add_u32_e32 v5, 0x2000, v5
	v_mov_b32_e32 v37, s8
	s_or_b64 s[6:7], vcc, s[6:7]
	v_add_u32_e32 v4, 0x2000, v4
	s_waitcnt lgkmcnt(1)
	global_store_dword v[14:15], v44, off
	global_store_dword v[42:43], v45, off
	v_lshl_add_u64 v[14:15], v[6:7], 2, v[2:3]
	v_lshl_add_u64 v[46:47], v[46:47], 2, v[2:3]
	s_waitcnt lgkmcnt(0)
	global_store_dword v[14:15], v48, off
	global_store_dword v[46:47], v49, off
	s_andn2_b64 exec, exec, s[6:7]
	s_cbranch_execnz .LBB214_183
; %bb.184:
	s_or_b64 exec, exec, s[6:7]
.LBB214_185:
	s_or_b64 exec, exec, s[4:5]
	v_and_b32_e32 v1, 7, v10
	v_cmp_ne_u32_e32 vcc, 0, v1
	s_and_saveexec_b64 s[4:5], vcc
	s_cbranch_execz .LBB214_188
; %bb.186:
	v_lshl_or_b32 v9, v37, 11, v9
	s_mov_b64 s[6:7], 0
	v_mov_b32_e32 v7, 0
.LBB214_187:                            ; =>This Inner Loop Header: Depth=1
	ds_read2st64_b32 v[10:11], v9 offset1:8
	v_add_u32_e32 v1, -1, v1
	v_mov_b32_e32 v6, v4
	v_cmp_eq_u32_e32 vcc, 0, v1
	v_add_u32_e32 v4, 0x400, v4
	v_add_u32_e32 v9, 0x1000, v9
	v_lshl_add_u64 v[12:13], v[6:7], 2, v[2:3]
	v_mov_b32_e32 v6, v5
	v_add_u32_e32 v5, 0x400, v5
	s_or_b64 s[6:7], vcc, s[6:7]
	v_lshl_add_u64 v[14:15], v[6:7], 2, v[2:3]
	s_waitcnt lgkmcnt(0)
	global_store_dword v[12:13], v10, off
	global_store_dword v[14:15], v11, off
	s_andn2_b64 exec, exec, s[6:7]
	s_cbranch_execnz .LBB214_187
.LBB214_188:
	s_or_b64 exec, exec, s[4:5]
	v_add_u32_e32 v1, 1, v8
	v_and_b32_e32 v4, 0xfffffe, v1
	v_cmp_ne_u32_e32 vcc, v1, v4
	v_lshl_or_b32 v0, v4, 9, v0
	s_orn2_b64 s[4:5], vcc, exec
.LBB214_189:
	s_or_b64 exec, exec, s[2:3]
	s_and_b64 exec, exec, s[4:5]
	s_cbranch_execz .LBB214_192
; %bb.190:
	v_lshlrev_b32_e32 v4, 2, v0
	s_mov_b64 s[2:3], 0
	v_mov_b32_e32 v1, 0
.LBB214_191:                            ; =>This Inner Loop Header: Depth=1
	ds_read_b32 v5, v4
	v_lshl_add_u64 v[6:7], v[0:1], 2, v[2:3]
	v_add_u32_e32 v0, 0x200, v0
	v_cmp_ge_u32_e32 vcc, v0, v34
	v_add_u32_e32 v4, 0x800, v4
	s_or_b64 s[2:3], vcc, s[2:3]
	s_waitcnt lgkmcnt(0)
	global_store_dword v[6:7], v5, off
	s_andn2_b64 exec, exec, s[2:3]
	s_cbranch_execnz .LBB214_191
.LBB214_192:
	s_or_b64 exec, exec, s[0:1]
	s_and_b64 s[0:1], s[18:19], s[34:35]
	s_and_saveexec_b64 s[2:3], s[0:1]
	s_cbranch_execz .LBB214_102
.LBB214_193:
	v_mov_b32_e32 v35, 0
	v_lshl_add_u64 v[0:1], v[18:19], 0, v[34:35]
	v_mov_b32_e32 v37, v35
	v_lshl_add_u64 v[0:1], v[0:1], 0, v[36:37]
	global_store_dwordx2 v35, v[0:1], s[36:37]
	s_endpgm
	.section	.rodata,"a",@progbits
	.p2align	6, 0x0
	.amdhsa_kernel _ZN7rocprim17ROCPRIM_400000_NS6detail17trampoline_kernelINS0_14default_configENS1_25partition_config_selectorILNS1_17partition_subalgoE8EiNS0_10empty_typeEbEEZZNS1_14partition_implILS5_8ELb0ES3_jPKiPS6_PKS6_NS0_5tupleIJPiS6_EEENSE_IJSB_SB_EEENS0_18inequality_wrapperIN6hipcub16HIPCUB_304000_NS8EqualityEEEPlJS6_EEE10hipError_tPvRmT3_T4_T5_T6_T7_T9_mT8_P12ihipStream_tbDpT10_ENKUlT_T0_E_clISt17integral_constantIbLb0EES16_IbLb1EEEEDaS12_S13_EUlS12_E_NS1_11comp_targetILNS1_3genE5ELNS1_11target_archE942ELNS1_3gpuE9ELNS1_3repE0EEENS1_30default_config_static_selectorELNS0_4arch9wavefront6targetE1EEEvT1_
		.amdhsa_group_segment_fixed_size 30728
		.amdhsa_private_segment_fixed_size 0
		.amdhsa_kernarg_size 128
		.amdhsa_user_sgpr_count 2
		.amdhsa_user_sgpr_dispatch_ptr 0
		.amdhsa_user_sgpr_queue_ptr 0
		.amdhsa_user_sgpr_kernarg_segment_ptr 1
		.amdhsa_user_sgpr_dispatch_id 0
		.amdhsa_user_sgpr_kernarg_preload_length 0
		.amdhsa_user_sgpr_kernarg_preload_offset 0
		.amdhsa_user_sgpr_private_segment_size 0
		.amdhsa_uses_dynamic_stack 0
		.amdhsa_enable_private_segment 0
		.amdhsa_system_sgpr_workgroup_id_x 1
		.amdhsa_system_sgpr_workgroup_id_y 0
		.amdhsa_system_sgpr_workgroup_id_z 0
		.amdhsa_system_sgpr_workgroup_info 0
		.amdhsa_system_vgpr_workitem_id 0
		.amdhsa_next_free_vgpr 76
		.amdhsa_next_free_sgpr 51
		.amdhsa_accum_offset 76
		.amdhsa_reserve_vcc 1
		.amdhsa_float_round_mode_32 0
		.amdhsa_float_round_mode_16_64 0
		.amdhsa_float_denorm_mode_32 3
		.amdhsa_float_denorm_mode_16_64 3
		.amdhsa_dx10_clamp 1
		.amdhsa_ieee_mode 1
		.amdhsa_fp16_overflow 0
		.amdhsa_tg_split 0
		.amdhsa_exception_fp_ieee_invalid_op 0
		.amdhsa_exception_fp_denorm_src 0
		.amdhsa_exception_fp_ieee_div_zero 0
		.amdhsa_exception_fp_ieee_overflow 0
		.amdhsa_exception_fp_ieee_underflow 0
		.amdhsa_exception_fp_ieee_inexact 0
		.amdhsa_exception_int_div_zero 0
	.end_amdhsa_kernel
	.section	.text._ZN7rocprim17ROCPRIM_400000_NS6detail17trampoline_kernelINS0_14default_configENS1_25partition_config_selectorILNS1_17partition_subalgoE8EiNS0_10empty_typeEbEEZZNS1_14partition_implILS5_8ELb0ES3_jPKiPS6_PKS6_NS0_5tupleIJPiS6_EEENSE_IJSB_SB_EEENS0_18inequality_wrapperIN6hipcub16HIPCUB_304000_NS8EqualityEEEPlJS6_EEE10hipError_tPvRmT3_T4_T5_T6_T7_T9_mT8_P12ihipStream_tbDpT10_ENKUlT_T0_E_clISt17integral_constantIbLb0EES16_IbLb1EEEEDaS12_S13_EUlS12_E_NS1_11comp_targetILNS1_3genE5ELNS1_11target_archE942ELNS1_3gpuE9ELNS1_3repE0EEENS1_30default_config_static_selectorELNS0_4arch9wavefront6targetE1EEEvT1_,"axG",@progbits,_ZN7rocprim17ROCPRIM_400000_NS6detail17trampoline_kernelINS0_14default_configENS1_25partition_config_selectorILNS1_17partition_subalgoE8EiNS0_10empty_typeEbEEZZNS1_14partition_implILS5_8ELb0ES3_jPKiPS6_PKS6_NS0_5tupleIJPiS6_EEENSE_IJSB_SB_EEENS0_18inequality_wrapperIN6hipcub16HIPCUB_304000_NS8EqualityEEEPlJS6_EEE10hipError_tPvRmT3_T4_T5_T6_T7_T9_mT8_P12ihipStream_tbDpT10_ENKUlT_T0_E_clISt17integral_constantIbLb0EES16_IbLb1EEEEDaS12_S13_EUlS12_E_NS1_11comp_targetILNS1_3genE5ELNS1_11target_archE942ELNS1_3gpuE9ELNS1_3repE0EEENS1_30default_config_static_selectorELNS0_4arch9wavefront6targetE1EEEvT1_,comdat
.Lfunc_end214:
	.size	_ZN7rocprim17ROCPRIM_400000_NS6detail17trampoline_kernelINS0_14default_configENS1_25partition_config_selectorILNS1_17partition_subalgoE8EiNS0_10empty_typeEbEEZZNS1_14partition_implILS5_8ELb0ES3_jPKiPS6_PKS6_NS0_5tupleIJPiS6_EEENSE_IJSB_SB_EEENS0_18inequality_wrapperIN6hipcub16HIPCUB_304000_NS8EqualityEEEPlJS6_EEE10hipError_tPvRmT3_T4_T5_T6_T7_T9_mT8_P12ihipStream_tbDpT10_ENKUlT_T0_E_clISt17integral_constantIbLb0EES16_IbLb1EEEEDaS12_S13_EUlS12_E_NS1_11comp_targetILNS1_3genE5ELNS1_11target_archE942ELNS1_3gpuE9ELNS1_3repE0EEENS1_30default_config_static_selectorELNS0_4arch9wavefront6targetE1EEEvT1_, .Lfunc_end214-_ZN7rocprim17ROCPRIM_400000_NS6detail17trampoline_kernelINS0_14default_configENS1_25partition_config_selectorILNS1_17partition_subalgoE8EiNS0_10empty_typeEbEEZZNS1_14partition_implILS5_8ELb0ES3_jPKiPS6_PKS6_NS0_5tupleIJPiS6_EEENSE_IJSB_SB_EEENS0_18inequality_wrapperIN6hipcub16HIPCUB_304000_NS8EqualityEEEPlJS6_EEE10hipError_tPvRmT3_T4_T5_T6_T7_T9_mT8_P12ihipStream_tbDpT10_ENKUlT_T0_E_clISt17integral_constantIbLb0EES16_IbLb1EEEEDaS12_S13_EUlS12_E_NS1_11comp_targetILNS1_3genE5ELNS1_11target_archE942ELNS1_3gpuE9ELNS1_3repE0EEENS1_30default_config_static_selectorELNS0_4arch9wavefront6targetE1EEEvT1_
                                        ; -- End function
	.section	.AMDGPU.csdata,"",@progbits
; Kernel info:
; codeLenInByte = 8148
; NumSgprs: 57
; NumVgprs: 76
; NumAgprs: 0
; TotalNumVgprs: 76
; ScratchSize: 0
; MemoryBound: 0
; FloatMode: 240
; IeeeMode: 1
; LDSByteSize: 30728 bytes/workgroup (compile time only)
; SGPRBlocks: 7
; VGPRBlocks: 9
; NumSGPRsForWavesPerEU: 57
; NumVGPRsForWavesPerEU: 76
; AccumOffset: 76
; Occupancy: 4
; WaveLimiterHint : 1
; COMPUTE_PGM_RSRC2:SCRATCH_EN: 0
; COMPUTE_PGM_RSRC2:USER_SGPR: 2
; COMPUTE_PGM_RSRC2:TRAP_HANDLER: 0
; COMPUTE_PGM_RSRC2:TGID_X_EN: 1
; COMPUTE_PGM_RSRC2:TGID_Y_EN: 0
; COMPUTE_PGM_RSRC2:TGID_Z_EN: 0
; COMPUTE_PGM_RSRC2:TIDIG_COMP_CNT: 0
; COMPUTE_PGM_RSRC3_GFX90A:ACCUM_OFFSET: 18
; COMPUTE_PGM_RSRC3_GFX90A:TG_SPLIT: 0
	.section	.text._ZN7rocprim17ROCPRIM_400000_NS6detail17trampoline_kernelINS0_14default_configENS1_25partition_config_selectorILNS1_17partition_subalgoE8EiNS0_10empty_typeEbEEZZNS1_14partition_implILS5_8ELb0ES3_jPKiPS6_PKS6_NS0_5tupleIJPiS6_EEENSE_IJSB_SB_EEENS0_18inequality_wrapperIN6hipcub16HIPCUB_304000_NS8EqualityEEEPlJS6_EEE10hipError_tPvRmT3_T4_T5_T6_T7_T9_mT8_P12ihipStream_tbDpT10_ENKUlT_T0_E_clISt17integral_constantIbLb0EES16_IbLb1EEEEDaS12_S13_EUlS12_E_NS1_11comp_targetILNS1_3genE4ELNS1_11target_archE910ELNS1_3gpuE8ELNS1_3repE0EEENS1_30default_config_static_selectorELNS0_4arch9wavefront6targetE1EEEvT1_,"axG",@progbits,_ZN7rocprim17ROCPRIM_400000_NS6detail17trampoline_kernelINS0_14default_configENS1_25partition_config_selectorILNS1_17partition_subalgoE8EiNS0_10empty_typeEbEEZZNS1_14partition_implILS5_8ELb0ES3_jPKiPS6_PKS6_NS0_5tupleIJPiS6_EEENSE_IJSB_SB_EEENS0_18inequality_wrapperIN6hipcub16HIPCUB_304000_NS8EqualityEEEPlJS6_EEE10hipError_tPvRmT3_T4_T5_T6_T7_T9_mT8_P12ihipStream_tbDpT10_ENKUlT_T0_E_clISt17integral_constantIbLb0EES16_IbLb1EEEEDaS12_S13_EUlS12_E_NS1_11comp_targetILNS1_3genE4ELNS1_11target_archE910ELNS1_3gpuE8ELNS1_3repE0EEENS1_30default_config_static_selectorELNS0_4arch9wavefront6targetE1EEEvT1_,comdat
	.protected	_ZN7rocprim17ROCPRIM_400000_NS6detail17trampoline_kernelINS0_14default_configENS1_25partition_config_selectorILNS1_17partition_subalgoE8EiNS0_10empty_typeEbEEZZNS1_14partition_implILS5_8ELb0ES3_jPKiPS6_PKS6_NS0_5tupleIJPiS6_EEENSE_IJSB_SB_EEENS0_18inequality_wrapperIN6hipcub16HIPCUB_304000_NS8EqualityEEEPlJS6_EEE10hipError_tPvRmT3_T4_T5_T6_T7_T9_mT8_P12ihipStream_tbDpT10_ENKUlT_T0_E_clISt17integral_constantIbLb0EES16_IbLb1EEEEDaS12_S13_EUlS12_E_NS1_11comp_targetILNS1_3genE4ELNS1_11target_archE910ELNS1_3gpuE8ELNS1_3repE0EEENS1_30default_config_static_selectorELNS0_4arch9wavefront6targetE1EEEvT1_ ; -- Begin function _ZN7rocprim17ROCPRIM_400000_NS6detail17trampoline_kernelINS0_14default_configENS1_25partition_config_selectorILNS1_17partition_subalgoE8EiNS0_10empty_typeEbEEZZNS1_14partition_implILS5_8ELb0ES3_jPKiPS6_PKS6_NS0_5tupleIJPiS6_EEENSE_IJSB_SB_EEENS0_18inequality_wrapperIN6hipcub16HIPCUB_304000_NS8EqualityEEEPlJS6_EEE10hipError_tPvRmT3_T4_T5_T6_T7_T9_mT8_P12ihipStream_tbDpT10_ENKUlT_T0_E_clISt17integral_constantIbLb0EES16_IbLb1EEEEDaS12_S13_EUlS12_E_NS1_11comp_targetILNS1_3genE4ELNS1_11target_archE910ELNS1_3gpuE8ELNS1_3repE0EEENS1_30default_config_static_selectorELNS0_4arch9wavefront6targetE1EEEvT1_
	.globl	_ZN7rocprim17ROCPRIM_400000_NS6detail17trampoline_kernelINS0_14default_configENS1_25partition_config_selectorILNS1_17partition_subalgoE8EiNS0_10empty_typeEbEEZZNS1_14partition_implILS5_8ELb0ES3_jPKiPS6_PKS6_NS0_5tupleIJPiS6_EEENSE_IJSB_SB_EEENS0_18inequality_wrapperIN6hipcub16HIPCUB_304000_NS8EqualityEEEPlJS6_EEE10hipError_tPvRmT3_T4_T5_T6_T7_T9_mT8_P12ihipStream_tbDpT10_ENKUlT_T0_E_clISt17integral_constantIbLb0EES16_IbLb1EEEEDaS12_S13_EUlS12_E_NS1_11comp_targetILNS1_3genE4ELNS1_11target_archE910ELNS1_3gpuE8ELNS1_3repE0EEENS1_30default_config_static_selectorELNS0_4arch9wavefront6targetE1EEEvT1_
	.p2align	8
	.type	_ZN7rocprim17ROCPRIM_400000_NS6detail17trampoline_kernelINS0_14default_configENS1_25partition_config_selectorILNS1_17partition_subalgoE8EiNS0_10empty_typeEbEEZZNS1_14partition_implILS5_8ELb0ES3_jPKiPS6_PKS6_NS0_5tupleIJPiS6_EEENSE_IJSB_SB_EEENS0_18inequality_wrapperIN6hipcub16HIPCUB_304000_NS8EqualityEEEPlJS6_EEE10hipError_tPvRmT3_T4_T5_T6_T7_T9_mT8_P12ihipStream_tbDpT10_ENKUlT_T0_E_clISt17integral_constantIbLb0EES16_IbLb1EEEEDaS12_S13_EUlS12_E_NS1_11comp_targetILNS1_3genE4ELNS1_11target_archE910ELNS1_3gpuE8ELNS1_3repE0EEENS1_30default_config_static_selectorELNS0_4arch9wavefront6targetE1EEEvT1_,@function
_ZN7rocprim17ROCPRIM_400000_NS6detail17trampoline_kernelINS0_14default_configENS1_25partition_config_selectorILNS1_17partition_subalgoE8EiNS0_10empty_typeEbEEZZNS1_14partition_implILS5_8ELb0ES3_jPKiPS6_PKS6_NS0_5tupleIJPiS6_EEENSE_IJSB_SB_EEENS0_18inequality_wrapperIN6hipcub16HIPCUB_304000_NS8EqualityEEEPlJS6_EEE10hipError_tPvRmT3_T4_T5_T6_T7_T9_mT8_P12ihipStream_tbDpT10_ENKUlT_T0_E_clISt17integral_constantIbLb0EES16_IbLb1EEEEDaS12_S13_EUlS12_E_NS1_11comp_targetILNS1_3genE4ELNS1_11target_archE910ELNS1_3gpuE8ELNS1_3repE0EEENS1_30default_config_static_selectorELNS0_4arch9wavefront6targetE1EEEvT1_: ; @_ZN7rocprim17ROCPRIM_400000_NS6detail17trampoline_kernelINS0_14default_configENS1_25partition_config_selectorILNS1_17partition_subalgoE8EiNS0_10empty_typeEbEEZZNS1_14partition_implILS5_8ELb0ES3_jPKiPS6_PKS6_NS0_5tupleIJPiS6_EEENSE_IJSB_SB_EEENS0_18inequality_wrapperIN6hipcub16HIPCUB_304000_NS8EqualityEEEPlJS6_EEE10hipError_tPvRmT3_T4_T5_T6_T7_T9_mT8_P12ihipStream_tbDpT10_ENKUlT_T0_E_clISt17integral_constantIbLb0EES16_IbLb1EEEEDaS12_S13_EUlS12_E_NS1_11comp_targetILNS1_3genE4ELNS1_11target_archE910ELNS1_3gpuE8ELNS1_3repE0EEENS1_30default_config_static_selectorELNS0_4arch9wavefront6targetE1EEEvT1_
; %bb.0:
	.section	.rodata,"a",@progbits
	.p2align	6, 0x0
	.amdhsa_kernel _ZN7rocprim17ROCPRIM_400000_NS6detail17trampoline_kernelINS0_14default_configENS1_25partition_config_selectorILNS1_17partition_subalgoE8EiNS0_10empty_typeEbEEZZNS1_14partition_implILS5_8ELb0ES3_jPKiPS6_PKS6_NS0_5tupleIJPiS6_EEENSE_IJSB_SB_EEENS0_18inequality_wrapperIN6hipcub16HIPCUB_304000_NS8EqualityEEEPlJS6_EEE10hipError_tPvRmT3_T4_T5_T6_T7_T9_mT8_P12ihipStream_tbDpT10_ENKUlT_T0_E_clISt17integral_constantIbLb0EES16_IbLb1EEEEDaS12_S13_EUlS12_E_NS1_11comp_targetILNS1_3genE4ELNS1_11target_archE910ELNS1_3gpuE8ELNS1_3repE0EEENS1_30default_config_static_selectorELNS0_4arch9wavefront6targetE1EEEvT1_
		.amdhsa_group_segment_fixed_size 0
		.amdhsa_private_segment_fixed_size 0
		.amdhsa_kernarg_size 128
		.amdhsa_user_sgpr_count 2
		.amdhsa_user_sgpr_dispatch_ptr 0
		.amdhsa_user_sgpr_queue_ptr 0
		.amdhsa_user_sgpr_kernarg_segment_ptr 1
		.amdhsa_user_sgpr_dispatch_id 0
		.amdhsa_user_sgpr_kernarg_preload_length 0
		.amdhsa_user_sgpr_kernarg_preload_offset 0
		.amdhsa_user_sgpr_private_segment_size 0
		.amdhsa_uses_dynamic_stack 0
		.amdhsa_enable_private_segment 0
		.amdhsa_system_sgpr_workgroup_id_x 1
		.amdhsa_system_sgpr_workgroup_id_y 0
		.amdhsa_system_sgpr_workgroup_id_z 0
		.amdhsa_system_sgpr_workgroup_info 0
		.amdhsa_system_vgpr_workitem_id 0
		.amdhsa_next_free_vgpr 1
		.amdhsa_next_free_sgpr 0
		.amdhsa_accum_offset 4
		.amdhsa_reserve_vcc 0
		.amdhsa_float_round_mode_32 0
		.amdhsa_float_round_mode_16_64 0
		.amdhsa_float_denorm_mode_32 3
		.amdhsa_float_denorm_mode_16_64 3
		.amdhsa_dx10_clamp 1
		.amdhsa_ieee_mode 1
		.amdhsa_fp16_overflow 0
		.amdhsa_tg_split 0
		.amdhsa_exception_fp_ieee_invalid_op 0
		.amdhsa_exception_fp_denorm_src 0
		.amdhsa_exception_fp_ieee_div_zero 0
		.amdhsa_exception_fp_ieee_overflow 0
		.amdhsa_exception_fp_ieee_underflow 0
		.amdhsa_exception_fp_ieee_inexact 0
		.amdhsa_exception_int_div_zero 0
	.end_amdhsa_kernel
	.section	.text._ZN7rocprim17ROCPRIM_400000_NS6detail17trampoline_kernelINS0_14default_configENS1_25partition_config_selectorILNS1_17partition_subalgoE8EiNS0_10empty_typeEbEEZZNS1_14partition_implILS5_8ELb0ES3_jPKiPS6_PKS6_NS0_5tupleIJPiS6_EEENSE_IJSB_SB_EEENS0_18inequality_wrapperIN6hipcub16HIPCUB_304000_NS8EqualityEEEPlJS6_EEE10hipError_tPvRmT3_T4_T5_T6_T7_T9_mT8_P12ihipStream_tbDpT10_ENKUlT_T0_E_clISt17integral_constantIbLb0EES16_IbLb1EEEEDaS12_S13_EUlS12_E_NS1_11comp_targetILNS1_3genE4ELNS1_11target_archE910ELNS1_3gpuE8ELNS1_3repE0EEENS1_30default_config_static_selectorELNS0_4arch9wavefront6targetE1EEEvT1_,"axG",@progbits,_ZN7rocprim17ROCPRIM_400000_NS6detail17trampoline_kernelINS0_14default_configENS1_25partition_config_selectorILNS1_17partition_subalgoE8EiNS0_10empty_typeEbEEZZNS1_14partition_implILS5_8ELb0ES3_jPKiPS6_PKS6_NS0_5tupleIJPiS6_EEENSE_IJSB_SB_EEENS0_18inequality_wrapperIN6hipcub16HIPCUB_304000_NS8EqualityEEEPlJS6_EEE10hipError_tPvRmT3_T4_T5_T6_T7_T9_mT8_P12ihipStream_tbDpT10_ENKUlT_T0_E_clISt17integral_constantIbLb0EES16_IbLb1EEEEDaS12_S13_EUlS12_E_NS1_11comp_targetILNS1_3genE4ELNS1_11target_archE910ELNS1_3gpuE8ELNS1_3repE0EEENS1_30default_config_static_selectorELNS0_4arch9wavefront6targetE1EEEvT1_,comdat
.Lfunc_end215:
	.size	_ZN7rocprim17ROCPRIM_400000_NS6detail17trampoline_kernelINS0_14default_configENS1_25partition_config_selectorILNS1_17partition_subalgoE8EiNS0_10empty_typeEbEEZZNS1_14partition_implILS5_8ELb0ES3_jPKiPS6_PKS6_NS0_5tupleIJPiS6_EEENSE_IJSB_SB_EEENS0_18inequality_wrapperIN6hipcub16HIPCUB_304000_NS8EqualityEEEPlJS6_EEE10hipError_tPvRmT3_T4_T5_T6_T7_T9_mT8_P12ihipStream_tbDpT10_ENKUlT_T0_E_clISt17integral_constantIbLb0EES16_IbLb1EEEEDaS12_S13_EUlS12_E_NS1_11comp_targetILNS1_3genE4ELNS1_11target_archE910ELNS1_3gpuE8ELNS1_3repE0EEENS1_30default_config_static_selectorELNS0_4arch9wavefront6targetE1EEEvT1_, .Lfunc_end215-_ZN7rocprim17ROCPRIM_400000_NS6detail17trampoline_kernelINS0_14default_configENS1_25partition_config_selectorILNS1_17partition_subalgoE8EiNS0_10empty_typeEbEEZZNS1_14partition_implILS5_8ELb0ES3_jPKiPS6_PKS6_NS0_5tupleIJPiS6_EEENSE_IJSB_SB_EEENS0_18inequality_wrapperIN6hipcub16HIPCUB_304000_NS8EqualityEEEPlJS6_EEE10hipError_tPvRmT3_T4_T5_T6_T7_T9_mT8_P12ihipStream_tbDpT10_ENKUlT_T0_E_clISt17integral_constantIbLb0EES16_IbLb1EEEEDaS12_S13_EUlS12_E_NS1_11comp_targetILNS1_3genE4ELNS1_11target_archE910ELNS1_3gpuE8ELNS1_3repE0EEENS1_30default_config_static_selectorELNS0_4arch9wavefront6targetE1EEEvT1_
                                        ; -- End function
	.section	.AMDGPU.csdata,"",@progbits
; Kernel info:
; codeLenInByte = 0
; NumSgprs: 6
; NumVgprs: 0
; NumAgprs: 0
; TotalNumVgprs: 0
; ScratchSize: 0
; MemoryBound: 0
; FloatMode: 240
; IeeeMode: 1
; LDSByteSize: 0 bytes/workgroup (compile time only)
; SGPRBlocks: 0
; VGPRBlocks: 0
; NumSGPRsForWavesPerEU: 6
; NumVGPRsForWavesPerEU: 1
; AccumOffset: 4
; Occupancy: 8
; WaveLimiterHint : 0
; COMPUTE_PGM_RSRC2:SCRATCH_EN: 0
; COMPUTE_PGM_RSRC2:USER_SGPR: 2
; COMPUTE_PGM_RSRC2:TRAP_HANDLER: 0
; COMPUTE_PGM_RSRC2:TGID_X_EN: 1
; COMPUTE_PGM_RSRC2:TGID_Y_EN: 0
; COMPUTE_PGM_RSRC2:TGID_Z_EN: 0
; COMPUTE_PGM_RSRC2:TIDIG_COMP_CNT: 0
; COMPUTE_PGM_RSRC3_GFX90A:ACCUM_OFFSET: 0
; COMPUTE_PGM_RSRC3_GFX90A:TG_SPLIT: 0
	.section	.text._ZN7rocprim17ROCPRIM_400000_NS6detail17trampoline_kernelINS0_14default_configENS1_25partition_config_selectorILNS1_17partition_subalgoE8EiNS0_10empty_typeEbEEZZNS1_14partition_implILS5_8ELb0ES3_jPKiPS6_PKS6_NS0_5tupleIJPiS6_EEENSE_IJSB_SB_EEENS0_18inequality_wrapperIN6hipcub16HIPCUB_304000_NS8EqualityEEEPlJS6_EEE10hipError_tPvRmT3_T4_T5_T6_T7_T9_mT8_P12ihipStream_tbDpT10_ENKUlT_T0_E_clISt17integral_constantIbLb0EES16_IbLb1EEEEDaS12_S13_EUlS12_E_NS1_11comp_targetILNS1_3genE3ELNS1_11target_archE908ELNS1_3gpuE7ELNS1_3repE0EEENS1_30default_config_static_selectorELNS0_4arch9wavefront6targetE1EEEvT1_,"axG",@progbits,_ZN7rocprim17ROCPRIM_400000_NS6detail17trampoline_kernelINS0_14default_configENS1_25partition_config_selectorILNS1_17partition_subalgoE8EiNS0_10empty_typeEbEEZZNS1_14partition_implILS5_8ELb0ES3_jPKiPS6_PKS6_NS0_5tupleIJPiS6_EEENSE_IJSB_SB_EEENS0_18inequality_wrapperIN6hipcub16HIPCUB_304000_NS8EqualityEEEPlJS6_EEE10hipError_tPvRmT3_T4_T5_T6_T7_T9_mT8_P12ihipStream_tbDpT10_ENKUlT_T0_E_clISt17integral_constantIbLb0EES16_IbLb1EEEEDaS12_S13_EUlS12_E_NS1_11comp_targetILNS1_3genE3ELNS1_11target_archE908ELNS1_3gpuE7ELNS1_3repE0EEENS1_30default_config_static_selectorELNS0_4arch9wavefront6targetE1EEEvT1_,comdat
	.protected	_ZN7rocprim17ROCPRIM_400000_NS6detail17trampoline_kernelINS0_14default_configENS1_25partition_config_selectorILNS1_17partition_subalgoE8EiNS0_10empty_typeEbEEZZNS1_14partition_implILS5_8ELb0ES3_jPKiPS6_PKS6_NS0_5tupleIJPiS6_EEENSE_IJSB_SB_EEENS0_18inequality_wrapperIN6hipcub16HIPCUB_304000_NS8EqualityEEEPlJS6_EEE10hipError_tPvRmT3_T4_T5_T6_T7_T9_mT8_P12ihipStream_tbDpT10_ENKUlT_T0_E_clISt17integral_constantIbLb0EES16_IbLb1EEEEDaS12_S13_EUlS12_E_NS1_11comp_targetILNS1_3genE3ELNS1_11target_archE908ELNS1_3gpuE7ELNS1_3repE0EEENS1_30default_config_static_selectorELNS0_4arch9wavefront6targetE1EEEvT1_ ; -- Begin function _ZN7rocprim17ROCPRIM_400000_NS6detail17trampoline_kernelINS0_14default_configENS1_25partition_config_selectorILNS1_17partition_subalgoE8EiNS0_10empty_typeEbEEZZNS1_14partition_implILS5_8ELb0ES3_jPKiPS6_PKS6_NS0_5tupleIJPiS6_EEENSE_IJSB_SB_EEENS0_18inequality_wrapperIN6hipcub16HIPCUB_304000_NS8EqualityEEEPlJS6_EEE10hipError_tPvRmT3_T4_T5_T6_T7_T9_mT8_P12ihipStream_tbDpT10_ENKUlT_T0_E_clISt17integral_constantIbLb0EES16_IbLb1EEEEDaS12_S13_EUlS12_E_NS1_11comp_targetILNS1_3genE3ELNS1_11target_archE908ELNS1_3gpuE7ELNS1_3repE0EEENS1_30default_config_static_selectorELNS0_4arch9wavefront6targetE1EEEvT1_
	.globl	_ZN7rocprim17ROCPRIM_400000_NS6detail17trampoline_kernelINS0_14default_configENS1_25partition_config_selectorILNS1_17partition_subalgoE8EiNS0_10empty_typeEbEEZZNS1_14partition_implILS5_8ELb0ES3_jPKiPS6_PKS6_NS0_5tupleIJPiS6_EEENSE_IJSB_SB_EEENS0_18inequality_wrapperIN6hipcub16HIPCUB_304000_NS8EqualityEEEPlJS6_EEE10hipError_tPvRmT3_T4_T5_T6_T7_T9_mT8_P12ihipStream_tbDpT10_ENKUlT_T0_E_clISt17integral_constantIbLb0EES16_IbLb1EEEEDaS12_S13_EUlS12_E_NS1_11comp_targetILNS1_3genE3ELNS1_11target_archE908ELNS1_3gpuE7ELNS1_3repE0EEENS1_30default_config_static_selectorELNS0_4arch9wavefront6targetE1EEEvT1_
	.p2align	8
	.type	_ZN7rocprim17ROCPRIM_400000_NS6detail17trampoline_kernelINS0_14default_configENS1_25partition_config_selectorILNS1_17partition_subalgoE8EiNS0_10empty_typeEbEEZZNS1_14partition_implILS5_8ELb0ES3_jPKiPS6_PKS6_NS0_5tupleIJPiS6_EEENSE_IJSB_SB_EEENS0_18inequality_wrapperIN6hipcub16HIPCUB_304000_NS8EqualityEEEPlJS6_EEE10hipError_tPvRmT3_T4_T5_T6_T7_T9_mT8_P12ihipStream_tbDpT10_ENKUlT_T0_E_clISt17integral_constantIbLb0EES16_IbLb1EEEEDaS12_S13_EUlS12_E_NS1_11comp_targetILNS1_3genE3ELNS1_11target_archE908ELNS1_3gpuE7ELNS1_3repE0EEENS1_30default_config_static_selectorELNS0_4arch9wavefront6targetE1EEEvT1_,@function
_ZN7rocprim17ROCPRIM_400000_NS6detail17trampoline_kernelINS0_14default_configENS1_25partition_config_selectorILNS1_17partition_subalgoE8EiNS0_10empty_typeEbEEZZNS1_14partition_implILS5_8ELb0ES3_jPKiPS6_PKS6_NS0_5tupleIJPiS6_EEENSE_IJSB_SB_EEENS0_18inequality_wrapperIN6hipcub16HIPCUB_304000_NS8EqualityEEEPlJS6_EEE10hipError_tPvRmT3_T4_T5_T6_T7_T9_mT8_P12ihipStream_tbDpT10_ENKUlT_T0_E_clISt17integral_constantIbLb0EES16_IbLb1EEEEDaS12_S13_EUlS12_E_NS1_11comp_targetILNS1_3genE3ELNS1_11target_archE908ELNS1_3gpuE7ELNS1_3repE0EEENS1_30default_config_static_selectorELNS0_4arch9wavefront6targetE1EEEvT1_: ; @_ZN7rocprim17ROCPRIM_400000_NS6detail17trampoline_kernelINS0_14default_configENS1_25partition_config_selectorILNS1_17partition_subalgoE8EiNS0_10empty_typeEbEEZZNS1_14partition_implILS5_8ELb0ES3_jPKiPS6_PKS6_NS0_5tupleIJPiS6_EEENSE_IJSB_SB_EEENS0_18inequality_wrapperIN6hipcub16HIPCUB_304000_NS8EqualityEEEPlJS6_EEE10hipError_tPvRmT3_T4_T5_T6_T7_T9_mT8_P12ihipStream_tbDpT10_ENKUlT_T0_E_clISt17integral_constantIbLb0EES16_IbLb1EEEEDaS12_S13_EUlS12_E_NS1_11comp_targetILNS1_3genE3ELNS1_11target_archE908ELNS1_3gpuE7ELNS1_3repE0EEENS1_30default_config_static_selectorELNS0_4arch9wavefront6targetE1EEEvT1_
; %bb.0:
	.section	.rodata,"a",@progbits
	.p2align	6, 0x0
	.amdhsa_kernel _ZN7rocprim17ROCPRIM_400000_NS6detail17trampoline_kernelINS0_14default_configENS1_25partition_config_selectorILNS1_17partition_subalgoE8EiNS0_10empty_typeEbEEZZNS1_14partition_implILS5_8ELb0ES3_jPKiPS6_PKS6_NS0_5tupleIJPiS6_EEENSE_IJSB_SB_EEENS0_18inequality_wrapperIN6hipcub16HIPCUB_304000_NS8EqualityEEEPlJS6_EEE10hipError_tPvRmT3_T4_T5_T6_T7_T9_mT8_P12ihipStream_tbDpT10_ENKUlT_T0_E_clISt17integral_constantIbLb0EES16_IbLb1EEEEDaS12_S13_EUlS12_E_NS1_11comp_targetILNS1_3genE3ELNS1_11target_archE908ELNS1_3gpuE7ELNS1_3repE0EEENS1_30default_config_static_selectorELNS0_4arch9wavefront6targetE1EEEvT1_
		.amdhsa_group_segment_fixed_size 0
		.amdhsa_private_segment_fixed_size 0
		.amdhsa_kernarg_size 128
		.amdhsa_user_sgpr_count 2
		.amdhsa_user_sgpr_dispatch_ptr 0
		.amdhsa_user_sgpr_queue_ptr 0
		.amdhsa_user_sgpr_kernarg_segment_ptr 1
		.amdhsa_user_sgpr_dispatch_id 0
		.amdhsa_user_sgpr_kernarg_preload_length 0
		.amdhsa_user_sgpr_kernarg_preload_offset 0
		.amdhsa_user_sgpr_private_segment_size 0
		.amdhsa_uses_dynamic_stack 0
		.amdhsa_enable_private_segment 0
		.amdhsa_system_sgpr_workgroup_id_x 1
		.amdhsa_system_sgpr_workgroup_id_y 0
		.amdhsa_system_sgpr_workgroup_id_z 0
		.amdhsa_system_sgpr_workgroup_info 0
		.amdhsa_system_vgpr_workitem_id 0
		.amdhsa_next_free_vgpr 1
		.amdhsa_next_free_sgpr 0
		.amdhsa_accum_offset 4
		.amdhsa_reserve_vcc 0
		.amdhsa_float_round_mode_32 0
		.amdhsa_float_round_mode_16_64 0
		.amdhsa_float_denorm_mode_32 3
		.amdhsa_float_denorm_mode_16_64 3
		.amdhsa_dx10_clamp 1
		.amdhsa_ieee_mode 1
		.amdhsa_fp16_overflow 0
		.amdhsa_tg_split 0
		.amdhsa_exception_fp_ieee_invalid_op 0
		.amdhsa_exception_fp_denorm_src 0
		.amdhsa_exception_fp_ieee_div_zero 0
		.amdhsa_exception_fp_ieee_overflow 0
		.amdhsa_exception_fp_ieee_underflow 0
		.amdhsa_exception_fp_ieee_inexact 0
		.amdhsa_exception_int_div_zero 0
	.end_amdhsa_kernel
	.section	.text._ZN7rocprim17ROCPRIM_400000_NS6detail17trampoline_kernelINS0_14default_configENS1_25partition_config_selectorILNS1_17partition_subalgoE8EiNS0_10empty_typeEbEEZZNS1_14partition_implILS5_8ELb0ES3_jPKiPS6_PKS6_NS0_5tupleIJPiS6_EEENSE_IJSB_SB_EEENS0_18inequality_wrapperIN6hipcub16HIPCUB_304000_NS8EqualityEEEPlJS6_EEE10hipError_tPvRmT3_T4_T5_T6_T7_T9_mT8_P12ihipStream_tbDpT10_ENKUlT_T0_E_clISt17integral_constantIbLb0EES16_IbLb1EEEEDaS12_S13_EUlS12_E_NS1_11comp_targetILNS1_3genE3ELNS1_11target_archE908ELNS1_3gpuE7ELNS1_3repE0EEENS1_30default_config_static_selectorELNS0_4arch9wavefront6targetE1EEEvT1_,"axG",@progbits,_ZN7rocprim17ROCPRIM_400000_NS6detail17trampoline_kernelINS0_14default_configENS1_25partition_config_selectorILNS1_17partition_subalgoE8EiNS0_10empty_typeEbEEZZNS1_14partition_implILS5_8ELb0ES3_jPKiPS6_PKS6_NS0_5tupleIJPiS6_EEENSE_IJSB_SB_EEENS0_18inequality_wrapperIN6hipcub16HIPCUB_304000_NS8EqualityEEEPlJS6_EEE10hipError_tPvRmT3_T4_T5_T6_T7_T9_mT8_P12ihipStream_tbDpT10_ENKUlT_T0_E_clISt17integral_constantIbLb0EES16_IbLb1EEEEDaS12_S13_EUlS12_E_NS1_11comp_targetILNS1_3genE3ELNS1_11target_archE908ELNS1_3gpuE7ELNS1_3repE0EEENS1_30default_config_static_selectorELNS0_4arch9wavefront6targetE1EEEvT1_,comdat
.Lfunc_end216:
	.size	_ZN7rocprim17ROCPRIM_400000_NS6detail17trampoline_kernelINS0_14default_configENS1_25partition_config_selectorILNS1_17partition_subalgoE8EiNS0_10empty_typeEbEEZZNS1_14partition_implILS5_8ELb0ES3_jPKiPS6_PKS6_NS0_5tupleIJPiS6_EEENSE_IJSB_SB_EEENS0_18inequality_wrapperIN6hipcub16HIPCUB_304000_NS8EqualityEEEPlJS6_EEE10hipError_tPvRmT3_T4_T5_T6_T7_T9_mT8_P12ihipStream_tbDpT10_ENKUlT_T0_E_clISt17integral_constantIbLb0EES16_IbLb1EEEEDaS12_S13_EUlS12_E_NS1_11comp_targetILNS1_3genE3ELNS1_11target_archE908ELNS1_3gpuE7ELNS1_3repE0EEENS1_30default_config_static_selectorELNS0_4arch9wavefront6targetE1EEEvT1_, .Lfunc_end216-_ZN7rocprim17ROCPRIM_400000_NS6detail17trampoline_kernelINS0_14default_configENS1_25partition_config_selectorILNS1_17partition_subalgoE8EiNS0_10empty_typeEbEEZZNS1_14partition_implILS5_8ELb0ES3_jPKiPS6_PKS6_NS0_5tupleIJPiS6_EEENSE_IJSB_SB_EEENS0_18inequality_wrapperIN6hipcub16HIPCUB_304000_NS8EqualityEEEPlJS6_EEE10hipError_tPvRmT3_T4_T5_T6_T7_T9_mT8_P12ihipStream_tbDpT10_ENKUlT_T0_E_clISt17integral_constantIbLb0EES16_IbLb1EEEEDaS12_S13_EUlS12_E_NS1_11comp_targetILNS1_3genE3ELNS1_11target_archE908ELNS1_3gpuE7ELNS1_3repE0EEENS1_30default_config_static_selectorELNS0_4arch9wavefront6targetE1EEEvT1_
                                        ; -- End function
	.section	.AMDGPU.csdata,"",@progbits
; Kernel info:
; codeLenInByte = 0
; NumSgprs: 6
; NumVgprs: 0
; NumAgprs: 0
; TotalNumVgprs: 0
; ScratchSize: 0
; MemoryBound: 0
; FloatMode: 240
; IeeeMode: 1
; LDSByteSize: 0 bytes/workgroup (compile time only)
; SGPRBlocks: 0
; VGPRBlocks: 0
; NumSGPRsForWavesPerEU: 6
; NumVGPRsForWavesPerEU: 1
; AccumOffset: 4
; Occupancy: 8
; WaveLimiterHint : 0
; COMPUTE_PGM_RSRC2:SCRATCH_EN: 0
; COMPUTE_PGM_RSRC2:USER_SGPR: 2
; COMPUTE_PGM_RSRC2:TRAP_HANDLER: 0
; COMPUTE_PGM_RSRC2:TGID_X_EN: 1
; COMPUTE_PGM_RSRC2:TGID_Y_EN: 0
; COMPUTE_PGM_RSRC2:TGID_Z_EN: 0
; COMPUTE_PGM_RSRC2:TIDIG_COMP_CNT: 0
; COMPUTE_PGM_RSRC3_GFX90A:ACCUM_OFFSET: 0
; COMPUTE_PGM_RSRC3_GFX90A:TG_SPLIT: 0
	.section	.text._ZN7rocprim17ROCPRIM_400000_NS6detail17trampoline_kernelINS0_14default_configENS1_25partition_config_selectorILNS1_17partition_subalgoE8EiNS0_10empty_typeEbEEZZNS1_14partition_implILS5_8ELb0ES3_jPKiPS6_PKS6_NS0_5tupleIJPiS6_EEENSE_IJSB_SB_EEENS0_18inequality_wrapperIN6hipcub16HIPCUB_304000_NS8EqualityEEEPlJS6_EEE10hipError_tPvRmT3_T4_T5_T6_T7_T9_mT8_P12ihipStream_tbDpT10_ENKUlT_T0_E_clISt17integral_constantIbLb0EES16_IbLb1EEEEDaS12_S13_EUlS12_E_NS1_11comp_targetILNS1_3genE2ELNS1_11target_archE906ELNS1_3gpuE6ELNS1_3repE0EEENS1_30default_config_static_selectorELNS0_4arch9wavefront6targetE1EEEvT1_,"axG",@progbits,_ZN7rocprim17ROCPRIM_400000_NS6detail17trampoline_kernelINS0_14default_configENS1_25partition_config_selectorILNS1_17partition_subalgoE8EiNS0_10empty_typeEbEEZZNS1_14partition_implILS5_8ELb0ES3_jPKiPS6_PKS6_NS0_5tupleIJPiS6_EEENSE_IJSB_SB_EEENS0_18inequality_wrapperIN6hipcub16HIPCUB_304000_NS8EqualityEEEPlJS6_EEE10hipError_tPvRmT3_T4_T5_T6_T7_T9_mT8_P12ihipStream_tbDpT10_ENKUlT_T0_E_clISt17integral_constantIbLb0EES16_IbLb1EEEEDaS12_S13_EUlS12_E_NS1_11comp_targetILNS1_3genE2ELNS1_11target_archE906ELNS1_3gpuE6ELNS1_3repE0EEENS1_30default_config_static_selectorELNS0_4arch9wavefront6targetE1EEEvT1_,comdat
	.protected	_ZN7rocprim17ROCPRIM_400000_NS6detail17trampoline_kernelINS0_14default_configENS1_25partition_config_selectorILNS1_17partition_subalgoE8EiNS0_10empty_typeEbEEZZNS1_14partition_implILS5_8ELb0ES3_jPKiPS6_PKS6_NS0_5tupleIJPiS6_EEENSE_IJSB_SB_EEENS0_18inequality_wrapperIN6hipcub16HIPCUB_304000_NS8EqualityEEEPlJS6_EEE10hipError_tPvRmT3_T4_T5_T6_T7_T9_mT8_P12ihipStream_tbDpT10_ENKUlT_T0_E_clISt17integral_constantIbLb0EES16_IbLb1EEEEDaS12_S13_EUlS12_E_NS1_11comp_targetILNS1_3genE2ELNS1_11target_archE906ELNS1_3gpuE6ELNS1_3repE0EEENS1_30default_config_static_selectorELNS0_4arch9wavefront6targetE1EEEvT1_ ; -- Begin function _ZN7rocprim17ROCPRIM_400000_NS6detail17trampoline_kernelINS0_14default_configENS1_25partition_config_selectorILNS1_17partition_subalgoE8EiNS0_10empty_typeEbEEZZNS1_14partition_implILS5_8ELb0ES3_jPKiPS6_PKS6_NS0_5tupleIJPiS6_EEENSE_IJSB_SB_EEENS0_18inequality_wrapperIN6hipcub16HIPCUB_304000_NS8EqualityEEEPlJS6_EEE10hipError_tPvRmT3_T4_T5_T6_T7_T9_mT8_P12ihipStream_tbDpT10_ENKUlT_T0_E_clISt17integral_constantIbLb0EES16_IbLb1EEEEDaS12_S13_EUlS12_E_NS1_11comp_targetILNS1_3genE2ELNS1_11target_archE906ELNS1_3gpuE6ELNS1_3repE0EEENS1_30default_config_static_selectorELNS0_4arch9wavefront6targetE1EEEvT1_
	.globl	_ZN7rocprim17ROCPRIM_400000_NS6detail17trampoline_kernelINS0_14default_configENS1_25partition_config_selectorILNS1_17partition_subalgoE8EiNS0_10empty_typeEbEEZZNS1_14partition_implILS5_8ELb0ES3_jPKiPS6_PKS6_NS0_5tupleIJPiS6_EEENSE_IJSB_SB_EEENS0_18inequality_wrapperIN6hipcub16HIPCUB_304000_NS8EqualityEEEPlJS6_EEE10hipError_tPvRmT3_T4_T5_T6_T7_T9_mT8_P12ihipStream_tbDpT10_ENKUlT_T0_E_clISt17integral_constantIbLb0EES16_IbLb1EEEEDaS12_S13_EUlS12_E_NS1_11comp_targetILNS1_3genE2ELNS1_11target_archE906ELNS1_3gpuE6ELNS1_3repE0EEENS1_30default_config_static_selectorELNS0_4arch9wavefront6targetE1EEEvT1_
	.p2align	8
	.type	_ZN7rocprim17ROCPRIM_400000_NS6detail17trampoline_kernelINS0_14default_configENS1_25partition_config_selectorILNS1_17partition_subalgoE8EiNS0_10empty_typeEbEEZZNS1_14partition_implILS5_8ELb0ES3_jPKiPS6_PKS6_NS0_5tupleIJPiS6_EEENSE_IJSB_SB_EEENS0_18inequality_wrapperIN6hipcub16HIPCUB_304000_NS8EqualityEEEPlJS6_EEE10hipError_tPvRmT3_T4_T5_T6_T7_T9_mT8_P12ihipStream_tbDpT10_ENKUlT_T0_E_clISt17integral_constantIbLb0EES16_IbLb1EEEEDaS12_S13_EUlS12_E_NS1_11comp_targetILNS1_3genE2ELNS1_11target_archE906ELNS1_3gpuE6ELNS1_3repE0EEENS1_30default_config_static_selectorELNS0_4arch9wavefront6targetE1EEEvT1_,@function
_ZN7rocprim17ROCPRIM_400000_NS6detail17trampoline_kernelINS0_14default_configENS1_25partition_config_selectorILNS1_17partition_subalgoE8EiNS0_10empty_typeEbEEZZNS1_14partition_implILS5_8ELb0ES3_jPKiPS6_PKS6_NS0_5tupleIJPiS6_EEENSE_IJSB_SB_EEENS0_18inequality_wrapperIN6hipcub16HIPCUB_304000_NS8EqualityEEEPlJS6_EEE10hipError_tPvRmT3_T4_T5_T6_T7_T9_mT8_P12ihipStream_tbDpT10_ENKUlT_T0_E_clISt17integral_constantIbLb0EES16_IbLb1EEEEDaS12_S13_EUlS12_E_NS1_11comp_targetILNS1_3genE2ELNS1_11target_archE906ELNS1_3gpuE6ELNS1_3repE0EEENS1_30default_config_static_selectorELNS0_4arch9wavefront6targetE1EEEvT1_: ; @_ZN7rocprim17ROCPRIM_400000_NS6detail17trampoline_kernelINS0_14default_configENS1_25partition_config_selectorILNS1_17partition_subalgoE8EiNS0_10empty_typeEbEEZZNS1_14partition_implILS5_8ELb0ES3_jPKiPS6_PKS6_NS0_5tupleIJPiS6_EEENSE_IJSB_SB_EEENS0_18inequality_wrapperIN6hipcub16HIPCUB_304000_NS8EqualityEEEPlJS6_EEE10hipError_tPvRmT3_T4_T5_T6_T7_T9_mT8_P12ihipStream_tbDpT10_ENKUlT_T0_E_clISt17integral_constantIbLb0EES16_IbLb1EEEEDaS12_S13_EUlS12_E_NS1_11comp_targetILNS1_3genE2ELNS1_11target_archE906ELNS1_3gpuE6ELNS1_3repE0EEENS1_30default_config_static_selectorELNS0_4arch9wavefront6targetE1EEEvT1_
; %bb.0:
	.section	.rodata,"a",@progbits
	.p2align	6, 0x0
	.amdhsa_kernel _ZN7rocprim17ROCPRIM_400000_NS6detail17trampoline_kernelINS0_14default_configENS1_25partition_config_selectorILNS1_17partition_subalgoE8EiNS0_10empty_typeEbEEZZNS1_14partition_implILS5_8ELb0ES3_jPKiPS6_PKS6_NS0_5tupleIJPiS6_EEENSE_IJSB_SB_EEENS0_18inequality_wrapperIN6hipcub16HIPCUB_304000_NS8EqualityEEEPlJS6_EEE10hipError_tPvRmT3_T4_T5_T6_T7_T9_mT8_P12ihipStream_tbDpT10_ENKUlT_T0_E_clISt17integral_constantIbLb0EES16_IbLb1EEEEDaS12_S13_EUlS12_E_NS1_11comp_targetILNS1_3genE2ELNS1_11target_archE906ELNS1_3gpuE6ELNS1_3repE0EEENS1_30default_config_static_selectorELNS0_4arch9wavefront6targetE1EEEvT1_
		.amdhsa_group_segment_fixed_size 0
		.amdhsa_private_segment_fixed_size 0
		.amdhsa_kernarg_size 128
		.amdhsa_user_sgpr_count 2
		.amdhsa_user_sgpr_dispatch_ptr 0
		.amdhsa_user_sgpr_queue_ptr 0
		.amdhsa_user_sgpr_kernarg_segment_ptr 1
		.amdhsa_user_sgpr_dispatch_id 0
		.amdhsa_user_sgpr_kernarg_preload_length 0
		.amdhsa_user_sgpr_kernarg_preload_offset 0
		.amdhsa_user_sgpr_private_segment_size 0
		.amdhsa_uses_dynamic_stack 0
		.amdhsa_enable_private_segment 0
		.amdhsa_system_sgpr_workgroup_id_x 1
		.amdhsa_system_sgpr_workgroup_id_y 0
		.amdhsa_system_sgpr_workgroup_id_z 0
		.amdhsa_system_sgpr_workgroup_info 0
		.amdhsa_system_vgpr_workitem_id 0
		.amdhsa_next_free_vgpr 1
		.amdhsa_next_free_sgpr 0
		.amdhsa_accum_offset 4
		.amdhsa_reserve_vcc 0
		.amdhsa_float_round_mode_32 0
		.amdhsa_float_round_mode_16_64 0
		.amdhsa_float_denorm_mode_32 3
		.amdhsa_float_denorm_mode_16_64 3
		.amdhsa_dx10_clamp 1
		.amdhsa_ieee_mode 1
		.amdhsa_fp16_overflow 0
		.amdhsa_tg_split 0
		.amdhsa_exception_fp_ieee_invalid_op 0
		.amdhsa_exception_fp_denorm_src 0
		.amdhsa_exception_fp_ieee_div_zero 0
		.amdhsa_exception_fp_ieee_overflow 0
		.amdhsa_exception_fp_ieee_underflow 0
		.amdhsa_exception_fp_ieee_inexact 0
		.amdhsa_exception_int_div_zero 0
	.end_amdhsa_kernel
	.section	.text._ZN7rocprim17ROCPRIM_400000_NS6detail17trampoline_kernelINS0_14default_configENS1_25partition_config_selectorILNS1_17partition_subalgoE8EiNS0_10empty_typeEbEEZZNS1_14partition_implILS5_8ELb0ES3_jPKiPS6_PKS6_NS0_5tupleIJPiS6_EEENSE_IJSB_SB_EEENS0_18inequality_wrapperIN6hipcub16HIPCUB_304000_NS8EqualityEEEPlJS6_EEE10hipError_tPvRmT3_T4_T5_T6_T7_T9_mT8_P12ihipStream_tbDpT10_ENKUlT_T0_E_clISt17integral_constantIbLb0EES16_IbLb1EEEEDaS12_S13_EUlS12_E_NS1_11comp_targetILNS1_3genE2ELNS1_11target_archE906ELNS1_3gpuE6ELNS1_3repE0EEENS1_30default_config_static_selectorELNS0_4arch9wavefront6targetE1EEEvT1_,"axG",@progbits,_ZN7rocprim17ROCPRIM_400000_NS6detail17trampoline_kernelINS0_14default_configENS1_25partition_config_selectorILNS1_17partition_subalgoE8EiNS0_10empty_typeEbEEZZNS1_14partition_implILS5_8ELb0ES3_jPKiPS6_PKS6_NS0_5tupleIJPiS6_EEENSE_IJSB_SB_EEENS0_18inequality_wrapperIN6hipcub16HIPCUB_304000_NS8EqualityEEEPlJS6_EEE10hipError_tPvRmT3_T4_T5_T6_T7_T9_mT8_P12ihipStream_tbDpT10_ENKUlT_T0_E_clISt17integral_constantIbLb0EES16_IbLb1EEEEDaS12_S13_EUlS12_E_NS1_11comp_targetILNS1_3genE2ELNS1_11target_archE906ELNS1_3gpuE6ELNS1_3repE0EEENS1_30default_config_static_selectorELNS0_4arch9wavefront6targetE1EEEvT1_,comdat
.Lfunc_end217:
	.size	_ZN7rocprim17ROCPRIM_400000_NS6detail17trampoline_kernelINS0_14default_configENS1_25partition_config_selectorILNS1_17partition_subalgoE8EiNS0_10empty_typeEbEEZZNS1_14partition_implILS5_8ELb0ES3_jPKiPS6_PKS6_NS0_5tupleIJPiS6_EEENSE_IJSB_SB_EEENS0_18inequality_wrapperIN6hipcub16HIPCUB_304000_NS8EqualityEEEPlJS6_EEE10hipError_tPvRmT3_T4_T5_T6_T7_T9_mT8_P12ihipStream_tbDpT10_ENKUlT_T0_E_clISt17integral_constantIbLb0EES16_IbLb1EEEEDaS12_S13_EUlS12_E_NS1_11comp_targetILNS1_3genE2ELNS1_11target_archE906ELNS1_3gpuE6ELNS1_3repE0EEENS1_30default_config_static_selectorELNS0_4arch9wavefront6targetE1EEEvT1_, .Lfunc_end217-_ZN7rocprim17ROCPRIM_400000_NS6detail17trampoline_kernelINS0_14default_configENS1_25partition_config_selectorILNS1_17partition_subalgoE8EiNS0_10empty_typeEbEEZZNS1_14partition_implILS5_8ELb0ES3_jPKiPS6_PKS6_NS0_5tupleIJPiS6_EEENSE_IJSB_SB_EEENS0_18inequality_wrapperIN6hipcub16HIPCUB_304000_NS8EqualityEEEPlJS6_EEE10hipError_tPvRmT3_T4_T5_T6_T7_T9_mT8_P12ihipStream_tbDpT10_ENKUlT_T0_E_clISt17integral_constantIbLb0EES16_IbLb1EEEEDaS12_S13_EUlS12_E_NS1_11comp_targetILNS1_3genE2ELNS1_11target_archE906ELNS1_3gpuE6ELNS1_3repE0EEENS1_30default_config_static_selectorELNS0_4arch9wavefront6targetE1EEEvT1_
                                        ; -- End function
	.section	.AMDGPU.csdata,"",@progbits
; Kernel info:
; codeLenInByte = 0
; NumSgprs: 6
; NumVgprs: 0
; NumAgprs: 0
; TotalNumVgprs: 0
; ScratchSize: 0
; MemoryBound: 0
; FloatMode: 240
; IeeeMode: 1
; LDSByteSize: 0 bytes/workgroup (compile time only)
; SGPRBlocks: 0
; VGPRBlocks: 0
; NumSGPRsForWavesPerEU: 6
; NumVGPRsForWavesPerEU: 1
; AccumOffset: 4
; Occupancy: 8
; WaveLimiterHint : 0
; COMPUTE_PGM_RSRC2:SCRATCH_EN: 0
; COMPUTE_PGM_RSRC2:USER_SGPR: 2
; COMPUTE_PGM_RSRC2:TRAP_HANDLER: 0
; COMPUTE_PGM_RSRC2:TGID_X_EN: 1
; COMPUTE_PGM_RSRC2:TGID_Y_EN: 0
; COMPUTE_PGM_RSRC2:TGID_Z_EN: 0
; COMPUTE_PGM_RSRC2:TIDIG_COMP_CNT: 0
; COMPUTE_PGM_RSRC3_GFX90A:ACCUM_OFFSET: 0
; COMPUTE_PGM_RSRC3_GFX90A:TG_SPLIT: 0
	.section	.text._ZN7rocprim17ROCPRIM_400000_NS6detail17trampoline_kernelINS0_14default_configENS1_25partition_config_selectorILNS1_17partition_subalgoE8EiNS0_10empty_typeEbEEZZNS1_14partition_implILS5_8ELb0ES3_jPKiPS6_PKS6_NS0_5tupleIJPiS6_EEENSE_IJSB_SB_EEENS0_18inequality_wrapperIN6hipcub16HIPCUB_304000_NS8EqualityEEEPlJS6_EEE10hipError_tPvRmT3_T4_T5_T6_T7_T9_mT8_P12ihipStream_tbDpT10_ENKUlT_T0_E_clISt17integral_constantIbLb0EES16_IbLb1EEEEDaS12_S13_EUlS12_E_NS1_11comp_targetILNS1_3genE10ELNS1_11target_archE1200ELNS1_3gpuE4ELNS1_3repE0EEENS1_30default_config_static_selectorELNS0_4arch9wavefront6targetE1EEEvT1_,"axG",@progbits,_ZN7rocprim17ROCPRIM_400000_NS6detail17trampoline_kernelINS0_14default_configENS1_25partition_config_selectorILNS1_17partition_subalgoE8EiNS0_10empty_typeEbEEZZNS1_14partition_implILS5_8ELb0ES3_jPKiPS6_PKS6_NS0_5tupleIJPiS6_EEENSE_IJSB_SB_EEENS0_18inequality_wrapperIN6hipcub16HIPCUB_304000_NS8EqualityEEEPlJS6_EEE10hipError_tPvRmT3_T4_T5_T6_T7_T9_mT8_P12ihipStream_tbDpT10_ENKUlT_T0_E_clISt17integral_constantIbLb0EES16_IbLb1EEEEDaS12_S13_EUlS12_E_NS1_11comp_targetILNS1_3genE10ELNS1_11target_archE1200ELNS1_3gpuE4ELNS1_3repE0EEENS1_30default_config_static_selectorELNS0_4arch9wavefront6targetE1EEEvT1_,comdat
	.protected	_ZN7rocprim17ROCPRIM_400000_NS6detail17trampoline_kernelINS0_14default_configENS1_25partition_config_selectorILNS1_17partition_subalgoE8EiNS0_10empty_typeEbEEZZNS1_14partition_implILS5_8ELb0ES3_jPKiPS6_PKS6_NS0_5tupleIJPiS6_EEENSE_IJSB_SB_EEENS0_18inequality_wrapperIN6hipcub16HIPCUB_304000_NS8EqualityEEEPlJS6_EEE10hipError_tPvRmT3_T4_T5_T6_T7_T9_mT8_P12ihipStream_tbDpT10_ENKUlT_T0_E_clISt17integral_constantIbLb0EES16_IbLb1EEEEDaS12_S13_EUlS12_E_NS1_11comp_targetILNS1_3genE10ELNS1_11target_archE1200ELNS1_3gpuE4ELNS1_3repE0EEENS1_30default_config_static_selectorELNS0_4arch9wavefront6targetE1EEEvT1_ ; -- Begin function _ZN7rocprim17ROCPRIM_400000_NS6detail17trampoline_kernelINS0_14default_configENS1_25partition_config_selectorILNS1_17partition_subalgoE8EiNS0_10empty_typeEbEEZZNS1_14partition_implILS5_8ELb0ES3_jPKiPS6_PKS6_NS0_5tupleIJPiS6_EEENSE_IJSB_SB_EEENS0_18inequality_wrapperIN6hipcub16HIPCUB_304000_NS8EqualityEEEPlJS6_EEE10hipError_tPvRmT3_T4_T5_T6_T7_T9_mT8_P12ihipStream_tbDpT10_ENKUlT_T0_E_clISt17integral_constantIbLb0EES16_IbLb1EEEEDaS12_S13_EUlS12_E_NS1_11comp_targetILNS1_3genE10ELNS1_11target_archE1200ELNS1_3gpuE4ELNS1_3repE0EEENS1_30default_config_static_selectorELNS0_4arch9wavefront6targetE1EEEvT1_
	.globl	_ZN7rocprim17ROCPRIM_400000_NS6detail17trampoline_kernelINS0_14default_configENS1_25partition_config_selectorILNS1_17partition_subalgoE8EiNS0_10empty_typeEbEEZZNS1_14partition_implILS5_8ELb0ES3_jPKiPS6_PKS6_NS0_5tupleIJPiS6_EEENSE_IJSB_SB_EEENS0_18inequality_wrapperIN6hipcub16HIPCUB_304000_NS8EqualityEEEPlJS6_EEE10hipError_tPvRmT3_T4_T5_T6_T7_T9_mT8_P12ihipStream_tbDpT10_ENKUlT_T0_E_clISt17integral_constantIbLb0EES16_IbLb1EEEEDaS12_S13_EUlS12_E_NS1_11comp_targetILNS1_3genE10ELNS1_11target_archE1200ELNS1_3gpuE4ELNS1_3repE0EEENS1_30default_config_static_selectorELNS0_4arch9wavefront6targetE1EEEvT1_
	.p2align	8
	.type	_ZN7rocprim17ROCPRIM_400000_NS6detail17trampoline_kernelINS0_14default_configENS1_25partition_config_selectorILNS1_17partition_subalgoE8EiNS0_10empty_typeEbEEZZNS1_14partition_implILS5_8ELb0ES3_jPKiPS6_PKS6_NS0_5tupleIJPiS6_EEENSE_IJSB_SB_EEENS0_18inequality_wrapperIN6hipcub16HIPCUB_304000_NS8EqualityEEEPlJS6_EEE10hipError_tPvRmT3_T4_T5_T6_T7_T9_mT8_P12ihipStream_tbDpT10_ENKUlT_T0_E_clISt17integral_constantIbLb0EES16_IbLb1EEEEDaS12_S13_EUlS12_E_NS1_11comp_targetILNS1_3genE10ELNS1_11target_archE1200ELNS1_3gpuE4ELNS1_3repE0EEENS1_30default_config_static_selectorELNS0_4arch9wavefront6targetE1EEEvT1_,@function
_ZN7rocprim17ROCPRIM_400000_NS6detail17trampoline_kernelINS0_14default_configENS1_25partition_config_selectorILNS1_17partition_subalgoE8EiNS0_10empty_typeEbEEZZNS1_14partition_implILS5_8ELb0ES3_jPKiPS6_PKS6_NS0_5tupleIJPiS6_EEENSE_IJSB_SB_EEENS0_18inequality_wrapperIN6hipcub16HIPCUB_304000_NS8EqualityEEEPlJS6_EEE10hipError_tPvRmT3_T4_T5_T6_T7_T9_mT8_P12ihipStream_tbDpT10_ENKUlT_T0_E_clISt17integral_constantIbLb0EES16_IbLb1EEEEDaS12_S13_EUlS12_E_NS1_11comp_targetILNS1_3genE10ELNS1_11target_archE1200ELNS1_3gpuE4ELNS1_3repE0EEENS1_30default_config_static_selectorELNS0_4arch9wavefront6targetE1EEEvT1_: ; @_ZN7rocprim17ROCPRIM_400000_NS6detail17trampoline_kernelINS0_14default_configENS1_25partition_config_selectorILNS1_17partition_subalgoE8EiNS0_10empty_typeEbEEZZNS1_14partition_implILS5_8ELb0ES3_jPKiPS6_PKS6_NS0_5tupleIJPiS6_EEENSE_IJSB_SB_EEENS0_18inequality_wrapperIN6hipcub16HIPCUB_304000_NS8EqualityEEEPlJS6_EEE10hipError_tPvRmT3_T4_T5_T6_T7_T9_mT8_P12ihipStream_tbDpT10_ENKUlT_T0_E_clISt17integral_constantIbLb0EES16_IbLb1EEEEDaS12_S13_EUlS12_E_NS1_11comp_targetILNS1_3genE10ELNS1_11target_archE1200ELNS1_3gpuE4ELNS1_3repE0EEENS1_30default_config_static_selectorELNS0_4arch9wavefront6targetE1EEEvT1_
; %bb.0:
	.section	.rodata,"a",@progbits
	.p2align	6, 0x0
	.amdhsa_kernel _ZN7rocprim17ROCPRIM_400000_NS6detail17trampoline_kernelINS0_14default_configENS1_25partition_config_selectorILNS1_17partition_subalgoE8EiNS0_10empty_typeEbEEZZNS1_14partition_implILS5_8ELb0ES3_jPKiPS6_PKS6_NS0_5tupleIJPiS6_EEENSE_IJSB_SB_EEENS0_18inequality_wrapperIN6hipcub16HIPCUB_304000_NS8EqualityEEEPlJS6_EEE10hipError_tPvRmT3_T4_T5_T6_T7_T9_mT8_P12ihipStream_tbDpT10_ENKUlT_T0_E_clISt17integral_constantIbLb0EES16_IbLb1EEEEDaS12_S13_EUlS12_E_NS1_11comp_targetILNS1_3genE10ELNS1_11target_archE1200ELNS1_3gpuE4ELNS1_3repE0EEENS1_30default_config_static_selectorELNS0_4arch9wavefront6targetE1EEEvT1_
		.amdhsa_group_segment_fixed_size 0
		.amdhsa_private_segment_fixed_size 0
		.amdhsa_kernarg_size 128
		.amdhsa_user_sgpr_count 2
		.amdhsa_user_sgpr_dispatch_ptr 0
		.amdhsa_user_sgpr_queue_ptr 0
		.amdhsa_user_sgpr_kernarg_segment_ptr 1
		.amdhsa_user_sgpr_dispatch_id 0
		.amdhsa_user_sgpr_kernarg_preload_length 0
		.amdhsa_user_sgpr_kernarg_preload_offset 0
		.amdhsa_user_sgpr_private_segment_size 0
		.amdhsa_uses_dynamic_stack 0
		.amdhsa_enable_private_segment 0
		.amdhsa_system_sgpr_workgroup_id_x 1
		.amdhsa_system_sgpr_workgroup_id_y 0
		.amdhsa_system_sgpr_workgroup_id_z 0
		.amdhsa_system_sgpr_workgroup_info 0
		.amdhsa_system_vgpr_workitem_id 0
		.amdhsa_next_free_vgpr 1
		.amdhsa_next_free_sgpr 0
		.amdhsa_accum_offset 4
		.amdhsa_reserve_vcc 0
		.amdhsa_float_round_mode_32 0
		.amdhsa_float_round_mode_16_64 0
		.amdhsa_float_denorm_mode_32 3
		.amdhsa_float_denorm_mode_16_64 3
		.amdhsa_dx10_clamp 1
		.amdhsa_ieee_mode 1
		.amdhsa_fp16_overflow 0
		.amdhsa_tg_split 0
		.amdhsa_exception_fp_ieee_invalid_op 0
		.amdhsa_exception_fp_denorm_src 0
		.amdhsa_exception_fp_ieee_div_zero 0
		.amdhsa_exception_fp_ieee_overflow 0
		.amdhsa_exception_fp_ieee_underflow 0
		.amdhsa_exception_fp_ieee_inexact 0
		.amdhsa_exception_int_div_zero 0
	.end_amdhsa_kernel
	.section	.text._ZN7rocprim17ROCPRIM_400000_NS6detail17trampoline_kernelINS0_14default_configENS1_25partition_config_selectorILNS1_17partition_subalgoE8EiNS0_10empty_typeEbEEZZNS1_14partition_implILS5_8ELb0ES3_jPKiPS6_PKS6_NS0_5tupleIJPiS6_EEENSE_IJSB_SB_EEENS0_18inequality_wrapperIN6hipcub16HIPCUB_304000_NS8EqualityEEEPlJS6_EEE10hipError_tPvRmT3_T4_T5_T6_T7_T9_mT8_P12ihipStream_tbDpT10_ENKUlT_T0_E_clISt17integral_constantIbLb0EES16_IbLb1EEEEDaS12_S13_EUlS12_E_NS1_11comp_targetILNS1_3genE10ELNS1_11target_archE1200ELNS1_3gpuE4ELNS1_3repE0EEENS1_30default_config_static_selectorELNS0_4arch9wavefront6targetE1EEEvT1_,"axG",@progbits,_ZN7rocprim17ROCPRIM_400000_NS6detail17trampoline_kernelINS0_14default_configENS1_25partition_config_selectorILNS1_17partition_subalgoE8EiNS0_10empty_typeEbEEZZNS1_14partition_implILS5_8ELb0ES3_jPKiPS6_PKS6_NS0_5tupleIJPiS6_EEENSE_IJSB_SB_EEENS0_18inequality_wrapperIN6hipcub16HIPCUB_304000_NS8EqualityEEEPlJS6_EEE10hipError_tPvRmT3_T4_T5_T6_T7_T9_mT8_P12ihipStream_tbDpT10_ENKUlT_T0_E_clISt17integral_constantIbLb0EES16_IbLb1EEEEDaS12_S13_EUlS12_E_NS1_11comp_targetILNS1_3genE10ELNS1_11target_archE1200ELNS1_3gpuE4ELNS1_3repE0EEENS1_30default_config_static_selectorELNS0_4arch9wavefront6targetE1EEEvT1_,comdat
.Lfunc_end218:
	.size	_ZN7rocprim17ROCPRIM_400000_NS6detail17trampoline_kernelINS0_14default_configENS1_25partition_config_selectorILNS1_17partition_subalgoE8EiNS0_10empty_typeEbEEZZNS1_14partition_implILS5_8ELb0ES3_jPKiPS6_PKS6_NS0_5tupleIJPiS6_EEENSE_IJSB_SB_EEENS0_18inequality_wrapperIN6hipcub16HIPCUB_304000_NS8EqualityEEEPlJS6_EEE10hipError_tPvRmT3_T4_T5_T6_T7_T9_mT8_P12ihipStream_tbDpT10_ENKUlT_T0_E_clISt17integral_constantIbLb0EES16_IbLb1EEEEDaS12_S13_EUlS12_E_NS1_11comp_targetILNS1_3genE10ELNS1_11target_archE1200ELNS1_3gpuE4ELNS1_3repE0EEENS1_30default_config_static_selectorELNS0_4arch9wavefront6targetE1EEEvT1_, .Lfunc_end218-_ZN7rocprim17ROCPRIM_400000_NS6detail17trampoline_kernelINS0_14default_configENS1_25partition_config_selectorILNS1_17partition_subalgoE8EiNS0_10empty_typeEbEEZZNS1_14partition_implILS5_8ELb0ES3_jPKiPS6_PKS6_NS0_5tupleIJPiS6_EEENSE_IJSB_SB_EEENS0_18inequality_wrapperIN6hipcub16HIPCUB_304000_NS8EqualityEEEPlJS6_EEE10hipError_tPvRmT3_T4_T5_T6_T7_T9_mT8_P12ihipStream_tbDpT10_ENKUlT_T0_E_clISt17integral_constantIbLb0EES16_IbLb1EEEEDaS12_S13_EUlS12_E_NS1_11comp_targetILNS1_3genE10ELNS1_11target_archE1200ELNS1_3gpuE4ELNS1_3repE0EEENS1_30default_config_static_selectorELNS0_4arch9wavefront6targetE1EEEvT1_
                                        ; -- End function
	.section	.AMDGPU.csdata,"",@progbits
; Kernel info:
; codeLenInByte = 0
; NumSgprs: 6
; NumVgprs: 0
; NumAgprs: 0
; TotalNumVgprs: 0
; ScratchSize: 0
; MemoryBound: 0
; FloatMode: 240
; IeeeMode: 1
; LDSByteSize: 0 bytes/workgroup (compile time only)
; SGPRBlocks: 0
; VGPRBlocks: 0
; NumSGPRsForWavesPerEU: 6
; NumVGPRsForWavesPerEU: 1
; AccumOffset: 4
; Occupancy: 8
; WaveLimiterHint : 0
; COMPUTE_PGM_RSRC2:SCRATCH_EN: 0
; COMPUTE_PGM_RSRC2:USER_SGPR: 2
; COMPUTE_PGM_RSRC2:TRAP_HANDLER: 0
; COMPUTE_PGM_RSRC2:TGID_X_EN: 1
; COMPUTE_PGM_RSRC2:TGID_Y_EN: 0
; COMPUTE_PGM_RSRC2:TGID_Z_EN: 0
; COMPUTE_PGM_RSRC2:TIDIG_COMP_CNT: 0
; COMPUTE_PGM_RSRC3_GFX90A:ACCUM_OFFSET: 0
; COMPUTE_PGM_RSRC3_GFX90A:TG_SPLIT: 0
	.section	.text._ZN7rocprim17ROCPRIM_400000_NS6detail17trampoline_kernelINS0_14default_configENS1_25partition_config_selectorILNS1_17partition_subalgoE8EiNS0_10empty_typeEbEEZZNS1_14partition_implILS5_8ELb0ES3_jPKiPS6_PKS6_NS0_5tupleIJPiS6_EEENSE_IJSB_SB_EEENS0_18inequality_wrapperIN6hipcub16HIPCUB_304000_NS8EqualityEEEPlJS6_EEE10hipError_tPvRmT3_T4_T5_T6_T7_T9_mT8_P12ihipStream_tbDpT10_ENKUlT_T0_E_clISt17integral_constantIbLb0EES16_IbLb1EEEEDaS12_S13_EUlS12_E_NS1_11comp_targetILNS1_3genE9ELNS1_11target_archE1100ELNS1_3gpuE3ELNS1_3repE0EEENS1_30default_config_static_selectorELNS0_4arch9wavefront6targetE1EEEvT1_,"axG",@progbits,_ZN7rocprim17ROCPRIM_400000_NS6detail17trampoline_kernelINS0_14default_configENS1_25partition_config_selectorILNS1_17partition_subalgoE8EiNS0_10empty_typeEbEEZZNS1_14partition_implILS5_8ELb0ES3_jPKiPS6_PKS6_NS0_5tupleIJPiS6_EEENSE_IJSB_SB_EEENS0_18inequality_wrapperIN6hipcub16HIPCUB_304000_NS8EqualityEEEPlJS6_EEE10hipError_tPvRmT3_T4_T5_T6_T7_T9_mT8_P12ihipStream_tbDpT10_ENKUlT_T0_E_clISt17integral_constantIbLb0EES16_IbLb1EEEEDaS12_S13_EUlS12_E_NS1_11comp_targetILNS1_3genE9ELNS1_11target_archE1100ELNS1_3gpuE3ELNS1_3repE0EEENS1_30default_config_static_selectorELNS0_4arch9wavefront6targetE1EEEvT1_,comdat
	.protected	_ZN7rocprim17ROCPRIM_400000_NS6detail17trampoline_kernelINS0_14default_configENS1_25partition_config_selectorILNS1_17partition_subalgoE8EiNS0_10empty_typeEbEEZZNS1_14partition_implILS5_8ELb0ES3_jPKiPS6_PKS6_NS0_5tupleIJPiS6_EEENSE_IJSB_SB_EEENS0_18inequality_wrapperIN6hipcub16HIPCUB_304000_NS8EqualityEEEPlJS6_EEE10hipError_tPvRmT3_T4_T5_T6_T7_T9_mT8_P12ihipStream_tbDpT10_ENKUlT_T0_E_clISt17integral_constantIbLb0EES16_IbLb1EEEEDaS12_S13_EUlS12_E_NS1_11comp_targetILNS1_3genE9ELNS1_11target_archE1100ELNS1_3gpuE3ELNS1_3repE0EEENS1_30default_config_static_selectorELNS0_4arch9wavefront6targetE1EEEvT1_ ; -- Begin function _ZN7rocprim17ROCPRIM_400000_NS6detail17trampoline_kernelINS0_14default_configENS1_25partition_config_selectorILNS1_17partition_subalgoE8EiNS0_10empty_typeEbEEZZNS1_14partition_implILS5_8ELb0ES3_jPKiPS6_PKS6_NS0_5tupleIJPiS6_EEENSE_IJSB_SB_EEENS0_18inequality_wrapperIN6hipcub16HIPCUB_304000_NS8EqualityEEEPlJS6_EEE10hipError_tPvRmT3_T4_T5_T6_T7_T9_mT8_P12ihipStream_tbDpT10_ENKUlT_T0_E_clISt17integral_constantIbLb0EES16_IbLb1EEEEDaS12_S13_EUlS12_E_NS1_11comp_targetILNS1_3genE9ELNS1_11target_archE1100ELNS1_3gpuE3ELNS1_3repE0EEENS1_30default_config_static_selectorELNS0_4arch9wavefront6targetE1EEEvT1_
	.globl	_ZN7rocprim17ROCPRIM_400000_NS6detail17trampoline_kernelINS0_14default_configENS1_25partition_config_selectorILNS1_17partition_subalgoE8EiNS0_10empty_typeEbEEZZNS1_14partition_implILS5_8ELb0ES3_jPKiPS6_PKS6_NS0_5tupleIJPiS6_EEENSE_IJSB_SB_EEENS0_18inequality_wrapperIN6hipcub16HIPCUB_304000_NS8EqualityEEEPlJS6_EEE10hipError_tPvRmT3_T4_T5_T6_T7_T9_mT8_P12ihipStream_tbDpT10_ENKUlT_T0_E_clISt17integral_constantIbLb0EES16_IbLb1EEEEDaS12_S13_EUlS12_E_NS1_11comp_targetILNS1_3genE9ELNS1_11target_archE1100ELNS1_3gpuE3ELNS1_3repE0EEENS1_30default_config_static_selectorELNS0_4arch9wavefront6targetE1EEEvT1_
	.p2align	8
	.type	_ZN7rocprim17ROCPRIM_400000_NS6detail17trampoline_kernelINS0_14default_configENS1_25partition_config_selectorILNS1_17partition_subalgoE8EiNS0_10empty_typeEbEEZZNS1_14partition_implILS5_8ELb0ES3_jPKiPS6_PKS6_NS0_5tupleIJPiS6_EEENSE_IJSB_SB_EEENS0_18inequality_wrapperIN6hipcub16HIPCUB_304000_NS8EqualityEEEPlJS6_EEE10hipError_tPvRmT3_T4_T5_T6_T7_T9_mT8_P12ihipStream_tbDpT10_ENKUlT_T0_E_clISt17integral_constantIbLb0EES16_IbLb1EEEEDaS12_S13_EUlS12_E_NS1_11comp_targetILNS1_3genE9ELNS1_11target_archE1100ELNS1_3gpuE3ELNS1_3repE0EEENS1_30default_config_static_selectorELNS0_4arch9wavefront6targetE1EEEvT1_,@function
_ZN7rocprim17ROCPRIM_400000_NS6detail17trampoline_kernelINS0_14default_configENS1_25partition_config_selectorILNS1_17partition_subalgoE8EiNS0_10empty_typeEbEEZZNS1_14partition_implILS5_8ELb0ES3_jPKiPS6_PKS6_NS0_5tupleIJPiS6_EEENSE_IJSB_SB_EEENS0_18inequality_wrapperIN6hipcub16HIPCUB_304000_NS8EqualityEEEPlJS6_EEE10hipError_tPvRmT3_T4_T5_T6_T7_T9_mT8_P12ihipStream_tbDpT10_ENKUlT_T0_E_clISt17integral_constantIbLb0EES16_IbLb1EEEEDaS12_S13_EUlS12_E_NS1_11comp_targetILNS1_3genE9ELNS1_11target_archE1100ELNS1_3gpuE3ELNS1_3repE0EEENS1_30default_config_static_selectorELNS0_4arch9wavefront6targetE1EEEvT1_: ; @_ZN7rocprim17ROCPRIM_400000_NS6detail17trampoline_kernelINS0_14default_configENS1_25partition_config_selectorILNS1_17partition_subalgoE8EiNS0_10empty_typeEbEEZZNS1_14partition_implILS5_8ELb0ES3_jPKiPS6_PKS6_NS0_5tupleIJPiS6_EEENSE_IJSB_SB_EEENS0_18inequality_wrapperIN6hipcub16HIPCUB_304000_NS8EqualityEEEPlJS6_EEE10hipError_tPvRmT3_T4_T5_T6_T7_T9_mT8_P12ihipStream_tbDpT10_ENKUlT_T0_E_clISt17integral_constantIbLb0EES16_IbLb1EEEEDaS12_S13_EUlS12_E_NS1_11comp_targetILNS1_3genE9ELNS1_11target_archE1100ELNS1_3gpuE3ELNS1_3repE0EEENS1_30default_config_static_selectorELNS0_4arch9wavefront6targetE1EEEvT1_
; %bb.0:
	.section	.rodata,"a",@progbits
	.p2align	6, 0x0
	.amdhsa_kernel _ZN7rocprim17ROCPRIM_400000_NS6detail17trampoline_kernelINS0_14default_configENS1_25partition_config_selectorILNS1_17partition_subalgoE8EiNS0_10empty_typeEbEEZZNS1_14partition_implILS5_8ELb0ES3_jPKiPS6_PKS6_NS0_5tupleIJPiS6_EEENSE_IJSB_SB_EEENS0_18inequality_wrapperIN6hipcub16HIPCUB_304000_NS8EqualityEEEPlJS6_EEE10hipError_tPvRmT3_T4_T5_T6_T7_T9_mT8_P12ihipStream_tbDpT10_ENKUlT_T0_E_clISt17integral_constantIbLb0EES16_IbLb1EEEEDaS12_S13_EUlS12_E_NS1_11comp_targetILNS1_3genE9ELNS1_11target_archE1100ELNS1_3gpuE3ELNS1_3repE0EEENS1_30default_config_static_selectorELNS0_4arch9wavefront6targetE1EEEvT1_
		.amdhsa_group_segment_fixed_size 0
		.amdhsa_private_segment_fixed_size 0
		.amdhsa_kernarg_size 128
		.amdhsa_user_sgpr_count 2
		.amdhsa_user_sgpr_dispatch_ptr 0
		.amdhsa_user_sgpr_queue_ptr 0
		.amdhsa_user_sgpr_kernarg_segment_ptr 1
		.amdhsa_user_sgpr_dispatch_id 0
		.amdhsa_user_sgpr_kernarg_preload_length 0
		.amdhsa_user_sgpr_kernarg_preload_offset 0
		.amdhsa_user_sgpr_private_segment_size 0
		.amdhsa_uses_dynamic_stack 0
		.amdhsa_enable_private_segment 0
		.amdhsa_system_sgpr_workgroup_id_x 1
		.amdhsa_system_sgpr_workgroup_id_y 0
		.amdhsa_system_sgpr_workgroup_id_z 0
		.amdhsa_system_sgpr_workgroup_info 0
		.amdhsa_system_vgpr_workitem_id 0
		.amdhsa_next_free_vgpr 1
		.amdhsa_next_free_sgpr 0
		.amdhsa_accum_offset 4
		.amdhsa_reserve_vcc 0
		.amdhsa_float_round_mode_32 0
		.amdhsa_float_round_mode_16_64 0
		.amdhsa_float_denorm_mode_32 3
		.amdhsa_float_denorm_mode_16_64 3
		.amdhsa_dx10_clamp 1
		.amdhsa_ieee_mode 1
		.amdhsa_fp16_overflow 0
		.amdhsa_tg_split 0
		.amdhsa_exception_fp_ieee_invalid_op 0
		.amdhsa_exception_fp_denorm_src 0
		.amdhsa_exception_fp_ieee_div_zero 0
		.amdhsa_exception_fp_ieee_overflow 0
		.amdhsa_exception_fp_ieee_underflow 0
		.amdhsa_exception_fp_ieee_inexact 0
		.amdhsa_exception_int_div_zero 0
	.end_amdhsa_kernel
	.section	.text._ZN7rocprim17ROCPRIM_400000_NS6detail17trampoline_kernelINS0_14default_configENS1_25partition_config_selectorILNS1_17partition_subalgoE8EiNS0_10empty_typeEbEEZZNS1_14partition_implILS5_8ELb0ES3_jPKiPS6_PKS6_NS0_5tupleIJPiS6_EEENSE_IJSB_SB_EEENS0_18inequality_wrapperIN6hipcub16HIPCUB_304000_NS8EqualityEEEPlJS6_EEE10hipError_tPvRmT3_T4_T5_T6_T7_T9_mT8_P12ihipStream_tbDpT10_ENKUlT_T0_E_clISt17integral_constantIbLb0EES16_IbLb1EEEEDaS12_S13_EUlS12_E_NS1_11comp_targetILNS1_3genE9ELNS1_11target_archE1100ELNS1_3gpuE3ELNS1_3repE0EEENS1_30default_config_static_selectorELNS0_4arch9wavefront6targetE1EEEvT1_,"axG",@progbits,_ZN7rocprim17ROCPRIM_400000_NS6detail17trampoline_kernelINS0_14default_configENS1_25partition_config_selectorILNS1_17partition_subalgoE8EiNS0_10empty_typeEbEEZZNS1_14partition_implILS5_8ELb0ES3_jPKiPS6_PKS6_NS0_5tupleIJPiS6_EEENSE_IJSB_SB_EEENS0_18inequality_wrapperIN6hipcub16HIPCUB_304000_NS8EqualityEEEPlJS6_EEE10hipError_tPvRmT3_T4_T5_T6_T7_T9_mT8_P12ihipStream_tbDpT10_ENKUlT_T0_E_clISt17integral_constantIbLb0EES16_IbLb1EEEEDaS12_S13_EUlS12_E_NS1_11comp_targetILNS1_3genE9ELNS1_11target_archE1100ELNS1_3gpuE3ELNS1_3repE0EEENS1_30default_config_static_selectorELNS0_4arch9wavefront6targetE1EEEvT1_,comdat
.Lfunc_end219:
	.size	_ZN7rocprim17ROCPRIM_400000_NS6detail17trampoline_kernelINS0_14default_configENS1_25partition_config_selectorILNS1_17partition_subalgoE8EiNS0_10empty_typeEbEEZZNS1_14partition_implILS5_8ELb0ES3_jPKiPS6_PKS6_NS0_5tupleIJPiS6_EEENSE_IJSB_SB_EEENS0_18inequality_wrapperIN6hipcub16HIPCUB_304000_NS8EqualityEEEPlJS6_EEE10hipError_tPvRmT3_T4_T5_T6_T7_T9_mT8_P12ihipStream_tbDpT10_ENKUlT_T0_E_clISt17integral_constantIbLb0EES16_IbLb1EEEEDaS12_S13_EUlS12_E_NS1_11comp_targetILNS1_3genE9ELNS1_11target_archE1100ELNS1_3gpuE3ELNS1_3repE0EEENS1_30default_config_static_selectorELNS0_4arch9wavefront6targetE1EEEvT1_, .Lfunc_end219-_ZN7rocprim17ROCPRIM_400000_NS6detail17trampoline_kernelINS0_14default_configENS1_25partition_config_selectorILNS1_17partition_subalgoE8EiNS0_10empty_typeEbEEZZNS1_14partition_implILS5_8ELb0ES3_jPKiPS6_PKS6_NS0_5tupleIJPiS6_EEENSE_IJSB_SB_EEENS0_18inequality_wrapperIN6hipcub16HIPCUB_304000_NS8EqualityEEEPlJS6_EEE10hipError_tPvRmT3_T4_T5_T6_T7_T9_mT8_P12ihipStream_tbDpT10_ENKUlT_T0_E_clISt17integral_constantIbLb0EES16_IbLb1EEEEDaS12_S13_EUlS12_E_NS1_11comp_targetILNS1_3genE9ELNS1_11target_archE1100ELNS1_3gpuE3ELNS1_3repE0EEENS1_30default_config_static_selectorELNS0_4arch9wavefront6targetE1EEEvT1_
                                        ; -- End function
	.section	.AMDGPU.csdata,"",@progbits
; Kernel info:
; codeLenInByte = 0
; NumSgprs: 6
; NumVgprs: 0
; NumAgprs: 0
; TotalNumVgprs: 0
; ScratchSize: 0
; MemoryBound: 0
; FloatMode: 240
; IeeeMode: 1
; LDSByteSize: 0 bytes/workgroup (compile time only)
; SGPRBlocks: 0
; VGPRBlocks: 0
; NumSGPRsForWavesPerEU: 6
; NumVGPRsForWavesPerEU: 1
; AccumOffset: 4
; Occupancy: 8
; WaveLimiterHint : 0
; COMPUTE_PGM_RSRC2:SCRATCH_EN: 0
; COMPUTE_PGM_RSRC2:USER_SGPR: 2
; COMPUTE_PGM_RSRC2:TRAP_HANDLER: 0
; COMPUTE_PGM_RSRC2:TGID_X_EN: 1
; COMPUTE_PGM_RSRC2:TGID_Y_EN: 0
; COMPUTE_PGM_RSRC2:TGID_Z_EN: 0
; COMPUTE_PGM_RSRC2:TIDIG_COMP_CNT: 0
; COMPUTE_PGM_RSRC3_GFX90A:ACCUM_OFFSET: 0
; COMPUTE_PGM_RSRC3_GFX90A:TG_SPLIT: 0
	.section	.text._ZN7rocprim17ROCPRIM_400000_NS6detail17trampoline_kernelINS0_14default_configENS1_25partition_config_selectorILNS1_17partition_subalgoE8EiNS0_10empty_typeEbEEZZNS1_14partition_implILS5_8ELb0ES3_jPKiPS6_PKS6_NS0_5tupleIJPiS6_EEENSE_IJSB_SB_EEENS0_18inequality_wrapperIN6hipcub16HIPCUB_304000_NS8EqualityEEEPlJS6_EEE10hipError_tPvRmT3_T4_T5_T6_T7_T9_mT8_P12ihipStream_tbDpT10_ENKUlT_T0_E_clISt17integral_constantIbLb0EES16_IbLb1EEEEDaS12_S13_EUlS12_E_NS1_11comp_targetILNS1_3genE8ELNS1_11target_archE1030ELNS1_3gpuE2ELNS1_3repE0EEENS1_30default_config_static_selectorELNS0_4arch9wavefront6targetE1EEEvT1_,"axG",@progbits,_ZN7rocprim17ROCPRIM_400000_NS6detail17trampoline_kernelINS0_14default_configENS1_25partition_config_selectorILNS1_17partition_subalgoE8EiNS0_10empty_typeEbEEZZNS1_14partition_implILS5_8ELb0ES3_jPKiPS6_PKS6_NS0_5tupleIJPiS6_EEENSE_IJSB_SB_EEENS0_18inequality_wrapperIN6hipcub16HIPCUB_304000_NS8EqualityEEEPlJS6_EEE10hipError_tPvRmT3_T4_T5_T6_T7_T9_mT8_P12ihipStream_tbDpT10_ENKUlT_T0_E_clISt17integral_constantIbLb0EES16_IbLb1EEEEDaS12_S13_EUlS12_E_NS1_11comp_targetILNS1_3genE8ELNS1_11target_archE1030ELNS1_3gpuE2ELNS1_3repE0EEENS1_30default_config_static_selectorELNS0_4arch9wavefront6targetE1EEEvT1_,comdat
	.protected	_ZN7rocprim17ROCPRIM_400000_NS6detail17trampoline_kernelINS0_14default_configENS1_25partition_config_selectorILNS1_17partition_subalgoE8EiNS0_10empty_typeEbEEZZNS1_14partition_implILS5_8ELb0ES3_jPKiPS6_PKS6_NS0_5tupleIJPiS6_EEENSE_IJSB_SB_EEENS0_18inequality_wrapperIN6hipcub16HIPCUB_304000_NS8EqualityEEEPlJS6_EEE10hipError_tPvRmT3_T4_T5_T6_T7_T9_mT8_P12ihipStream_tbDpT10_ENKUlT_T0_E_clISt17integral_constantIbLb0EES16_IbLb1EEEEDaS12_S13_EUlS12_E_NS1_11comp_targetILNS1_3genE8ELNS1_11target_archE1030ELNS1_3gpuE2ELNS1_3repE0EEENS1_30default_config_static_selectorELNS0_4arch9wavefront6targetE1EEEvT1_ ; -- Begin function _ZN7rocprim17ROCPRIM_400000_NS6detail17trampoline_kernelINS0_14default_configENS1_25partition_config_selectorILNS1_17partition_subalgoE8EiNS0_10empty_typeEbEEZZNS1_14partition_implILS5_8ELb0ES3_jPKiPS6_PKS6_NS0_5tupleIJPiS6_EEENSE_IJSB_SB_EEENS0_18inequality_wrapperIN6hipcub16HIPCUB_304000_NS8EqualityEEEPlJS6_EEE10hipError_tPvRmT3_T4_T5_T6_T7_T9_mT8_P12ihipStream_tbDpT10_ENKUlT_T0_E_clISt17integral_constantIbLb0EES16_IbLb1EEEEDaS12_S13_EUlS12_E_NS1_11comp_targetILNS1_3genE8ELNS1_11target_archE1030ELNS1_3gpuE2ELNS1_3repE0EEENS1_30default_config_static_selectorELNS0_4arch9wavefront6targetE1EEEvT1_
	.globl	_ZN7rocprim17ROCPRIM_400000_NS6detail17trampoline_kernelINS0_14default_configENS1_25partition_config_selectorILNS1_17partition_subalgoE8EiNS0_10empty_typeEbEEZZNS1_14partition_implILS5_8ELb0ES3_jPKiPS6_PKS6_NS0_5tupleIJPiS6_EEENSE_IJSB_SB_EEENS0_18inequality_wrapperIN6hipcub16HIPCUB_304000_NS8EqualityEEEPlJS6_EEE10hipError_tPvRmT3_T4_T5_T6_T7_T9_mT8_P12ihipStream_tbDpT10_ENKUlT_T0_E_clISt17integral_constantIbLb0EES16_IbLb1EEEEDaS12_S13_EUlS12_E_NS1_11comp_targetILNS1_3genE8ELNS1_11target_archE1030ELNS1_3gpuE2ELNS1_3repE0EEENS1_30default_config_static_selectorELNS0_4arch9wavefront6targetE1EEEvT1_
	.p2align	8
	.type	_ZN7rocprim17ROCPRIM_400000_NS6detail17trampoline_kernelINS0_14default_configENS1_25partition_config_selectorILNS1_17partition_subalgoE8EiNS0_10empty_typeEbEEZZNS1_14partition_implILS5_8ELb0ES3_jPKiPS6_PKS6_NS0_5tupleIJPiS6_EEENSE_IJSB_SB_EEENS0_18inequality_wrapperIN6hipcub16HIPCUB_304000_NS8EqualityEEEPlJS6_EEE10hipError_tPvRmT3_T4_T5_T6_T7_T9_mT8_P12ihipStream_tbDpT10_ENKUlT_T0_E_clISt17integral_constantIbLb0EES16_IbLb1EEEEDaS12_S13_EUlS12_E_NS1_11comp_targetILNS1_3genE8ELNS1_11target_archE1030ELNS1_3gpuE2ELNS1_3repE0EEENS1_30default_config_static_selectorELNS0_4arch9wavefront6targetE1EEEvT1_,@function
_ZN7rocprim17ROCPRIM_400000_NS6detail17trampoline_kernelINS0_14default_configENS1_25partition_config_selectorILNS1_17partition_subalgoE8EiNS0_10empty_typeEbEEZZNS1_14partition_implILS5_8ELb0ES3_jPKiPS6_PKS6_NS0_5tupleIJPiS6_EEENSE_IJSB_SB_EEENS0_18inequality_wrapperIN6hipcub16HIPCUB_304000_NS8EqualityEEEPlJS6_EEE10hipError_tPvRmT3_T4_T5_T6_T7_T9_mT8_P12ihipStream_tbDpT10_ENKUlT_T0_E_clISt17integral_constantIbLb0EES16_IbLb1EEEEDaS12_S13_EUlS12_E_NS1_11comp_targetILNS1_3genE8ELNS1_11target_archE1030ELNS1_3gpuE2ELNS1_3repE0EEENS1_30default_config_static_selectorELNS0_4arch9wavefront6targetE1EEEvT1_: ; @_ZN7rocprim17ROCPRIM_400000_NS6detail17trampoline_kernelINS0_14default_configENS1_25partition_config_selectorILNS1_17partition_subalgoE8EiNS0_10empty_typeEbEEZZNS1_14partition_implILS5_8ELb0ES3_jPKiPS6_PKS6_NS0_5tupleIJPiS6_EEENSE_IJSB_SB_EEENS0_18inequality_wrapperIN6hipcub16HIPCUB_304000_NS8EqualityEEEPlJS6_EEE10hipError_tPvRmT3_T4_T5_T6_T7_T9_mT8_P12ihipStream_tbDpT10_ENKUlT_T0_E_clISt17integral_constantIbLb0EES16_IbLb1EEEEDaS12_S13_EUlS12_E_NS1_11comp_targetILNS1_3genE8ELNS1_11target_archE1030ELNS1_3gpuE2ELNS1_3repE0EEENS1_30default_config_static_selectorELNS0_4arch9wavefront6targetE1EEEvT1_
; %bb.0:
	.section	.rodata,"a",@progbits
	.p2align	6, 0x0
	.amdhsa_kernel _ZN7rocprim17ROCPRIM_400000_NS6detail17trampoline_kernelINS0_14default_configENS1_25partition_config_selectorILNS1_17partition_subalgoE8EiNS0_10empty_typeEbEEZZNS1_14partition_implILS5_8ELb0ES3_jPKiPS6_PKS6_NS0_5tupleIJPiS6_EEENSE_IJSB_SB_EEENS0_18inequality_wrapperIN6hipcub16HIPCUB_304000_NS8EqualityEEEPlJS6_EEE10hipError_tPvRmT3_T4_T5_T6_T7_T9_mT8_P12ihipStream_tbDpT10_ENKUlT_T0_E_clISt17integral_constantIbLb0EES16_IbLb1EEEEDaS12_S13_EUlS12_E_NS1_11comp_targetILNS1_3genE8ELNS1_11target_archE1030ELNS1_3gpuE2ELNS1_3repE0EEENS1_30default_config_static_selectorELNS0_4arch9wavefront6targetE1EEEvT1_
		.amdhsa_group_segment_fixed_size 0
		.amdhsa_private_segment_fixed_size 0
		.amdhsa_kernarg_size 128
		.amdhsa_user_sgpr_count 2
		.amdhsa_user_sgpr_dispatch_ptr 0
		.amdhsa_user_sgpr_queue_ptr 0
		.amdhsa_user_sgpr_kernarg_segment_ptr 1
		.amdhsa_user_sgpr_dispatch_id 0
		.amdhsa_user_sgpr_kernarg_preload_length 0
		.amdhsa_user_sgpr_kernarg_preload_offset 0
		.amdhsa_user_sgpr_private_segment_size 0
		.amdhsa_uses_dynamic_stack 0
		.amdhsa_enable_private_segment 0
		.amdhsa_system_sgpr_workgroup_id_x 1
		.amdhsa_system_sgpr_workgroup_id_y 0
		.amdhsa_system_sgpr_workgroup_id_z 0
		.amdhsa_system_sgpr_workgroup_info 0
		.amdhsa_system_vgpr_workitem_id 0
		.amdhsa_next_free_vgpr 1
		.amdhsa_next_free_sgpr 0
		.amdhsa_accum_offset 4
		.amdhsa_reserve_vcc 0
		.amdhsa_float_round_mode_32 0
		.amdhsa_float_round_mode_16_64 0
		.amdhsa_float_denorm_mode_32 3
		.amdhsa_float_denorm_mode_16_64 3
		.amdhsa_dx10_clamp 1
		.amdhsa_ieee_mode 1
		.amdhsa_fp16_overflow 0
		.amdhsa_tg_split 0
		.amdhsa_exception_fp_ieee_invalid_op 0
		.amdhsa_exception_fp_denorm_src 0
		.amdhsa_exception_fp_ieee_div_zero 0
		.amdhsa_exception_fp_ieee_overflow 0
		.amdhsa_exception_fp_ieee_underflow 0
		.amdhsa_exception_fp_ieee_inexact 0
		.amdhsa_exception_int_div_zero 0
	.end_amdhsa_kernel
	.section	.text._ZN7rocprim17ROCPRIM_400000_NS6detail17trampoline_kernelINS0_14default_configENS1_25partition_config_selectorILNS1_17partition_subalgoE8EiNS0_10empty_typeEbEEZZNS1_14partition_implILS5_8ELb0ES3_jPKiPS6_PKS6_NS0_5tupleIJPiS6_EEENSE_IJSB_SB_EEENS0_18inequality_wrapperIN6hipcub16HIPCUB_304000_NS8EqualityEEEPlJS6_EEE10hipError_tPvRmT3_T4_T5_T6_T7_T9_mT8_P12ihipStream_tbDpT10_ENKUlT_T0_E_clISt17integral_constantIbLb0EES16_IbLb1EEEEDaS12_S13_EUlS12_E_NS1_11comp_targetILNS1_3genE8ELNS1_11target_archE1030ELNS1_3gpuE2ELNS1_3repE0EEENS1_30default_config_static_selectorELNS0_4arch9wavefront6targetE1EEEvT1_,"axG",@progbits,_ZN7rocprim17ROCPRIM_400000_NS6detail17trampoline_kernelINS0_14default_configENS1_25partition_config_selectorILNS1_17partition_subalgoE8EiNS0_10empty_typeEbEEZZNS1_14partition_implILS5_8ELb0ES3_jPKiPS6_PKS6_NS0_5tupleIJPiS6_EEENSE_IJSB_SB_EEENS0_18inequality_wrapperIN6hipcub16HIPCUB_304000_NS8EqualityEEEPlJS6_EEE10hipError_tPvRmT3_T4_T5_T6_T7_T9_mT8_P12ihipStream_tbDpT10_ENKUlT_T0_E_clISt17integral_constantIbLb0EES16_IbLb1EEEEDaS12_S13_EUlS12_E_NS1_11comp_targetILNS1_3genE8ELNS1_11target_archE1030ELNS1_3gpuE2ELNS1_3repE0EEENS1_30default_config_static_selectorELNS0_4arch9wavefront6targetE1EEEvT1_,comdat
.Lfunc_end220:
	.size	_ZN7rocprim17ROCPRIM_400000_NS6detail17trampoline_kernelINS0_14default_configENS1_25partition_config_selectorILNS1_17partition_subalgoE8EiNS0_10empty_typeEbEEZZNS1_14partition_implILS5_8ELb0ES3_jPKiPS6_PKS6_NS0_5tupleIJPiS6_EEENSE_IJSB_SB_EEENS0_18inequality_wrapperIN6hipcub16HIPCUB_304000_NS8EqualityEEEPlJS6_EEE10hipError_tPvRmT3_T4_T5_T6_T7_T9_mT8_P12ihipStream_tbDpT10_ENKUlT_T0_E_clISt17integral_constantIbLb0EES16_IbLb1EEEEDaS12_S13_EUlS12_E_NS1_11comp_targetILNS1_3genE8ELNS1_11target_archE1030ELNS1_3gpuE2ELNS1_3repE0EEENS1_30default_config_static_selectorELNS0_4arch9wavefront6targetE1EEEvT1_, .Lfunc_end220-_ZN7rocprim17ROCPRIM_400000_NS6detail17trampoline_kernelINS0_14default_configENS1_25partition_config_selectorILNS1_17partition_subalgoE8EiNS0_10empty_typeEbEEZZNS1_14partition_implILS5_8ELb0ES3_jPKiPS6_PKS6_NS0_5tupleIJPiS6_EEENSE_IJSB_SB_EEENS0_18inequality_wrapperIN6hipcub16HIPCUB_304000_NS8EqualityEEEPlJS6_EEE10hipError_tPvRmT3_T4_T5_T6_T7_T9_mT8_P12ihipStream_tbDpT10_ENKUlT_T0_E_clISt17integral_constantIbLb0EES16_IbLb1EEEEDaS12_S13_EUlS12_E_NS1_11comp_targetILNS1_3genE8ELNS1_11target_archE1030ELNS1_3gpuE2ELNS1_3repE0EEENS1_30default_config_static_selectorELNS0_4arch9wavefront6targetE1EEEvT1_
                                        ; -- End function
	.section	.AMDGPU.csdata,"",@progbits
; Kernel info:
; codeLenInByte = 0
; NumSgprs: 6
; NumVgprs: 0
; NumAgprs: 0
; TotalNumVgprs: 0
; ScratchSize: 0
; MemoryBound: 0
; FloatMode: 240
; IeeeMode: 1
; LDSByteSize: 0 bytes/workgroup (compile time only)
; SGPRBlocks: 0
; VGPRBlocks: 0
; NumSGPRsForWavesPerEU: 6
; NumVGPRsForWavesPerEU: 1
; AccumOffset: 4
; Occupancy: 8
; WaveLimiterHint : 0
; COMPUTE_PGM_RSRC2:SCRATCH_EN: 0
; COMPUTE_PGM_RSRC2:USER_SGPR: 2
; COMPUTE_PGM_RSRC2:TRAP_HANDLER: 0
; COMPUTE_PGM_RSRC2:TGID_X_EN: 1
; COMPUTE_PGM_RSRC2:TGID_Y_EN: 0
; COMPUTE_PGM_RSRC2:TGID_Z_EN: 0
; COMPUTE_PGM_RSRC2:TIDIG_COMP_CNT: 0
; COMPUTE_PGM_RSRC3_GFX90A:ACCUM_OFFSET: 0
; COMPUTE_PGM_RSRC3_GFX90A:TG_SPLIT: 0
	.section	.text._ZN2at6native12_GLOBAL__N_113renorm_kernelIddKiEEvPT_PT1_T0_S8_llllPKl,"axG",@progbits,_ZN2at6native12_GLOBAL__N_113renorm_kernelIddKiEEvPT_PT1_T0_S8_llllPKl,comdat
	.globl	_ZN2at6native12_GLOBAL__N_113renorm_kernelIddKiEEvPT_PT1_T0_S8_llllPKl ; -- Begin function _ZN2at6native12_GLOBAL__N_113renorm_kernelIddKiEEvPT_PT1_T0_S8_llllPKl
	.p2align	8
	.type	_ZN2at6native12_GLOBAL__N_113renorm_kernelIddKiEEvPT_PT1_T0_S8_llllPKl,@function
_ZN2at6native12_GLOBAL__N_113renorm_kernelIddKiEEvPT_PT1_T0_S8_llllPKl: ; @_ZN2at6native12_GLOBAL__N_113renorm_kernelIddKiEEvPT_PT1_T0_S8_llllPKl
; %bb.0:
	s_load_dwordx2 s[4:5], s[0:1], 0x40
	s_mov_b32 s3, 0
	v_mov_b64_e32 v[2:3], s[2:3]
	s_waitcnt lgkmcnt(0)
	s_load_dwordx2 s[4:5], s[4:5], 0x0
	s_waitcnt lgkmcnt(0)
	v_cmp_le_i64_e32 vcc, s[4:5], v[2:3]
	s_cbranch_vccnz .LBB221_28
; %bb.1:
	s_load_dwordx16 s[12:27], s[0:1], 0x0
	s_lshl_b64 s[2:3], s[2:3], 2
	s_waitcnt lgkmcnt(0)
	s_add_u32 s2, s14, s2
	s_addc_u32 s3, s15, s3
	s_load_dword s2, s[2:3], 0x0
	s_waitcnt lgkmcnt(0)
	s_cmp_lt_i32 s2, 0
	s_cbranch_scc1 .LBB221_14
; %bb.2:
	s_ashr_i32 s3, s2, 31
	s_getpc_b64 s[4:5]
	s_add_u32 s4, s4, .str.2@rel32@lo+4
	s_addc_u32 s5, s5, .str.2@rel32@hi+12
	v_mov_b32_e32 v2, s22
	v_mov_b32_e32 v3, s23
	s_cmp_eq_u64 s[4:5], 0
	v_cmp_ge_i64_e32 vcc, s[2:3], v[2:3]
	s_cselect_b64 s[4:5], -1, 0
	s_or_b64 s[10:11], s[4:5], vcc
	s_andn2_b64 vcc, exec, s[10:11]
	s_cbranch_vccz .LBB221_27
; %bb.3:
	s_mul_i32 s4, s2, s25
	s_mul_hi_u32 s5, s2, s24
	v_mov_b32_e32 v4, 0
	s_add_i32 s4, s5, s4
	s_mul_i32 s3, s3, s24
	v_mov_b32_e32 v1, v4
	s_add_i32 s15, s4, s3
	s_mul_i32 s14, s2, s24
	v_cmp_gt_i64_e64 s[2:3], s[20:21], v[0:1]
	v_mov_b64_e32 v[2:3], 0
	s_and_saveexec_b64 s[22:23], s[2:3]
	s_cbranch_execz .LBB221_16
; %bb.4:
	s_load_dword s6, s[0:1], 0x54
	s_lshl_b64 s[4:5], s[14:15], 3
	s_add_u32 s24, s12, s4
	s_addc_u32 s25, s13, s5
	s_mov_b32 s36, 0x55555555
	s_waitcnt lgkmcnt(0)
	s_and_b32 s33, s6, 0xffff
	s_mov_b32 s38, 0x4222de17
	s_mov_b32 s40, 0xfefa39ef
	;; [unrolled: 1-line block ×9, first 2 shown]
	v_cmp_neq_f64_e64 s[28:29], s[18:19], 1.0
	v_cmp_neq_f64_e64 s[30:31], s[18:19], 2.0
	v_add_u32_e32 v6, s33, v0
	s_mov_b64 s[34:35], 0
	v_mov_b64_e32 v[2:3], 0
	s_brev_b32 s62, -2
	s_mov_b32 s37, 0x3fe55555
	s_mov_b32 s39, 0x3fbdee67
	;; [unrolled: 1-line block ×6, first 2 shown]
	s_movk_i32 s63, 0x204
	s_mov_b32 s49, 0x7ff00000
	s_mov_b32 s51, 0x3ff71547
	;; [unrolled: 1-line block ×7, first 2 shown]
	v_mov_b32_e32 v48, 0x3ff00000
	v_mov_b32_e32 v8, 0x968915a9
	;; [unrolled: 1-line block ×37, first 2 shown]
	s_and_b32 s64, s19, 0x7fffffff
	v_mov_b64_e32 v[42:43], v[0:1]
	s_branch .LBB221_6
.LBB221_5:                              ;   in Loop: Header=BB221_6 Depth=1
	v_ashrrev_i32_e32 v7, 31, v6
	v_cmp_le_i64_e32 vcc, s[20:21], v[6:7]
	v_add_f64 v[2:3], v[2:3], v[44:45]
	s_waitcnt vmcnt(0)
	v_mov_b64_e32 v[42:43], v[6:7]
	s_or_b64 s[34:35], vcc, s[34:35]
	v_add_u32_e32 v6, s33, v6
	s_andn2_b64 exec, exec, s[34:35]
	s_cbranch_execz .LBB221_15
.LBB221_6:                              ; =>This Inner Loop Header: Depth=1
	v_mul_lo_u32 v5, v43, s26
	v_mul_lo_u32 v7, v42, s27
	v_mad_u64_u32 v[42:43], s[4:5], v42, s26, 0
	v_add3_u32 v43, v43, v7, v5
	v_lshl_add_u64 v[42:43], v[42:43], 3, s[24:25]
	global_load_dwordx2 v[42:43], v[42:43], off
	s_and_b64 vcc, exec, s[28:29]
	s_cbranch_vccz .LBB221_11
; %bb.7:                                ;   in Loop: Header=BB221_6 Depth=1
	s_and_b64 vcc, exec, s[30:31]
	s_cbranch_vccz .LBB221_13
; %bb.8:                                ;   in Loop: Header=BB221_6 Depth=1
	v_mov_b32_e32 v5, s19
	s_waitcnt vmcnt(0)
	v_cmp_eq_f64_e32 vcc, 1.0, v[42:43]
	s_mov_b32 s44, s36
	s_mov_b32 s52, s40
	v_cndmask_b32_e32 v45, v5, v48, vcc
	v_mov_b32_e32 v5, s18
	v_cndmask_b32_e64 v44, v5, 0, vcc
	v_and_b32_e32 v5, 0x7fffffff, v43
	v_cmp_eq_f64_e64 s[4:5], 0, v[44:45]
	s_mov_b32 s54, s42
	s_nop 0
	v_cndmask_b32_e64 v47, v5, v48, s[4:5]
	v_cndmask_b32_e64 v46, v42, 0, s[4:5]
	v_frexp_mant_f64_e32 v[52:53], v[46:47]
	v_cmp_gt_f64_e64 s[6:7], s[36:37], v[52:53]
	s_nop 1
	v_cndmask_b32_e64 v5, v48, 2.0, s[6:7]
	v_mul_f64 v[52:53], v[52:53], v[4:5]
	v_add_f64 v[54:55], v[52:53], 1.0
	v_rcp_f64_e32 v[56:57], v[54:55]
	v_frexp_exp_i32_f64_e32 v5, v[46:47]
	v_subbrev_co_u32_e64 v5, s[6:7], 0, v5, s[6:7]
	v_fma_f64 v[58:59], -v[54:55], v[56:57], 1.0
	v_fmac_f64_e32 v[56:57], v[58:59], v[56:57]
	v_fma_f64 v[58:59], -v[54:55], v[56:57], 1.0
	v_fmac_f64_e32 v[56:57], v[58:59], v[56:57]
	v_add_f64 v[58:59], v[54:55], -1.0
	v_add_f64 v[58:59], v[52:53], -v[58:59]
	v_add_f64 v[52:53], v[52:53], -1.0
	v_mul_f64 v[60:61], v[52:53], v[56:57]
	v_mul_f64 v[62:63], v[54:55], v[60:61]
	v_fma_f64 v[54:55], v[60:61], v[54:55], -v[62:63]
	v_fmac_f64_e32 v[54:55], v[60:61], v[58:59]
	v_add_f64 v[58:59], v[62:63], v[54:55]
	v_add_f64 v[64:65], v[52:53], -v[58:59]
	v_add_f64 v[62:63], v[58:59], -v[62:63]
	;; [unrolled: 1-line block ×5, first 2 shown]
	v_add_f64 v[52:53], v[54:55], v[52:53]
	v_add_f64 v[52:53], v[64:65], v[52:53]
	v_mul_f64 v[52:53], v[56:57], v[52:53]
	v_add_f64 v[54:55], v[60:61], v[52:53]
	v_add_f64 v[56:57], v[54:55], -v[60:61]
	v_add_f64 v[52:53], v[52:53], -v[56:57]
	v_mul_f64 v[56:57], v[54:55], v[54:55]
	v_fma_f64 v[58:59], v[54:55], v[54:55], -v[56:57]
	v_add_f64 v[60:61], v[52:53], v[52:53]
	v_fmac_f64_e32 v[58:59], v[54:55], v[60:61]
	v_add_f64 v[60:61], v[56:57], v[58:59]
	v_add_f64 v[56:57], v[60:61], -v[56:57]
	v_add_f64 v[56:57], v[58:59], -v[56:57]
	v_mov_b64_e32 v[58:59], v[8:9]
	v_fmac_f64_e32 v[58:59], s[38:39], v[60:61]
	v_mov_b64_e32 v[62:63], v[10:11]
	v_fmac_f64_e32 v[62:63], v[60:61], v[58:59]
	;; [unrolled: 2-line block ×8, first 2 shown]
	v_mul_f64 v[58:59], v[54:55], v[60:61]
	v_fma_f64 v[64:65], v[60:61], v[54:55], -v[58:59]
	v_mul_f64 v[66:67], v[60:61], v[62:63]
	v_fmac_f64_e32 v[64:65], v[60:61], v[52:53]
	v_fma_f64 v[60:61], v[60:61], v[62:63], -v[66:67]
	v_fmac_f64_e32 v[60:61], v[56:57], v[62:63]
	v_fmac_f64_e32 v[64:65], v[56:57], v[54:55]
	v_add_f64 v[56:57], v[66:67], v[60:61]
	v_add_f64 v[62:63], v[56:57], -v[66:67]
	v_add_f64 v[60:61], v[60:61], -v[62:63]
	v_add_f64 v[62:63], v[56:57], s[36:37]
	v_add_f64 v[66:67], v[62:63], s[44:45]
	v_add_f64 v[56:57], v[56:57], -v[66:67]
	v_add_f64 v[60:61], v[60:61], s[46:47]
	v_add_f64 v[56:57], v[60:61], v[56:57]
	;; [unrolled: 1-line block ×3, first 2 shown]
	v_add_f64 v[62:63], v[62:63], -v[60:61]
	v_add_f64 v[56:57], v[56:57], v[62:63]
	v_add_f64 v[62:63], v[58:59], v[64:65]
	v_mul_f64 v[66:67], v[62:63], v[60:61]
	v_fma_f64 v[68:69], v[62:63], v[60:61], -v[66:67]
	v_fmac_f64_e32 v[68:69], v[62:63], v[56:57]
	v_add_f64 v[56:57], v[62:63], -v[58:59]
	v_add_f64 v[56:57], v[64:65], -v[56:57]
	v_fmac_f64_e32 v[68:69], v[56:57], v[60:61]
	v_cvt_f64_i32_e32 v[56:57], v5
	v_mul_f64 v[58:59], v[56:57], s[40:41]
	v_fma_f64 v[60:61], v[56:57], s[40:41], -v[58:59]
	v_fmac_f64_e32 v[60:61], s[42:43], v[56:57]
	v_add_f64 v[56:57], v[58:59], v[60:61]
	v_add_f64 v[58:59], v[56:57], -v[58:59]
	v_add_f64 v[58:59], v[60:61], -v[58:59]
	v_add_f64 v[60:61], v[66:67], v[68:69]
	v_ldexp_f64 v[54:55], v[54:55], 1
	v_add_f64 v[62:63], v[60:61], -v[66:67]
	v_add_f64 v[64:65], v[54:55], v[60:61]
	v_add_f64 v[62:63], v[68:69], -v[62:63]
	v_add_f64 v[54:55], v[64:65], -v[54:55]
	v_ldexp_f64 v[52:53], v[52:53], 1
	v_add_f64 v[54:55], v[60:61], -v[54:55]
	v_add_f64 v[52:53], v[52:53], v[62:63]
	v_add_f64 v[52:53], v[52:53], v[54:55]
	;; [unrolled: 1-line block ×3, first 2 shown]
	v_add_f64 v[60:61], v[54:55], -v[64:65]
	v_add_f64 v[52:53], v[52:53], -v[60:61]
	v_add_f64 v[60:61], v[56:57], v[54:55]
	v_add_f64 v[62:63], v[60:61], -v[56:57]
	v_add_f64 v[64:65], v[60:61], -v[62:63]
	;; [unrolled: 1-line block ×4, first 2 shown]
	v_add_f64 v[54:55], v[54:55], v[56:57]
	v_add_f64 v[56:57], v[58:59], v[52:53]
	v_add_f64 v[62:63], v[56:57], -v[58:59]
	v_add_f64 v[64:65], v[56:57], -v[62:63]
	v_add_f64 v[54:55], v[56:57], v[54:55]
	v_add_f64 v[58:59], v[58:59], -v[64:65]
	v_add_f64 v[52:53], v[52:53], -v[62:63]
	v_add_f64 v[56:57], v[60:61], v[54:55]
	v_add_f64 v[52:53], v[52:53], v[58:59]
	v_add_f64 v[58:59], v[56:57], -v[60:61]
	v_add_f64 v[54:55], v[54:55], -v[58:59]
	v_add_f64 v[52:53], v[52:53], v[54:55]
	v_add_f64 v[54:55], v[56:57], v[52:53]
	v_add_f64 v[56:57], v[54:55], -v[56:57]
	v_add_f64 v[52:53], v[52:53], -v[56:57]
	v_mul_f64 v[56:57], v[44:45], v[54:55]
	v_fma_f64 v[54:55], v[44:45], v[54:55], -v[56:57]
	v_fmac_f64_e32 v[54:55], v[44:45], v[52:53]
	v_add_f64 v[52:53], v[56:57], v[54:55]
	v_cmp_class_f64_e64 s[6:7], v[56:57], s63
	v_add_f64 v[58:59], v[52:53], -v[56:57]
	v_add_f64 v[54:55], v[54:55], -v[58:59]
	v_cndmask_b32_e64 v53, v53, v57, s[6:7]
	v_cndmask_b32_e64 v52, v52, v56, s[6:7]
	v_mul_f64 v[56:57], v[52:53], s[50:51]
	v_rndne_f64_e32 v[56:57], v[56:57]
	v_fma_f64 v[58:59], s[52:53], v[56:57], v[52:53]
	v_fmac_f64_e32 v[58:59], s[54:55], v[56:57]
	v_mov_b64_e32 v[60:61], v[24:25]
	v_fmac_f64_e32 v[60:61], s[56:57], v[58:59]
	v_mov_b64_e32 v[62:63], v[26:27]
	v_fmac_f64_e32 v[62:63], v[58:59], v[60:61]
	v_mov_b64_e32 v[60:61], v[28:29]
	v_fmac_f64_e32 v[60:61], v[58:59], v[62:63]
	v_mov_b64_e32 v[62:63], v[30:31]
	v_fmac_f64_e32 v[62:63], v[58:59], v[60:61]
	v_mov_b64_e32 v[60:61], v[32:33]
	v_fmac_f64_e32 v[60:61], v[58:59], v[62:63]
	v_mov_b64_e32 v[62:63], v[34:35]
	v_fmac_f64_e32 v[62:63], v[58:59], v[60:61]
	v_mov_b64_e32 v[60:61], v[36:37]
	v_fmac_f64_e32 v[60:61], v[58:59], v[62:63]
	v_mov_b64_e32 v[62:63], v[38:39]
	v_fmac_f64_e32 v[62:63], v[58:59], v[60:61]
	v_mov_b64_e32 v[60:61], v[40:41]
	v_fmac_f64_e32 v[60:61], v[58:59], v[62:63]
	v_fma_f64 v[60:61], v[58:59], v[60:61], 1.0
	v_cmp_neq_f64_e64 s[6:7], |v[52:53]|, s[48:49]
	v_fma_f64 v[58:59], v[58:59], v[60:61], 1.0
	v_cvt_i32_f64_e32 v5, v[56:57]
	v_cndmask_b32_e64 v55, 0, v55, s[6:7]
	v_cndmask_b32_e64 v54, 0, v54, s[6:7]
	v_ldexp_f64 v[56:57], v[58:59], v5
	v_cmp_lt_f64_e64 s[6:7], s[58:59], v[52:53]
	v_cmp_ngt_f64_e64 s[8:9], s[60:61], v[52:53]
	s_nop 0
	v_cndmask_b32_e64 v5, v56, 0, s[6:7]
	v_cndmask_b32_e64 v7, v57, v49, s[6:7]
	v_cndmask_b32_e64 v53, 0, v7, s[8:9]
	v_cndmask_b32_e64 v52, 0, v5, s[8:9]
	v_mov_b64_e32 v[58:59], v[52:53]
	v_and_b32_e32 v57, 0x7fffffff, v57
	v_fmac_f64_e32 v[58:59], v[58:59], v[54:55]
	v_cndmask_b32_e64 v55, v43, v48, s[4:5]
	v_cndmask_b32_e64 v54, v42, 0, s[4:5]
	v_cmp_eq_f64_e64 s[4:5], s[48:49], v[56:57]
	s_or_b64 s[4:5], s[6:7], s[4:5]
	s_and_b64 s[4:5], s[8:9], s[4:5]
	v_cndmask_b32_e64 v5, v58, v52, s[4:5]
	v_cndmask_b32_e64 v7, v59, v53, s[4:5]
	v_mul_f64 v[52:53], v[44:45], 0.5
	v_trunc_f64_e32 v[56:57], v[52:53]
	v_cmp_neq_f64_e64 s[4:5], v[56:57], v[52:53]
	v_trunc_f64_e32 v[52:53], v[44:45]
	v_cmp_eq_f64_e64 s[6:7], v[52:53], v[44:45]
	s_and_b64 s[4:5], s[6:7], s[4:5]
	v_cndmask_b32_e64 v52, v48, v55, s[4:5]
	v_bfi_b32 v7, s62, v7, v52
	v_cndmask_b32_e64 v51, 0, v5, s[6:7]
	v_cndmask_b32_e64 v52, v50, v7, s[6:7]
	v_cmp_gt_f64_e64 s[6:7], 0, v[54:55]
	v_cmp_gt_f64_e64 s[8:9], 0, v[44:45]
	s_nop 0
	v_cndmask_b32_e64 v5, v5, v51, s[6:7]
	v_mov_b32_e32 v51, s64
	v_cndmask_b32_e32 v53, v51, v48, vcc
	v_mov_b32_e32 v51, s18
	v_cndmask_b32_e64 v7, v7, v52, s[6:7]
	v_cndmask_b32_e64 v52, v51, 0, vcc
	v_cmp_neq_f64_e32 vcc, v[44:45], v[52:53]
	v_cmp_gt_f64_e64 s[6:7], 1.0, v[46:47]
	s_xor_b64 s[6:7], vcc, s[6:7]
	v_cmp_eq_f64_e32 vcc, 1.0, v[46:47]
	v_cndmask_b32_e64 v51, v52, 0, s[6:7]
	v_cndmask_b32_e64 v56, v53, 0, s[6:7]
	v_cmp_eq_f64_e64 s[6:7], 0, v[54:55]
	v_cndmask_b32_e32 v56, v56, v47, vcc
	v_cndmask_b32_e32 v51, v51, v46, vcc
	v_cmp_eq_f64_e32 vcc, s[48:49], v[52:53]
	s_xor_b64 s[8:9], s[8:9], s[6:7]
	s_nop 0
	v_cndmask_b32_e32 v5, v5, v51, vcc
	v_cndmask_b32_e32 v7, v7, v56, vcc
	v_cmp_eq_f64_e32 vcc, s[48:49], v[46:47]
	v_cndmask_b32_e64 v46, v49, 0, s[8:9]
	v_cndmask_b32_e64 v47, 0, v55, s[4:5]
	v_bfi_b32 v46, s62, v46, v47
	s_or_b64 vcc, vcc, s[6:7]
	v_cndmask_b32_e32 v7, v7, v46, vcc
	v_cndmask_b32_e64 v5, v5, 0, vcc
	v_cmp_o_f64_e32 vcc, v[54:55], v[44:45]
	s_nop 1
	v_cndmask_b32_e32 v44, 0, v5, vcc
	v_cndmask_b32_e32 v45, v50, v7, vcc
	s_cbranch_execnz .LBB221_10
.LBB221_9:                              ;   in Loop: Header=BB221_6 Depth=1
	s_waitcnt vmcnt(0)
	v_mul_f64 v[44:45], v[42:43], v[42:43]
.LBB221_10:                             ;   in Loop: Header=BB221_6 Depth=1
	s_cbranch_execnz .LBB221_5
	s_branch .LBB221_12
.LBB221_11:                             ;   in Loop: Header=BB221_6 Depth=1
                                        ; implicit-def: $vgpr44_vgpr45
.LBB221_12:                             ;   in Loop: Header=BB221_6 Depth=1
	s_waitcnt vmcnt(0)
	v_and_b32_e32 v43, 0x7fffffff, v43
	v_mov_b64_e32 v[44:45], v[42:43]
	s_branch .LBB221_5
.LBB221_13:                             ;   in Loop: Header=BB221_6 Depth=1
                                        ; implicit-def: $vgpr44_vgpr45
	s_branch .LBB221_9
.LBB221_14:
	s_mov_b64 s[10:11], -1
	s_branch .LBB221_27
.LBB221_15:
	s_or_b64 exec, exec, s[34:35]
.LBB221_16:
	s_or_b64 exec, exec, s[22:23]
	v_mbcnt_lo_u32_b32 v4, -1, 0
	v_mbcnt_hi_u32_b32 v10, -1, v4
	v_and_b32_e32 v11, 63, v10
	v_cmp_gt_u32_e32 vcc, 32, v11
	v_and_b32_e32 v14, 63, v0
	s_nop 0
	v_cndmask_b32_e64 v4, 0, 1, vcc
	v_lshlrev_b32_e32 v4, 5, v4
	v_add_lshl_u32 v6, v4, v10, 2
	ds_bpermute_b32 v4, v6, v2
	ds_bpermute_b32 v5, v6, v3
	v_cmp_gt_u32_e32 vcc, 48, v11
	s_barrier
	s_waitcnt lgkmcnt(0)
	v_cndmask_b32_e64 v7, 0, 1, vcc
	v_add_f64 v[2:3], v[2:3], v[4:5]
	v_lshlrev_b32_e32 v4, 4, v7
	v_add_lshl_u32 v7, v4, v10, 2
	ds_bpermute_b32 v4, v7, v2
	ds_bpermute_b32 v5, v7, v3
	v_cmp_gt_u32_e32 vcc, 56, v11
	s_waitcnt lgkmcnt(0)
	v_add_f64 v[2:3], v[2:3], v[4:5]
	v_cndmask_b32_e64 v4, 0, 1, vcc
	v_lshlrev_b32_e32 v4, 3, v4
	v_add_lshl_u32 v8, v4, v10, 2
	ds_bpermute_b32 v4, v8, v2
	ds_bpermute_b32 v5, v8, v3
	v_cmp_gt_u32_e32 vcc, 60, v11
	s_waitcnt lgkmcnt(0)
	v_add_f64 v[2:3], v[2:3], v[4:5]
	v_cndmask_b32_e64 v4, 0, 1, vcc
	;; [unrolled: 8-line block ×3, first 2 shown]
	v_lshlrev_b32_e32 v4, 1, v4
	v_add_lshl_u32 v12, v4, v10, 2
	ds_bpermute_b32 v4, v12, v2
	ds_bpermute_b32 v5, v12, v3
	v_cmp_ne_u32_e32 vcc, 63, v11
	s_waitcnt lgkmcnt(0)
	v_add_f64 v[2:3], v[2:3], v[4:5]
	v_addc_co_u32_e32 v4, vcc, 0, v10, vcc
	v_lshlrev_b32_e32 v13, 2, v4
	ds_bpermute_b32 v4, v13, v2
	ds_bpermute_b32 v5, v13, v3
	v_cmp_eq_u32_e32 vcc, 0, v14
	s_and_saveexec_b64 s[4:5], vcc
	s_cbranch_execz .LBB221_18
; %bb.17:
	v_lshrrev_b32_e32 v10, 3, v0
	v_add_u32_e32 v10, 0, v10
	s_waitcnt lgkmcnt(0)
	v_add_f64 v[2:3], v[2:3], v[4:5]
	ds_write_b64 v10, v[2:3]
.LBB221_18:
	s_or_b64 exec, exec, s[4:5]
	s_waitcnt lgkmcnt(0)
	s_barrier
	s_load_dword s24, s[0:1], 0x54
	v_mov_b64_e32 v[10:11], 0
	s_waitcnt lgkmcnt(0)
	s_bfe_u32 s0, s24, 0xa0006
	v_cmp_gt_u32_e32 vcc, s0, v0
	s_and_saveexec_b64 s[0:1], vcc
	s_cbranch_execnz .LBB221_29
; %bb.19:
	s_or_b64 exec, exec, s[0:1]
	v_cmp_gt_u32_e32 vcc, 64, v0
	s_and_saveexec_b64 s[0:1], vcc
	s_cbranch_execnz .LBB221_30
.LBB221_20:
	s_or_b64 exec, exec, s[0:1]
	v_cmp_eq_u32_e32 vcc, 0, v0
	s_and_saveexec_b64 s[8:9], vcc
	s_cbranch_execz .LBB221_22
.LBB221_21:
	v_div_scale_f64 v[2:3], s[0:1], s[18:19], s[18:19], 1.0
	v_rcp_f64_e32 v[4:5], v[2:3]
	v_div_scale_f64 v[6:7], vcc, 1.0, s[18:19], 1.0
	v_mov_b32_e32 v12, 0x3ff00000
	v_fma_f64 v[8:9], -v[2:3], v[4:5], 1.0
	v_fmac_f64_e32 v[4:5], v[4:5], v[8:9]
	v_fma_f64 v[8:9], -v[2:3], v[4:5], 1.0
	v_fmac_f64_e32 v[4:5], v[4:5], v[8:9]
	v_mul_f64 v[8:9], v[6:7], v[4:5]
	v_fma_f64 v[2:3], -v[2:3], v[8:9], v[6:7]
	v_div_fmas_f64 v[2:3], v[2:3], v[4:5], v[8:9]
	v_div_fixup_f64 v[8:9], v[2:3], s[18:19], 1.0
	s_waitcnt lgkmcnt(0)
	v_cmp_eq_f64_e32 vcc, 1.0, v[10:11]
	v_and_b32_e32 v3, 0x7fffffff, v11
	s_mov_b32 s5, 0x3fe55555
	v_cndmask_b32_e32 v5, v9, v12, vcc
	v_cndmask_b32_e64 v4, v8, 0, vcc
	v_cmp_eq_f64_e64 s[0:1], 0, v[4:5]
	s_mov_b32 s4, 0x55555555
	v_mov_b32_e32 v2, 0
	v_cndmask_b32_e64 v7, v11, v12, s[0:1]
	v_cndmask_b32_e64 v6, v10, 0, s[0:1]
	;; [unrolled: 1-line block ×4, first 2 shown]
	v_frexp_mant_f64_e32 v[14:15], v[10:11]
	v_cmp_gt_f64_e64 s[0:1], s[4:5], v[14:15]
	v_frexp_exp_i32_f64_e32 v13, v[10:11]
	s_mov_b32 s7, 0x3fe62e42
	v_cndmask_b32_e64 v3, v12, 2.0, s[0:1]
	v_mul_f64 v[14:15], v[14:15], v[2:3]
	v_add_f64 v[16:17], v[14:15], 1.0
	v_rcp_f64_e32 v[18:19], v[16:17]
	v_add_f64 v[22:23], v[16:17], -1.0
	v_add_f64 v[20:21], v[14:15], -1.0
	v_add_f64 v[14:15], v[14:15], -v[22:23]
	v_fma_f64 v[22:23], -v[16:17], v[18:19], 1.0
	v_fmac_f64_e32 v[18:19], v[22:23], v[18:19]
	v_fma_f64 v[22:23], -v[16:17], v[18:19], 1.0
	v_fmac_f64_e32 v[18:19], v[22:23], v[18:19]
	v_mul_f64 v[22:23], v[20:21], v[18:19]
	v_mul_f64 v[24:25], v[16:17], v[22:23]
	v_fma_f64 v[16:17], v[22:23], v[16:17], -v[24:25]
	v_fmac_f64_e32 v[16:17], v[22:23], v[14:15]
	v_add_f64 v[14:15], v[24:25], v[16:17]
	v_add_f64 v[26:27], v[20:21], -v[14:15]
	v_add_f64 v[24:25], v[14:15], -v[24:25]
	;; [unrolled: 1-line block ×5, first 2 shown]
	v_add_f64 v[14:15], v[16:17], v[14:15]
	v_add_f64 v[14:15], v[26:27], v[14:15]
	v_mul_f64 v[14:15], v[18:19], v[14:15]
	v_add_f64 v[16:17], v[22:23], v[14:15]
	v_add_f64 v[18:19], v[16:17], -v[22:23]
	v_add_f64 v[14:15], v[14:15], -v[18:19]
	v_mul_f64 v[18:19], v[16:17], v[16:17]
	v_fma_f64 v[20:21], v[16:17], v[16:17], -v[18:19]
	v_add_f64 v[22:23], v[14:15], v[14:15]
	v_fmac_f64_e32 v[20:21], v[16:17], v[22:23]
	v_subbrev_co_u32_e64 v3, s[0:1], 0, v13, s[0:1]
	v_add_f64 v[22:23], v[18:19], v[20:21]
	v_add_f64 v[18:19], v[22:23], -v[18:19]
	s_mov_b32 s0, 0x4222de17
	v_add_f64 v[18:19], v[20:21], -v[18:19]
	v_mov_b32_e32 v20, 0x968915a9
	v_mov_b32_e32 v21, 0x3fba6564
	s_mov_b32 s1, 0x3fbdee67
	v_fmac_f64_e32 v[20:21], s[0:1], v[22:23]
	v_mov_b32_e32 v24, 0x3abe935a
	v_mov_b32_e32 v25, 0x3fbe25e4
	v_fmac_f64_e32 v[24:25], v[22:23], v[20:21]
	v_mov_b32_e32 v20, 0x47e6c9c2
	v_mov_b32_e32 v21, 0x3fc110ef
	v_fmac_f64_e32 v[20:21], v[22:23], v[24:25]
	v_mov_b32_e32 v24, 0xcfa74449
	v_mov_b32_e32 v25, 0x3fc3b13b
	v_fmac_f64_e32 v[24:25], v[22:23], v[20:21]
	v_mov_b32_e32 v20, 0x71bf3c30
	v_mov_b32_e32 v21, 0x3fc745d1
	v_fmac_f64_e32 v[20:21], v[22:23], v[24:25]
	v_mov_b32_e32 v24, 0x1c7792ce
	v_mov_b32_e32 v25, 0x3fcc71c7
	v_fmac_f64_e32 v[24:25], v[22:23], v[20:21]
	v_mov_b32_e32 v20, 0x924920da
	v_mov_b32_e32 v21, 0x3fd24924
	v_fmac_f64_e32 v[20:21], v[22:23], v[24:25]
	v_mov_b32_e32 v24, 0x9999999c
	v_mov_b32_e32 v25, 0x3fd99999
	v_fmac_f64_e32 v[24:25], v[22:23], v[20:21]
	v_cvt_f64_i32_e32 v[20:21], v3
	s_mov_b32 s6, 0xfefa39ef
	v_mul_f64 v[26:27], v[20:21], s[6:7]
	v_mul_f64 v[32:33], v[16:17], v[22:23]
	v_fma_f64 v[28:29], v[20:21], s[6:7], -v[26:27]
	s_mov_b32 s23, 0x3c7abc9e
	s_mov_b32 s22, 0x3b39803f
	v_fma_f64 v[34:35], v[22:23], v[16:17], -v[32:33]
	v_fmac_f64_e32 v[28:29], s[22:23], v[20:21]
	v_fmac_f64_e32 v[34:35], v[22:23], v[14:15]
	v_add_f64 v[20:21], v[26:27], v[28:29]
	v_fmac_f64_e32 v[34:35], v[18:19], v[16:17]
	v_add_f64 v[26:27], v[20:21], -v[26:27]
	v_ldexp_f64 v[30:31], v[14:15], 1
	v_add_f64 v[14:15], v[32:33], v[34:35]
	v_add_f64 v[26:27], v[28:29], -v[26:27]
	v_ldexp_f64 v[28:29], v[16:17], 1
	v_add_f64 v[16:17], v[14:15], -v[32:33]
	v_mul_f64 v[32:33], v[22:23], v[24:25]
	v_fma_f64 v[22:23], v[22:23], v[24:25], -v[32:33]
	v_fmac_f64_e32 v[22:23], v[18:19], v[24:25]
	v_add_f64 v[18:19], v[32:33], v[22:23]
	v_add_f64 v[24:25], v[18:19], -v[32:33]
	v_add_f64 v[22:23], v[22:23], -v[24:25]
	v_add_f64 v[24:25], v[18:19], s[4:5]
	s_mov_b32 s5, 0xbfe55555
	s_mov_b32 s0, 0xd5df274d
	v_add_f64 v[32:33], v[24:25], s[4:5]
	s_mov_b32 s1, 0x3c8543b0
	v_add_f64 v[18:19], v[18:19], -v[32:33]
	v_add_f64 v[22:23], v[22:23], s[0:1]
	v_add_f64 v[18:19], v[22:23], v[18:19]
	;; [unrolled: 1-line block ×3, first 2 shown]
	v_add_f64 v[24:25], v[24:25], -v[22:23]
	v_add_f64 v[18:19], v[18:19], v[24:25]
	v_mul_f64 v[24:25], v[14:15], v[22:23]
	v_fma_f64 v[32:33], v[14:15], v[22:23], -v[24:25]
	v_add_f64 v[16:17], v[34:35], -v[16:17]
	v_fmac_f64_e32 v[32:33], v[14:15], v[18:19]
	v_fmac_f64_e32 v[32:33], v[16:17], v[22:23]
	v_add_f64 v[14:15], v[24:25], v[32:33]
	v_add_f64 v[16:17], v[14:15], -v[24:25]
	v_add_f64 v[18:19], v[28:29], v[14:15]
	v_add_f64 v[16:17], v[32:33], -v[16:17]
	v_add_f64 v[22:23], v[18:19], -v[28:29]
	;; [unrolled: 1-line block ×3, first 2 shown]
	v_add_f64 v[16:17], v[30:31], v[16:17]
	v_add_f64 v[14:15], v[16:17], v[14:15]
	;; [unrolled: 1-line block ×3, first 2 shown]
	v_add_f64 v[18:19], v[16:17], -v[18:19]
	v_add_f64 v[14:15], v[14:15], -v[18:19]
	v_add_f64 v[18:19], v[20:21], v[16:17]
	v_add_f64 v[22:23], v[18:19], -v[20:21]
	v_add_f64 v[24:25], v[18:19], -v[22:23]
	;; [unrolled: 1-line block ×4, first 2 shown]
	v_add_f64 v[16:17], v[16:17], v[20:21]
	v_add_f64 v[20:21], v[26:27], v[14:15]
	v_add_f64 v[22:23], v[20:21], -v[26:27]
	v_add_f64 v[16:17], v[20:21], v[16:17]
	v_add_f64 v[24:25], v[20:21], -v[22:23]
	;; [unrolled: 2-line block ×3, first 2 shown]
	v_add_f64 v[14:15], v[14:15], -v[22:23]
	v_add_f64 v[18:19], v[20:21], -v[18:19]
	v_add_f64 v[14:15], v[14:15], v[24:25]
	v_add_f64 v[16:17], v[16:17], -v[18:19]
	v_add_f64 v[14:15], v[14:15], v[16:17]
	v_add_f64 v[16:17], v[20:21], v[14:15]
	v_add_f64 v[18:19], v[16:17], -v[20:21]
	v_add_f64 v[14:15], v[14:15], -v[18:19]
	v_mul_f64 v[18:19], v[4:5], v[16:17]
	v_fma_f64 v[16:17], v[4:5], v[16:17], -v[18:19]
	v_fmac_f64_e32 v[16:17], v[4:5], v[14:15]
	s_movk_i32 s0, 0x204
	v_add_f64 v[14:15], v[18:19], v[16:17]
	v_cmp_class_f64_e64 s[0:1], v[18:19], s0
	s_mov_b32 s18, 0
	v_add_f64 v[20:21], v[14:15], -v[18:19]
	v_cndmask_b32_e64 v15, v15, v19, s[0:1]
	v_cndmask_b32_e64 v14, v14, v18, s[0:1]
	s_mov_b32 s19, 0x7ff00000
	v_add_f64 v[16:17], v[16:17], -v[20:21]
	v_cmp_neq_f64_e64 s[0:1], |v[14:15]|, s[18:19]
	s_mov_b32 s7, 0xbfe62e42
	s_mov_b32 s23, 0xbc7abc9e
	v_cndmask_b32_e64 v17, 0, v17, s[0:1]
	v_cndmask_b32_e64 v16, 0, v16, s[0:1]
	s_mov_b32 s0, 0x652b82fe
	s_mov_b32 s1, 0x3ff71547
	v_mul_f64 v[18:19], v[14:15], s[0:1]
	v_rndne_f64_e32 v[18:19], v[18:19]
	v_fma_f64 v[20:21], s[6:7], v[18:19], v[14:15]
	s_mov_b32 s0, 0x6a5dcb37
	v_fmac_f64_e32 v[20:21], s[22:23], v[18:19]
	v_mov_b32_e32 v22, 0xfca7ab0c
	v_mov_b32_e32 v23, 0x3e928af3
	s_mov_b32 s1, 0x3e5ade15
	v_fmac_f64_e32 v[22:23], s[0:1], v[20:21]
	v_mov_b32_e32 v24, 0x623fde64
	v_mov_b32_e32 v25, 0x3ec71dee
	v_fmac_f64_e32 v[24:25], v[20:21], v[22:23]
	v_mov_b32_e32 v22, 0x7c89e6b0
	v_mov_b32_e32 v23, 0x3efa0199
	;; [unrolled: 3-line block ×8, first 2 shown]
	v_fmac_f64_e32 v[22:23], v[20:21], v[24:25]
	v_fma_f64 v[22:23], v[20:21], v[22:23], 1.0
	s_mov_b32 s0, 0
	v_fma_f64 v[20:21], v[20:21], v[22:23], 1.0
	v_cvt_i32_f64_e32 v3, v[18:19]
	s_mov_b32 s1, 0x40900000
	s_mov_b32 s4, 0
	v_ldexp_f64 v[18:19], v[20:21], v3
	v_cmp_lt_f64_e64 s[0:1], s[0:1], v[14:15]
	v_mov_b32_e32 v13, 0x7ff00000
	s_mov_b32 s5, 0xc090cc00
	v_cndmask_b32_e64 v3, v18, 0, s[0:1]
	v_cndmask_b32_e64 v20, v19, v13, s[0:1]
	v_cmp_ngt_f64_e64 s[4:5], s[4:5], v[14:15]
	v_and_b32_e32 v19, 0x7fffffff, v19
	v_cmp_eq_f64_e64 s[6:7], s[18:19], v[18:19]
	v_cndmask_b32_e64 v15, 0, v20, s[4:5]
	v_cndmask_b32_e64 v14, 0, v3, s[4:5]
	v_mov_b64_e32 v[20:21], v[14:15]
	s_or_b64 s[0:1], s[0:1], s[6:7]
	v_fmac_f64_e32 v[20:21], v[20:21], v[16:17]
	s_and_b64 s[0:1], s[4:5], s[0:1]
	v_mul_f64 v[16:17], v[4:5], 0.5
	v_cndmask_b32_e64 v3, v20, v14, s[0:1]
	v_cndmask_b32_e64 v20, v21, v15, s[0:1]
	v_trunc_f64_e32 v[14:15], v[4:5]
	v_trunc_f64_e32 v[18:19], v[16:17]
	v_cmp_neq_f64_e64 s[0:1], v[18:19], v[16:17]
	v_cmp_eq_f64_e64 s[4:5], v[14:15], v[4:5]
	s_and_b64 s[0:1], s[4:5], s[0:1]
	s_brev_b32 s25, -2
	v_cndmask_b32_e64 v15, v12, v7, s[0:1]
	v_bfi_b32 v15, s25, v20, v15
	v_mov_b32_e32 v16, 0x7ff80000
	v_and_b32_e32 v9, 0x7fffffff, v9
	v_cndmask_b32_e64 v14, 0, v3, s[4:5]
	v_cndmask_b32_e64 v17, v16, v15, s[4:5]
	v_cmp_gt_f64_e64 s[4:5], 0, v[6:7]
	v_cndmask_b32_e32 v9, v9, v12, vcc
	v_cndmask_b32_e64 v8, v8, 0, vcc
	v_cndmask_b32_e64 v15, v15, v17, s[4:5]
	v_cndmask_b32_e64 v3, v3, v14, s[4:5]
	v_cmp_neq_f64_e32 vcc, v[4:5], v[8:9]
	v_cmp_gt_f64_e64 s[4:5], 1.0, v[10:11]
	s_xor_b64 s[4:5], vcc, s[4:5]
	v_cmp_eq_f64_e32 vcc, 1.0, v[10:11]
	v_cndmask_b32_e64 v12, v8, 0, s[4:5]
	v_cndmask_b32_e64 v14, v9, 0, s[4:5]
	v_cmp_eq_f64_e64 s[4:5], 0, v[6:7]
	v_cmp_gt_f64_e64 s[6:7], 0, v[4:5]
	v_cndmask_b32_e32 v14, v14, v11, vcc
	v_cndmask_b32_e32 v12, v12, v10, vcc
	v_cmp_eq_f64_e32 vcc, s[18:19], v[8:9]
	s_xor_b64 s[6:7], s[6:7], s[4:5]
	v_cndmask_b32_e64 v9, v13, 0, s[6:7]
	v_cndmask_b32_e32 v3, v3, v12, vcc
	v_cndmask_b32_e32 v8, v15, v14, vcc
	v_cmp_eq_f64_e32 vcc, s[18:19], v[10:11]
	v_cndmask_b32_e64 v10, 0, v7, s[0:1]
	v_bfi_b32 v9, s25, v9, v10
	s_or_b64 vcc, vcc, s[4:5]
	v_cndmask_b32_e32 v8, v8, v9, vcc
	v_cndmask_b32_e64 v3, v3, 0, vcc
	v_cmp_o_f64_e32 vcc, v[6:7], v[4:5]
	s_nop 1
	v_cndmask_b32_e32 v4, 0, v3, vcc
	v_cndmask_b32_e32 v5, v16, v8, vcc
	ds_write_b64 v2, v[4:5]
.LBB221_22:
	s_or_b64 exec, exec, s[8:9]
	v_mov_b32_e32 v2, 0
	s_waitcnt lgkmcnt(0)
	s_barrier
	ds_read_b64 v[2:3], v2
	s_waitcnt lgkmcnt(0)
	v_cmp_nlt_f64_e32 vcc, s[16:17], v[2:3]
	s_cbranch_vccnz .LBB221_27
; %bb.23:
	s_and_saveexec_b64 s[0:1], s[2:3]
	s_cbranch_execz .LBB221_26
; %bb.24:
	s_mov_b32 s2, 0x9abcaf48
	s_mov_b32 s3, 0x3e7ad7f2
	v_add_f64 v[2:3], v[2:3], s[2:3]
	v_div_scale_f64 v[4:5], s[2:3], v[2:3], v[2:3], s[16:17]
	v_rcp_f64_e32 v[6:7], v[4:5]
	s_and_b32 s6, s24, 0xffff
	s_lshl_b64 s[2:3], s[14:15], 3
	s_add_u32 s2, s12, s2
	v_fma_f64 v[8:9], -v[4:5], v[6:7], 1.0
	v_fmac_f64_e32 v[6:7], v[6:7], v[8:9]
	v_fma_f64 v[8:9], -v[4:5], v[6:7], 1.0
	v_fmac_f64_e32 v[6:7], v[6:7], v[8:9]
	v_div_scale_f64 v[8:9], vcc, s[16:17], v[2:3], s[16:17]
	v_mul_f64 v[10:11], v[8:9], v[6:7]
	v_fma_f64 v[4:5], -v[4:5], v[10:11], v[8:9]
	s_addc_u32 s3, s13, s3
	s_nop 0
	v_div_fmas_f64 v[4:5], v[4:5], v[6:7], v[10:11]
	v_div_fixup_f64 v[2:3], v[4:5], v[2:3], s[16:17]
	v_add_u32_e32 v4, s6, v0
	s_mov_b64 s[4:5], 0
.LBB221_25:                             ; =>This Inner Loop Header: Depth=1
	v_mul_lo_u32 v5, v1, s26
	v_mul_lo_u32 v6, v0, s27
	v_mad_u64_u32 v[0:1], s[8:9], v0, s26, 0
	v_add3_u32 v1, v1, v6, v5
	v_lshl_add_u64 v[6:7], v[0:1], 3, s[2:3]
	global_load_dwordx2 v[8:9], v[6:7], off
	v_ashrrev_i32_e32 v5, 31, v4
	v_cmp_le_i64_e32 vcc, s[20:21], v[4:5]
	v_mov_b64_e32 v[0:1], v[4:5]
	v_add_u32_e32 v4, s6, v4
	s_or_b64 s[4:5], vcc, s[4:5]
	s_waitcnt vmcnt(0)
	v_mul_f64 v[8:9], v[2:3], v[8:9]
	global_store_dwordx2 v[6:7], v[8:9], off
	s_andn2_b64 exec, exec, s[4:5]
	s_cbranch_execnz .LBB221_25
.LBB221_26:
	s_or_b64 exec, exec, s[0:1]
.LBB221_27:
	s_and_b64 vcc, exec, s[10:11]
	s_cbranch_vccnz .LBB221_31
.LBB221_28:
	s_endpgm
.LBB221_29:
	v_lshl_add_u32 v2, v14, 3, 0
	ds_read_b64 v[10:11], v2
	s_or_b64 exec, exec, s[0:1]
	v_cmp_gt_u32_e32 vcc, 64, v0
	s_and_saveexec_b64 s[0:1], vcc
	s_cbranch_execz .LBB221_20
.LBB221_30:
	s_waitcnt lgkmcnt(0)
	ds_bpermute_b32 v2, v6, v10
	ds_bpermute_b32 v3, v6, v11
	s_waitcnt lgkmcnt(0)
	v_add_f64 v[2:3], v[10:11], v[2:3]
	ds_bpermute_b32 v4, v7, v2
	ds_bpermute_b32 v5, v7, v3
	s_waitcnt lgkmcnt(0)
	v_add_f64 v[2:3], v[2:3], v[4:5]
	;; [unrolled: 4-line block ×6, first 2 shown]
	s_or_b64 exec, exec, s[0:1]
	v_cmp_eq_u32_e32 vcc, 0, v0
	s_and_saveexec_b64 s[8:9], vcc
	s_cbranch_execnz .LBB221_21
	s_branch .LBB221_22
.LBB221_31:
	s_trap 2
	; divergent unreachable
	s_endpgm
	.section	.rodata,"a",@progbits
	.p2align	6, 0x0
	.amdhsa_kernel _ZN2at6native12_GLOBAL__N_113renorm_kernelIddKiEEvPT_PT1_T0_S8_llllPKl
		.amdhsa_group_segment_fixed_size 0
		.amdhsa_private_segment_fixed_size 0
		.amdhsa_kernarg_size 328
		.amdhsa_user_sgpr_count 2
		.amdhsa_user_sgpr_dispatch_ptr 0
		.amdhsa_user_sgpr_queue_ptr 0
		.amdhsa_user_sgpr_kernarg_segment_ptr 1
		.amdhsa_user_sgpr_dispatch_id 0
		.amdhsa_user_sgpr_kernarg_preload_length 0
		.amdhsa_user_sgpr_kernarg_preload_offset 0
		.amdhsa_user_sgpr_private_segment_size 0
		.amdhsa_uses_dynamic_stack 0
		.amdhsa_enable_private_segment 0
		.amdhsa_system_sgpr_workgroup_id_x 1
		.amdhsa_system_sgpr_workgroup_id_y 0
		.amdhsa_system_sgpr_workgroup_id_z 0
		.amdhsa_system_sgpr_workgroup_info 0
		.amdhsa_system_vgpr_workitem_id 0
		.amdhsa_next_free_vgpr 70
		.amdhsa_next_free_sgpr 65
		.amdhsa_accum_offset 72
		.amdhsa_reserve_vcc 1
		.amdhsa_float_round_mode_32 0
		.amdhsa_float_round_mode_16_64 0
		.amdhsa_float_denorm_mode_32 3
		.amdhsa_float_denorm_mode_16_64 3
		.amdhsa_dx10_clamp 1
		.amdhsa_ieee_mode 1
		.amdhsa_fp16_overflow 0
		.amdhsa_tg_split 0
		.amdhsa_exception_fp_ieee_invalid_op 0
		.amdhsa_exception_fp_denorm_src 0
		.amdhsa_exception_fp_ieee_div_zero 0
		.amdhsa_exception_fp_ieee_overflow 0
		.amdhsa_exception_fp_ieee_underflow 0
		.amdhsa_exception_fp_ieee_inexact 0
		.amdhsa_exception_int_div_zero 0
	.end_amdhsa_kernel
	.section	.text._ZN2at6native12_GLOBAL__N_113renorm_kernelIddKiEEvPT_PT1_T0_S8_llllPKl,"axG",@progbits,_ZN2at6native12_GLOBAL__N_113renorm_kernelIddKiEEvPT_PT1_T0_S8_llllPKl,comdat
.Lfunc_end221:
	.size	_ZN2at6native12_GLOBAL__N_113renorm_kernelIddKiEEvPT_PT1_T0_S8_llllPKl, .Lfunc_end221-_ZN2at6native12_GLOBAL__N_113renorm_kernelIddKiEEvPT_PT1_T0_S8_llllPKl
                                        ; -- End function
	.section	.AMDGPU.csdata,"",@progbits
; Kernel info:
; codeLenInByte = 5320
; NumSgprs: 71
; NumVgprs: 70
; NumAgprs: 0
; TotalNumVgprs: 70
; ScratchSize: 0
; MemoryBound: 0
; FloatMode: 240
; IeeeMode: 1
; LDSByteSize: 0 bytes/workgroup (compile time only)
; SGPRBlocks: 8
; VGPRBlocks: 8
; NumSGPRsForWavesPerEU: 71
; NumVGPRsForWavesPerEU: 70
; AccumOffset: 72
; Occupancy: 7
; WaveLimiterHint : 1
; COMPUTE_PGM_RSRC2:SCRATCH_EN: 0
; COMPUTE_PGM_RSRC2:USER_SGPR: 2
; COMPUTE_PGM_RSRC2:TRAP_HANDLER: 0
; COMPUTE_PGM_RSRC2:TGID_X_EN: 1
; COMPUTE_PGM_RSRC2:TGID_Y_EN: 0
; COMPUTE_PGM_RSRC2:TGID_Z_EN: 0
; COMPUTE_PGM_RSRC2:TIDIG_COMP_CNT: 0
; COMPUTE_PGM_RSRC3_GFX90A:ACCUM_OFFSET: 17
; COMPUTE_PGM_RSRC3_GFX90A:TG_SPLIT: 0
	.section	.text._ZN2at6native12_GLOBAL__N_113renorm_kernelIffKiEEvPT_PT1_T0_S8_llllPKl,"axG",@progbits,_ZN2at6native12_GLOBAL__N_113renorm_kernelIffKiEEvPT_PT1_T0_S8_llllPKl,comdat
	.globl	_ZN2at6native12_GLOBAL__N_113renorm_kernelIffKiEEvPT_PT1_T0_S8_llllPKl ; -- Begin function _ZN2at6native12_GLOBAL__N_113renorm_kernelIffKiEEvPT_PT1_T0_S8_llllPKl
	.p2align	8
	.type	_ZN2at6native12_GLOBAL__N_113renorm_kernelIffKiEEvPT_PT1_T0_S8_llllPKl,@function
_ZN2at6native12_GLOBAL__N_113renorm_kernelIffKiEEvPT_PT1_T0_S8_llllPKl: ; @_ZN2at6native12_GLOBAL__N_113renorm_kernelIffKiEEvPT_PT1_T0_S8_llllPKl
; %bb.0:
	s_load_dwordx2 s[4:5], s[0:1], 0x38
	s_mov_b32 s3, 0
	v_mov_b64_e32 v[2:3], s[2:3]
	s_waitcnt lgkmcnt(0)
	s_load_dwordx2 s[4:5], s[4:5], 0x0
	s_waitcnt lgkmcnt(0)
	v_cmp_le_i64_e32 vcc, s[4:5], v[2:3]
	s_cbranch_vccnz .LBB222_28
; %bb.1:
	s_load_dwordx4 s[20:23], s[0:1], 0x0
	s_lshl_b64 s[2:3], s[2:3], 2
	s_waitcnt lgkmcnt(0)
	s_add_u32 s2, s22, s2
	s_addc_u32 s3, s23, s3
	s_load_dword s2, s[2:3], 0x0
	s_waitcnt lgkmcnt(0)
	s_cmp_lt_i32 s2, 0
	s_cbranch_scc1 .LBB222_14
; %bb.2:
	s_load_dwordx8 s[12:19], s[0:1], 0x18
	s_ashr_i32 s3, s2, 31
	s_getpc_b64 s[4:5]
	s_add_u32 s4, s4, .str.2@rel32@lo+4
	s_addc_u32 s5, s5, .str.2@rel32@hi+12
	s_cmp_eq_u64 s[4:5], 0
	s_cselect_b64 s[4:5], -1, 0
	s_waitcnt lgkmcnt(0)
	v_mov_b32_e32 v2, s14
	v_mov_b32_e32 v3, s15
	v_cmp_ge_i64_e32 vcc, s[2:3], v[2:3]
	s_or_b64 s[10:11], s[4:5], vcc
	s_andn2_b64 vcc, exec, s[10:11]
	s_cbranch_vccz .LBB222_27
; %bb.3:
	s_load_dwordx2 s[22:23], s[0:1], 0x10
	s_mul_i32 s4, s2, s17
	s_mul_hi_u32 s5, s2, s16
	s_add_i32 s4, s5, s4
	s_mul_i32 s3, s3, s16
	v_mov_b32_e32 v1, 0
	s_add_i32 s15, s4, s3
	s_mul_i32 s14, s2, s16
	v_cmp_gt_i64_e64 s[2:3], s[12:13], v[0:1]
	v_mov_b32_e32 v6, v1
	s_and_saveexec_b64 s[16:17], s[2:3]
	s_cbranch_execz .LBB222_16
; %bb.4:
	s_load_dword s6, s[0:1], 0x4c
	s_lshl_b64 s[4:5], s[14:15], 2
	s_add_u32 s24, s20, s4
	s_addc_u32 s25, s21, s5
	s_waitcnt lgkmcnt(0)
	v_cmp_neq_f32_e64 s[26:27], s23, 1.0
	s_and_b32 s33, s6, 0xffff
	v_cmp_neq_f32_e64 s[28:29], s23, 2.0
	v_add_u32_e32 v2, s33, v0
	s_mov_b64 s[30:31], 0
	v_mov_b32_e32 v6, 0
	s_mov_b32 s34, 0x3f2aaaab
	v_mov_b32_e32 v7, 0x3e91f4c4
	s_mov_b32 s35, 0x3f317218
	s_movk_i32 s36, 0x204
	s_mov_b32 s37, 0x7f800000
	s_mov_b32 s38, 0x42b17218
	;; [unrolled: 1-line block ×4, first 2 shown]
	s_brev_b32 s41, -2
	v_mov_b32_e32 v8, 0x37000000
	v_mov_b32_e32 v9, 0x7f800000
	;; [unrolled: 1-line block ×3, first 2 shown]
	v_mov_b64_e32 v[4:5], v[0:1]
                                        ; implicit-def: $vgpr3
	s_branch .LBB222_6
.LBB222_5:                              ;   in Loop: Header=BB222_6 Depth=1
	s_waitcnt vmcnt(0)
	v_ashrrev_i32_e32 v3, 31, v2
	v_cmp_le_i64_e32 vcc, s[12:13], v[2:3]
	v_add_f32_e32 v6, v6, v4
	v_mov_b64_e32 v[4:5], v[2:3]
	s_or_b64 s[30:31], vcc, s[30:31]
	v_add_u32_e32 v2, s33, v2
	s_andn2_b64 exec, exec, s[30:31]
	s_cbranch_execz .LBB222_15
.LBB222_6:                              ; =>This Inner Loop Header: Depth=1
	v_mul_lo_u32 v3, v5, s18
	v_mul_lo_u32 v11, v4, s19
	v_mad_u64_u32 v[4:5], s[4:5], v4, s18, 0
	v_add3_u32 v5, v5, v11, v3
	v_lshl_add_u64 v[4:5], v[4:5], 2, s[24:25]
	global_load_dword v3, v[4:5], off
	s_and_b64 vcc, exec, s[26:27]
	s_cbranch_vccz .LBB222_11
; %bb.7:                                ;   in Loop: Header=BB222_6 Depth=1
	s_and_b64 vcc, exec, s[28:29]
	s_cbranch_vccz .LBB222_13
; %bb.8:                                ;   in Loop: Header=BB222_6 Depth=1
	v_mov_b32_e32 v26, s23
	s_waitcnt vmcnt(0)
	v_cmp_eq_f32_e32 vcc, 1.0, v3
	s_nop 1
	v_cndmask_b32_e64 v27, v26, 1.0, vcc
	v_cmp_eq_f32_e64 s[4:5], 0, v27
	v_cmp_gt_f32_e64 s[8:9], 0, v27
	s_nop 0
	v_cndmask_b32_e64 v28, |v3|, 1.0, s[4:5]
	v_frexp_mant_f32_e32 v4, v28
	v_cmp_gt_f32_e64 s[6:7], s34, v4
	s_nop 1
	v_cndmask_b32_e64 v5, 1.0, 2.0, s[6:7]
	v_mul_f32_e32 v4, v4, v5
	v_add_f32_e32 v11, 1.0, v4
	v_rcp_f32_e32 v18, v11
	v_add_f32_e32 v5, -1.0, v11
	v_sub_f32_e32 v13, v4, v5
	v_add_f32_e32 v5, -1.0, v4
	v_mul_f32_e32 v19, v5, v18
	v_mul_f32_e32 v12, v11, v19
	v_fma_f32 v14, v19, v11, -v12
	v_fmac_f32_e32 v14, v19, v13
	v_add_f32_e32 v4, v12, v14
	v_sub_f32_e32 v13, v5, v4
	v_pk_add_f32 v[16:17], v[4:5], v[12:13] neg_lo:[0,1] neg_hi:[0,1]
	v_mov_b32_e32 v15, v4
	v_pk_add_f32 v[4:5], v[16:17], v[14:15] neg_lo:[0,1] neg_hi:[0,1]
	s_nop 0
	v_add_f32_e32 v4, v4, v5
	v_add_f32_e32 v4, v13, v4
	v_mul_f32_e32 v5, v18, v4
	v_add_f32_e32 v4, v19, v5
	v_sub_f32_e32 v11, v4, v19
	v_sub_f32_e32 v11, v5, v11
	v_mul_f32_e32 v5, v4, v4
	v_fma_f32 v13, v4, v4, -v5
	v_add_f32_e32 v12, v11, v11
	v_fmac_f32_e32 v13, v4, v12
	v_add_f32_e32 v12, v5, v13
	v_fmamk_f32 v14, v12, 0x3e76c4e1, v7
	v_fmaak_f32 v14, v12, v14, 0x3ecccdef
	v_sub_f32_e32 v5, v12, v5
	v_sub_f32_e32 v20, v13, v5
	v_mul_f32_e32 v5, v12, v14
	v_fma_f32 v13, v12, v14, -v5
	v_fmac_f32_e32 v13, v20, v14
	v_add_f32_e32 v14, v5, v13
	v_add_f32_e32 v15, 0x3f2aaaaa, v14
	v_sub_f32_e32 v5, v14, v5
	v_sub_f32_e32 v5, v13, v5
	v_add_f32_e32 v13, 0xbf2aaaaa, v15
	v_add_f32_e32 v5, 0x31739010, v5
	v_sub_f32_e32 v13, v14, v13
	v_pk_mul_f32 v[16:17], v[4:5], v[12:13]
	v_pk_add_f32 v[18:19], v[4:5], v[12:13]
	v_fma_f32 v14, v12, v4, -v16
	v_fmac_f32_e32 v14, v12, v11
	v_mov_b32_e32 v17, v19
	v_fmac_f32_e32 v14, v20, v4
	v_pk_add_f32 v[12:13], v[16:17], v[14:15]
	v_ldexp_f32 v11, v11, 1
	v_sub_f32_e32 v5, v12, v16
	v_sub_f32_e32 v5, v14, v5
	;; [unrolled: 1-line block ×3, first 2 shown]
	v_add_f32_e32 v18, v19, v14
	v_mov_b32_e32 v14, v13
	v_pk_mul_f32 v[14:15], v[12:13], v[14:15]
	v_cvt_f64_f32_e32 v[16:17], v28
	v_frexp_exp_i32_f64_e32 v15, v[16:17]
	v_subbrev_co_u32_e64 v15, s[6:7], 0, v15, s[6:7]
	v_cvt_f32_i32_e32 v15, v15
	v_fma_f32 v16, v12, v13, -v14
	v_fmac_f32_e32 v16, v12, v18
	v_fmac_f32_e32 v16, v5, v13
	v_mul_f32_e32 v12, 0x3f317218, v15
	v_fma_f32 v18, v15, s35, -v12
	v_fmac_f32_e32 v18, 0xb102e308, v15
	v_ldexp_f32 v19, v4, 1
	v_add_f32_e32 v13, v14, v16
	v_pk_add_f32 v[4:5], v[12:13], v[18:19]
	v_mov_b32_e32 v20, v13
	v_mov_b32_e32 v21, v5
	;; [unrolled: 1-line block ×3, first 2 shown]
	v_pk_add_f32 v[14:15], v[20:21], v[14:15] neg_lo:[0,1] neg_hi:[0,1]
	v_mov_b32_e32 v17, v13
	v_pk_add_f32 v[14:15], v[16:17], v[14:15] neg_lo:[0,1] neg_hi:[0,1]
	v_mov_b32_e32 v19, v4
	v_add_f32_e32 v11, v11, v14
	v_add_f32_e32 v13, v11, v15
	v_pk_add_f32 v[14:15], v[4:5], v[12:13] neg_lo:[0,1] neg_hi:[0,1]
	v_pk_add_f32 v[16:17], v[4:5], v[12:13]
	v_mov_b32_e32 v20, v14
	v_mov_b32_e32 v21, v17
	v_pk_add_f32 v[20:21], v[18:19], v[20:21]
	v_pk_add_f32 v[14:15], v[18:19], v[14:15] neg_lo:[0,1] neg_hi:[0,1]
	v_mov_b32_e32 v12, v21
	v_pk_add_f32 v[22:23], v[12:13], v[4:5] neg_lo:[0,1] neg_hi:[0,1]
	v_mov_b32_e32 v20, v17
	v_mov_b32_e32 v11, v22
	;; [unrolled: 1-line block ×4, first 2 shown]
	v_pk_add_f32 v[24:25], v[16:17], v[10:11] neg_lo:[0,1] neg_hi:[0,1]
	v_pk_add_f32 v[4:5], v[20:21], v[4:5] neg_lo:[0,1] neg_hi:[0,1]
	v_mov_b32_e32 v18, v13
	v_pk_add_f32 v[4:5], v[18:19], v[4:5] neg_lo:[0,1] neg_hi:[0,1]
	v_mov_b32_e32 v24, v14
	v_pk_add_f32 v[16:17], v[24:25], v[4:5]
	v_mov_b32_e32 v15, v21
	v_mov_b32_e32 v18, v17
	v_pk_add_f32 v[18:19], v[16:17], v[18:19]
	s_nop 0
	v_pk_add_f32 v[12:13], v[12:13], v[18:19]
	v_mov_b32_e32 v5, v18
	v_mov_b32_e32 v17, v12
	v_pk_add_f32 v[20:21], v[16:17], v[14:15] neg_lo:[0,1] neg_hi:[0,1]
	s_nop 0
	v_sub_f32_e32 v11, v16, v20
	v_pk_add_f32 v[4:5], v[4:5], v[20:21] neg_lo:[0,1] neg_hi:[0,1]
	v_sub_f32_e32 v11, v14, v11
	v_add_f32_e32 v4, v4, v11
	v_add_f32_e32 v4, v4, v5
	;; [unrolled: 1-line block ×3, first 2 shown]
	v_sub_f32_e32 v11, v5, v12
	v_sub_f32_e32 v4, v4, v11
	v_mul_f32_e32 v11, v27, v5
	v_fma_f32 v5, v27, v5, -v11
	v_fmac_f32_e32 v5, v27, v4
	v_add_f32_e32 v4, v11, v5
	v_cmp_class_f32_e64 s[6:7], v11, s36
	v_sub_f32_e32 v12, v4, v11
	v_sub_f32_e32 v5, v5, v12
	v_cndmask_b32_e64 v4, v4, v11, s[6:7]
	v_cmp_eq_f32_e64 s[6:7], s38, v4
	s_nop 1
	v_cndmask_b32_e64 v11, 0, v8, s[6:7]
	v_sub_f32_e32 v12, v4, v11
	v_mul_f32_e32 v13, 0x3fb8aa3b, v12
	v_fma_f32 v14, v12, s39, -v13
	v_rndne_f32_e32 v15, v13
	v_fmac_f32_e32 v14, 0x32a5705f, v12
	v_sub_f32_e32 v13, v13, v15
	v_add_f32_e32 v13, v13, v14
	v_exp_f32_e32 v13, v13
	v_cvt_i32_f32_e32 v14, v15
	v_cmp_neq_f32_e64 s[6:7], |v4|, s37
	s_nop 1
	v_cndmask_b32_e64 v4, 0, v5, s[6:7]
	v_ldexp_f32 v5, v13, v14
	v_cmp_ngt_f32_e64 s[6:7], s40, v12
	v_add_f32_e32 v4, v11, v4
	v_trunc_f32_e32 v11, v27
	v_cndmask_b32_e64 v5, 0, v5, s[6:7]
	v_cmp_nlt_f32_e64 s[6:7], s38, v12
	s_nop 1
	v_cndmask_b32_e64 v5, v9, v5, s[6:7]
	v_fma_f32 v4, v5, v4, v5
	v_cmp_class_f32_e64 s[6:7], v5, s36
	s_nop 1
	v_cndmask_b32_e64 v4, v4, v5, s[6:7]
	v_cndmask_b32_e64 v5, v3, 1.0, s[4:5]
	v_cmp_eq_f32_e64 s[4:5], v11, v27
	v_mul_f32_e32 v11, 0.5, v27
	v_trunc_f32_e32 v12, v11
	v_cmp_neq_f32_e64 s[6:7], v12, v11
	s_and_b64 s[6:7], s[4:5], s[6:7]
	s_nop 0
	v_cndmask_b32_e64 v11, 1.0, v5, s[6:7]
	v_bfi_b32 v4, s41, v4, v11
	v_cndmask_b32_e64 v11, v10, v4, s[4:5]
	v_cmp_gt_f32_e64 s[4:5], 0, v5
	s_nop 1
	v_cndmask_b32_e64 v4, v4, v11, s[4:5]
	v_cndmask_b32_e64 v11, |v26|, 1.0, vcc
	v_cmp_neq_f32_e32 vcc, v27, v11
	v_cmp_gt_f32_e64 s[4:5], 1.0, v28
	s_xor_b64 s[4:5], vcc, s[4:5]
	v_cmp_eq_f32_e32 vcc, 1.0, v28
	v_cndmask_b32_e64 v12, v11, 0, s[4:5]
	v_cmp_eq_f32_e64 s[4:5], 0, v5
	v_cndmask_b32_e32 v12, v12, v28, vcc
	v_cmp_eq_f32_e32 vcc, s37, v11
	s_xor_b64 s[8:9], s[8:9], s[4:5]
	v_cndmask_b32_e64 v11, v9, 0, s[8:9]
	v_cndmask_b32_e32 v4, v4, v12, vcc
	v_cmp_eq_f32_e32 vcc, s37, v28
	v_cndmask_b32_e64 v12, 0, v5, s[6:7]
	v_bfi_b32 v11, s41, v11, v12
	s_or_b64 vcc, vcc, s[4:5]
	v_cndmask_b32_e32 v4, v4, v11, vcc
	v_cmp_o_f32_e32 vcc, v5, v27
	s_nop 1
	v_cndmask_b32_e32 v4, v10, v4, vcc
	s_cbranch_execnz .LBB222_10
.LBB222_9:                              ;   in Loop: Header=BB222_6 Depth=1
	s_waitcnt vmcnt(0)
	v_mul_f32_e32 v4, v3, v3
.LBB222_10:                             ;   in Loop: Header=BB222_6 Depth=1
	s_cbranch_execnz .LBB222_5
	s_branch .LBB222_12
.LBB222_11:                             ;   in Loop: Header=BB222_6 Depth=1
                                        ; implicit-def: $vgpr4
.LBB222_12:                             ;   in Loop: Header=BB222_6 Depth=1
	s_waitcnt vmcnt(0)
	v_and_b32_e32 v4, 0x7fffffff, v3
	s_branch .LBB222_5
.LBB222_13:                             ;   in Loop: Header=BB222_6 Depth=1
                                        ; implicit-def: $vgpr4
	s_branch .LBB222_9
.LBB222_14:
	s_mov_b64 s[10:11], -1
	s_branch .LBB222_27
.LBB222_15:
	s_or_b64 exec, exec, s[30:31]
.LBB222_16:
	s_or_b64 exec, exec, s[16:17]
	v_mbcnt_lo_u32_b32 v2, -1, 0
	v_mbcnt_hi_u32_b32 v8, -1, v2
	v_and_b32_e32 v10, 63, v8
	v_cmp_gt_u32_e32 vcc, 32, v10
	s_waitcnt lgkmcnt(0)
	s_barrier
	v_cndmask_b32_e64 v2, 0, 1, vcc
	v_lshlrev_b32_e32 v2, 5, v2
	v_add_lshl_u32 v3, v2, v8, 2
	ds_bpermute_b32 v2, v3, v6
	v_cmp_gt_u32_e32 vcc, 48, v10
	s_waitcnt lgkmcnt(0)
	v_add_f32_e32 v2, v6, v2
	v_cndmask_b32_e64 v4, 0, 1, vcc
	v_lshlrev_b32_e32 v4, 4, v4
	v_add_lshl_u32 v4, v4, v8, 2
	ds_bpermute_b32 v5, v4, v2
	v_cmp_gt_u32_e32 vcc, 56, v10
	s_waitcnt lgkmcnt(0)
	v_add_f32_e32 v2, v2, v5
	;; [unrolled: 7-line block ×4, first 2 shown]
	v_cndmask_b32_e64 v9, 0, 1, vcc
	v_lshlrev_b32_e32 v9, 1, v9
	v_add_lshl_u32 v7, v9, v8, 2
	ds_bpermute_b32 v11, v7, v2
	v_cmp_ne_u32_e32 vcc, 63, v10
	v_and_b32_e32 v9, 63, v0
	s_waitcnt lgkmcnt(0)
	v_add_f32_e32 v2, v2, v11
	v_addc_co_u32_e32 v8, vcc, 0, v8, vcc
	v_lshlrev_b32_e32 v8, 2, v8
	ds_bpermute_b32 v10, v8, v2
	v_cmp_eq_u32_e32 vcc, 0, v9
	s_and_saveexec_b64 s[4:5], vcc
	s_cbranch_execz .LBB222_18
; %bb.17:
	s_waitcnt lgkmcnt(0)
	v_add_f32_e32 v2, v2, v10
	v_lshrrev_b32_e32 v10, 4, v0
	v_add_u32_e32 v10, 0, v10
	ds_write_b32 v10, v2
.LBB222_18:
	s_or_b64 exec, exec, s[4:5]
	s_waitcnt lgkmcnt(0)
	s_barrier
	s_load_dword s16, s[0:1], 0x4c
	v_mov_b32_e32 v2, 0
	s_waitcnt lgkmcnt(0)
	s_bfe_u32 s0, s16, 0xa0006
	v_cmp_gt_u32_e32 vcc, s0, v0
	s_and_saveexec_b64 s[0:1], vcc
	s_cbranch_execnz .LBB222_29
; %bb.19:
	s_or_b64 exec, exec, s[0:1]
	v_cmp_gt_u32_e32 vcc, 64, v0
	s_and_saveexec_b64 s[0:1], vcc
	s_cbranch_execnz .LBB222_30
.LBB222_20:
	s_or_b64 exec, exec, s[0:1]
	v_cmp_eq_u32_e32 vcc, 0, v0
	s_and_saveexec_b64 s[8:9], vcc
	s_cbranch_execz .LBB222_22
.LBB222_21:
	v_div_scale_f32 v3, s[0:1], s23, s23, 1.0
	v_rcp_f32_e32 v4, v3
	v_div_scale_f32 v5, vcc, 1.0, s23, 1.0
	s_mov_b32 s4, 0x3f2aaaab
	v_fma_f32 v6, -v3, v4, 1.0
	v_fmac_f32_e32 v4, v6, v4
	v_mul_f32_e32 v6, v5, v4
	v_fma_f32 v7, -v3, v6, v5
	v_fmac_f32_e32 v6, v7, v4
	v_fma_f32 v3, -v3, v6, v5
	v_div_fmas_f32 v3, v3, v4, v6
	v_div_fixup_f32 v20, v3, s23, 1.0
	s_waitcnt lgkmcnt(0)
	v_cmp_eq_f32_e32 vcc, 1.0, v2
	s_movk_i32 s6, 0x204
	s_mov_b32 s17, 0x42b17218
	v_cndmask_b32_e64 v21, v20, 1.0, vcc
	v_cmp_eq_f32_e64 s[0:1], 0, v21
	s_mov_b32 s7, 0x7f800000
	s_nop 0
	v_cndmask_b32_e64 v22, |v2|, 1.0, s[0:1]
	v_frexp_mant_f32_e32 v3, v22
	v_cmp_gt_f32_e64 s[4:5], s4, v3
	s_nop 1
	v_cndmask_b32_e64 v4, 1.0, 2.0, s[4:5]
	v_mul_f32_e32 v3, v3, v4
	v_add_f32_e32 v4, 1.0, v3
	v_rcp_f32_e32 v12, v4
	v_add_f32_e32 v5, -1.0, v4
	v_sub_f32_e32 v7, v3, v5
	v_add_f32_e32 v5, -1.0, v3
	v_mul_f32_e32 v3, v5, v12
	v_mul_f32_e32 v6, v4, v3
	v_fma_f32 v8, v3, v4, -v6
	v_fmac_f32_e32 v8, v3, v7
	v_add_f32_e32 v4, v6, v8
	v_sub_f32_e32 v7, v5, v4
	v_pk_add_f32 v[10:11], v[4:5], v[6:7] neg_lo:[0,1] neg_hi:[0,1]
	v_mov_b32_e32 v9, v4
	v_pk_add_f32 v[4:5], v[10:11], v[8:9] neg_lo:[0,1] neg_hi:[0,1]
	v_mov_b32_e32 v8, 0x3e91f4c4
	v_add_f32_e32 v4, v4, v5
	v_add_f32_e32 v4, v7, v4
	v_mul_f32_e32 v5, v12, v4
	v_add_f32_e32 v4, v3, v5
	v_sub_f32_e32 v3, v4, v3
	v_sub_f32_e32 v3, v5, v3
	v_mul_f32_e32 v5, v4, v4
	v_fma_f32 v7, v4, v4, -v5
	v_add_f32_e32 v6, v3, v3
	v_fmac_f32_e32 v7, v4, v6
	v_add_f32_e32 v6, v5, v7
	v_fmac_f32_e32 v8, 0x3e76c4e1, v6
	v_fmaak_f32 v8, v6, v8, 0x3ecccdef
	v_sub_f32_e32 v5, v6, v5
	v_sub_f32_e32 v14, v7, v5
	v_mul_f32_e32 v5, v6, v8
	v_fma_f32 v7, v6, v8, -v5
	v_fmac_f32_e32 v7, v14, v8
	v_add_f32_e32 v8, v5, v7
	v_add_f32_e32 v9, 0x3f2aaaaa, v8
	v_sub_f32_e32 v5, v8, v5
	v_sub_f32_e32 v5, v7, v5
	v_add_f32_e32 v7, 0xbf2aaaaa, v9
	v_add_f32_e32 v5, 0x31739010, v5
	v_sub_f32_e32 v7, v8, v7
	v_pk_mul_f32 v[10:11], v[4:5], v[6:7]
	v_pk_add_f32 v[12:13], v[4:5], v[6:7]
	v_fma_f32 v8, v6, v4, -v10
	v_fmac_f32_e32 v8, v6, v3
	v_mov_b32_e32 v11, v13
	v_fmac_f32_e32 v8, v14, v4
	v_pk_add_f32 v[6:7], v[10:11], v[8:9]
	v_ldexp_f32 v3, v3, 1
	v_sub_f32_e32 v5, v6, v10
	v_sub_f32_e32 v5, v8, v5
	;; [unrolled: 1-line block ×3, first 2 shown]
	v_add_f32_e32 v11, v13, v8
	v_mov_b32_e32 v8, v7
	v_pk_mul_f32 v[8:9], v[6:7], v[8:9]
	v_cvt_f64_f32_e32 v[12:13], v22
	v_frexp_exp_i32_f64_e32 v9, v[12:13]
	v_subbrev_co_u32_e64 v9, s[4:5], 0, v9, s[4:5]
	v_cvt_f32_i32_e32 v9, v9
	v_fma_f32 v10, v6, v7, -v8
	v_fmac_f32_e32 v10, v6, v11
	s_mov_b32 s4, 0x3f317218
	v_mul_f32_e32 v6, 0x3f317218, v9
	v_fmac_f32_e32 v10, v5, v7
	v_fma_f32 v5, v9, s4, -v6
	v_fmamk_f32 v12, v9, 0xb102e308, v5
	v_ldexp_f32 v13, v4, 1
	v_add_f32_e32 v7, v8, v10
	v_pk_add_f32 v[4:5], v[6:7], v[12:13]
	v_mov_b32_e32 v14, v7
	v_mov_b32_e32 v15, v5
	v_mov_b32_e32 v9, v13
	v_pk_add_f32 v[8:9], v[14:15], v[8:9] neg_lo:[0,1] neg_hi:[0,1]
	v_mov_b32_e32 v11, v7
	v_pk_add_f32 v[8:9], v[10:11], v[8:9] neg_lo:[0,1] neg_hi:[0,1]
	v_mov_b32_e32 v13, v4
	v_add_f32_e32 v3, v3, v8
	v_add_f32_e32 v7, v3, v9
	v_pk_add_f32 v[8:9], v[4:5], v[6:7] neg_lo:[0,1] neg_hi:[0,1]
	v_pk_add_f32 v[10:11], v[4:5], v[6:7]
	v_mov_b32_e32 v14, v8
	v_mov_b32_e32 v15, v11
	v_pk_add_f32 v[14:15], v[12:13], v[14:15]
	v_pk_add_f32 v[8:9], v[12:13], v[8:9] neg_lo:[0,1] neg_hi:[0,1]
	v_mov_b32_e32 v6, v15
	v_pk_add_f32 v[16:17], v[6:7], v[4:5] neg_lo:[0,1] neg_hi:[0,1]
	v_mov_b32_e32 v14, v11
	v_mov_b32_e32 v3, v16
	;; [unrolled: 1-line block ×4, first 2 shown]
	v_pk_add_f32 v[18:19], v[10:11], v[2:3] neg_lo:[0,1] neg_hi:[0,1]
	v_pk_add_f32 v[4:5], v[14:15], v[4:5] neg_lo:[0,1] neg_hi:[0,1]
	v_mov_b32_e32 v12, v7
	v_pk_add_f32 v[4:5], v[12:13], v[4:5] neg_lo:[0,1] neg_hi:[0,1]
	v_mov_b32_e32 v18, v8
	v_pk_add_f32 v[10:11], v[18:19], v[4:5]
	v_mov_b32_e32 v9, v15
	v_mov_b32_e32 v12, v11
	v_pk_add_f32 v[12:13], v[10:11], v[12:13]
	v_cndmask_b32_e64 v2, v2, 1.0, s[0:1]
	v_pk_add_f32 v[6:7], v[6:7], v[12:13]
	v_mov_b32_e32 v5, v12
	v_mov_b32_e32 v11, v6
	v_pk_add_f32 v[14:15], v[10:11], v[8:9] neg_lo:[0,1] neg_hi:[0,1]
	s_nop 0
	v_sub_f32_e32 v3, v10, v14
	v_pk_add_f32 v[4:5], v[4:5], v[14:15] neg_lo:[0,1] neg_hi:[0,1]
	v_sub_f32_e32 v3, v8, v3
	v_add_f32_e32 v3, v4, v3
	v_add_f32_e32 v3, v3, v5
	;; [unrolled: 1-line block ×3, first 2 shown]
	v_sub_f32_e32 v5, v4, v6
	v_sub_f32_e32 v3, v3, v5
	v_mul_f32_e32 v5, v21, v4
	v_fma_f32 v4, v21, v4, -v5
	v_fmac_f32_e32 v4, v21, v3
	v_add_f32_e32 v3, v5, v4
	v_cmp_class_f32_e64 s[4:5], v5, s6
	v_sub_f32_e32 v6, v3, v5
	v_sub_f32_e32 v4, v4, v6
	v_cndmask_b32_e64 v3, v3, v5, s[4:5]
	v_mov_b32_e32 v5, 0x37000000
	v_cmp_eq_f32_e64 s[4:5], s17, v3
	s_nop 1
	v_cndmask_b32_e64 v5, 0, v5, s[4:5]
	v_sub_f32_e32 v6, v3, v5
	s_mov_b32 s4, 0x3fb8aa3b
	v_mul_f32_e32 v7, 0x3fb8aa3b, v6
	v_fma_f32 v8, v6, s4, -v7
	v_rndne_f32_e32 v9, v7
	v_fmamk_f32 v8, v6, 0x32a5705f, v8
	v_sub_f32_e32 v7, v7, v9
	v_add_f32_e32 v7, v7, v8
	v_exp_f32_e32 v7, v7
	v_cvt_i32_f32_e32 v8, v9
	v_cmp_neq_f32_e64 s[4:5], |v3|, s7
	s_nop 1
	v_cndmask_b32_e64 v3, 0, v4, s[4:5]
	s_mov_b32 s4, 0xc2ce8ed0
	v_ldexp_f32 v4, v7, v8
	v_cmp_ngt_f32_e64 s[4:5], s4, v6
	v_add_f32_e32 v3, v5, v3
	v_mov_b32_e32 v5, 0x7f800000
	v_cndmask_b32_e64 v4, 0, v4, s[4:5]
	v_cmp_nlt_f32_e64 s[4:5], s17, v6
	s_brev_b32 s17, -2
	v_mov_b32_e32 v6, 0x7fc00000
	v_cndmask_b32_e64 v4, v5, v4, s[4:5]
	v_fma_f32 v3, v4, v3, v4
	v_cmp_class_f32_e64 s[4:5], v4, s6
	s_nop 1
	v_cndmask_b32_e64 v3, v3, v4, s[4:5]
	v_trunc_f32_e32 v4, v21
	v_cmp_eq_f32_e64 s[0:1], v4, v21
	v_mul_f32_e32 v4, 0.5, v21
	v_trunc_f32_e32 v7, v4
	v_cmp_neq_f32_e64 s[4:5], v7, v4
	s_and_b64 s[4:5], s[0:1], s[4:5]
	s_nop 0
	v_cndmask_b32_e64 v4, 1.0, v2, s[4:5]
	v_bfi_b32 v3, s17, v3, v4
	v_cndmask_b32_e64 v4, v6, v3, s[0:1]
	v_cmp_gt_f32_e64 s[0:1], 0, v2
	s_nop 1
	v_cndmask_b32_e64 v3, v3, v4, s[0:1]
	v_cndmask_b32_e64 v4, |v20|, 1.0, vcc
	v_cmp_neq_f32_e32 vcc, v21, v4
	v_cmp_gt_f32_e64 s[0:1], 1.0, v22
	s_xor_b64 s[0:1], vcc, s[0:1]
	v_cmp_eq_f32_e32 vcc, 1.0, v22
	v_cndmask_b32_e64 v7, v4, 0, s[0:1]
	v_cmp_eq_f32_e64 s[0:1], 0, v2
	v_cndmask_b32_e32 v7, v7, v22, vcc
	v_cmp_eq_f32_e32 vcc, s7, v4
	s_nop 1
	v_cndmask_b32_e32 v3, v3, v7, vcc
	v_cmp_eq_f32_e32 vcc, s7, v22
	v_cmp_gt_f32_e64 s[6:7], 0, v21
	s_xor_b64 s[6:7], s[6:7], s[0:1]
	s_or_b64 vcc, vcc, s[0:1]
	v_cndmask_b32_e64 v4, v5, 0, s[6:7]
	v_cndmask_b32_e64 v5, 0, v2, s[4:5]
	v_bfi_b32 v4, s17, v4, v5
	v_cndmask_b32_e32 v3, v3, v4, vcc
	v_cmp_o_f32_e32 vcc, v2, v21
	s_nop 1
	v_cndmask_b32_e32 v2, v6, v3, vcc
	v_mov_b32_e32 v3, 0
	ds_write_b32 v3, v2
.LBB222_22:
	s_or_b64 exec, exec, s[8:9]
	s_waitcnt lgkmcnt(0)
	v_mov_b32_e32 v2, 0
	s_barrier
	ds_read_b32 v2, v2
	s_waitcnt lgkmcnt(0)
	v_cmp_nlt_f32_e32 vcc, s22, v2
	s_cbranch_vccnz .LBB222_27
; %bb.23:
	s_and_saveexec_b64 s[0:1], s[2:3]
	s_cbranch_execz .LBB222_26
; %bb.24:
	s_mov_b32 s2, 0x9abcaf48
	v_cvt_f64_f32_e32 v[2:3], v2
	s_mov_b32 s3, 0x3e7ad7f2
	v_cvt_f64_f32_e32 v[4:5], s22
	v_add_f64 v[2:3], v[2:3], s[2:3]
	v_div_scale_f64 v[6:7], s[2:3], v[2:3], v[2:3], v[4:5]
	v_rcp_f64_e32 v[8:9], v[6:7]
	s_and_b32 s6, s16, 0xffff
	s_lshl_b64 s[2:3], s[14:15], 2
	s_add_u32 s2, s20, s2
	v_fma_f64 v[10:11], -v[6:7], v[8:9], 1.0
	v_fmac_f64_e32 v[8:9], v[8:9], v[10:11]
	v_fma_f64 v[10:11], -v[6:7], v[8:9], 1.0
	v_fmac_f64_e32 v[8:9], v[8:9], v[10:11]
	v_div_scale_f64 v[10:11], vcc, v[4:5], v[2:3], v[4:5]
	v_mul_f64 v[12:13], v[10:11], v[8:9]
	v_fma_f64 v[6:7], -v[6:7], v[12:13], v[10:11]
	s_addc_u32 s3, s21, s3
	s_nop 0
	v_div_fmas_f64 v[6:7], v[6:7], v[8:9], v[12:13]
	v_div_fixup_f64 v[2:3], v[6:7], v[2:3], v[4:5]
	v_cvt_f32_f64_e32 v4, v[2:3]
	v_add_u32_e32 v2, s6, v0
	s_mov_b64 s[4:5], 0
.LBB222_25:                             ; =>This Inner Loop Header: Depth=1
	v_mul_lo_u32 v3, v1, s18
	v_mul_lo_u32 v5, v0, s19
	v_mad_u64_u32 v[0:1], s[8:9], v0, s18, 0
	v_add3_u32 v1, v1, v5, v3
	v_lshl_add_u64 v[6:7], v[0:1], 2, s[2:3]
	global_load_dword v5, v[6:7], off
	v_ashrrev_i32_e32 v3, 31, v2
	v_cmp_le_i64_e32 vcc, s[12:13], v[2:3]
	v_mov_b64_e32 v[0:1], v[2:3]
	v_add_u32_e32 v2, s6, v2
	s_or_b64 s[4:5], vcc, s[4:5]
	s_waitcnt vmcnt(0)
	v_mul_f32_e32 v3, v5, v4
	global_store_dword v[6:7], v3, off
	s_andn2_b64 exec, exec, s[4:5]
	s_cbranch_execnz .LBB222_25
.LBB222_26:
	s_or_b64 exec, exec, s[0:1]
.LBB222_27:
	s_and_b64 vcc, exec, s[10:11]
	s_cbranch_vccnz .LBB222_31
.LBB222_28:
	s_endpgm
.LBB222_29:
	v_lshl_add_u32 v2, v9, 2, 0
	ds_read_b32 v2, v2
	s_or_b64 exec, exec, s[0:1]
	v_cmp_gt_u32_e32 vcc, 64, v0
	s_and_saveexec_b64 s[0:1], vcc
	s_cbranch_execz .LBB222_20
.LBB222_30:
	s_waitcnt lgkmcnt(0)
	ds_bpermute_b32 v3, v3, v2
	s_waitcnt lgkmcnt(0)
	v_add_f32_e32 v2, v2, v3
	ds_bpermute_b32 v3, v4, v2
	s_waitcnt lgkmcnt(0)
	v_add_f32_e32 v2, v2, v3
	;; [unrolled: 3-line block ×6, first 2 shown]
	s_or_b64 exec, exec, s[0:1]
	v_cmp_eq_u32_e32 vcc, 0, v0
	s_and_saveexec_b64 s[8:9], vcc
	s_cbranch_execnz .LBB222_21
	s_branch .LBB222_22
.LBB222_31:
	s_trap 2
	; divergent unreachable
	s_endpgm
	.section	.rodata,"a",@progbits
	.p2align	6, 0x0
	.amdhsa_kernel _ZN2at6native12_GLOBAL__N_113renorm_kernelIffKiEEvPT_PT1_T0_S8_llllPKl
		.amdhsa_group_segment_fixed_size 0
		.amdhsa_private_segment_fixed_size 0
		.amdhsa_kernarg_size 320
		.amdhsa_user_sgpr_count 2
		.amdhsa_user_sgpr_dispatch_ptr 0
		.amdhsa_user_sgpr_queue_ptr 0
		.amdhsa_user_sgpr_kernarg_segment_ptr 1
		.amdhsa_user_sgpr_dispatch_id 0
		.amdhsa_user_sgpr_kernarg_preload_length 0
		.amdhsa_user_sgpr_kernarg_preload_offset 0
		.amdhsa_user_sgpr_private_segment_size 0
		.amdhsa_uses_dynamic_stack 0
		.amdhsa_enable_private_segment 0
		.amdhsa_system_sgpr_workgroup_id_x 1
		.amdhsa_system_sgpr_workgroup_id_y 0
		.amdhsa_system_sgpr_workgroup_id_z 0
		.amdhsa_system_sgpr_workgroup_info 0
		.amdhsa_system_vgpr_workitem_id 0
		.amdhsa_next_free_vgpr 29
		.amdhsa_next_free_sgpr 42
		.amdhsa_accum_offset 32
		.amdhsa_reserve_vcc 1
		.amdhsa_float_round_mode_32 0
		.amdhsa_float_round_mode_16_64 0
		.amdhsa_float_denorm_mode_32 3
		.amdhsa_float_denorm_mode_16_64 3
		.amdhsa_dx10_clamp 1
		.amdhsa_ieee_mode 1
		.amdhsa_fp16_overflow 0
		.amdhsa_tg_split 0
		.amdhsa_exception_fp_ieee_invalid_op 0
		.amdhsa_exception_fp_denorm_src 0
		.amdhsa_exception_fp_ieee_div_zero 0
		.amdhsa_exception_fp_ieee_overflow 0
		.amdhsa_exception_fp_ieee_underflow 0
		.amdhsa_exception_fp_ieee_inexact 0
		.amdhsa_exception_int_div_zero 0
	.end_amdhsa_kernel
	.section	.text._ZN2at6native12_GLOBAL__N_113renorm_kernelIffKiEEvPT_PT1_T0_S8_llllPKl,"axG",@progbits,_ZN2at6native12_GLOBAL__N_113renorm_kernelIffKiEEvPT_PT1_T0_S8_llllPKl,comdat
.Lfunc_end222:
	.size	_ZN2at6native12_GLOBAL__N_113renorm_kernelIffKiEEvPT_PT1_T0_S8_llllPKl, .Lfunc_end222-_ZN2at6native12_GLOBAL__N_113renorm_kernelIffKiEEvPT_PT1_T0_S8_llllPKl
                                        ; -- End function
	.section	.AMDGPU.csdata,"",@progbits
; Kernel info:
; codeLenInByte = 3660
; NumSgprs: 48
; NumVgprs: 29
; NumAgprs: 0
; TotalNumVgprs: 29
; ScratchSize: 0
; MemoryBound: 0
; FloatMode: 240
; IeeeMode: 1
; LDSByteSize: 0 bytes/workgroup (compile time only)
; SGPRBlocks: 5
; VGPRBlocks: 3
; NumSGPRsForWavesPerEU: 48
; NumVGPRsForWavesPerEU: 29
; AccumOffset: 32
; Occupancy: 8
; WaveLimiterHint : 1
; COMPUTE_PGM_RSRC2:SCRATCH_EN: 0
; COMPUTE_PGM_RSRC2:USER_SGPR: 2
; COMPUTE_PGM_RSRC2:TRAP_HANDLER: 0
; COMPUTE_PGM_RSRC2:TGID_X_EN: 1
; COMPUTE_PGM_RSRC2:TGID_Y_EN: 0
; COMPUTE_PGM_RSRC2:TGID_Z_EN: 0
; COMPUTE_PGM_RSRC2:TIDIG_COMP_CNT: 0
; COMPUTE_PGM_RSRC3_GFX90A:ACCUM_OFFSET: 7
; COMPUTE_PGM_RSRC3_GFX90A:TG_SPLIT: 0
	.section	.text._ZN2at6native12_GLOBAL__N_113renorm_kernelIN3c104HalfEfKiEEvPT_PT1_T0_SA_llllPKl,"axG",@progbits,_ZN2at6native12_GLOBAL__N_113renorm_kernelIN3c104HalfEfKiEEvPT_PT1_T0_SA_llllPKl,comdat
	.globl	_ZN2at6native12_GLOBAL__N_113renorm_kernelIN3c104HalfEfKiEEvPT_PT1_T0_SA_llllPKl ; -- Begin function _ZN2at6native12_GLOBAL__N_113renorm_kernelIN3c104HalfEfKiEEvPT_PT1_T0_SA_llllPKl
	.p2align	8
	.type	_ZN2at6native12_GLOBAL__N_113renorm_kernelIN3c104HalfEfKiEEvPT_PT1_T0_SA_llllPKl,@function
_ZN2at6native12_GLOBAL__N_113renorm_kernelIN3c104HalfEfKiEEvPT_PT1_T0_SA_llllPKl: ; @_ZN2at6native12_GLOBAL__N_113renorm_kernelIN3c104HalfEfKiEEvPT_PT1_T0_SA_llllPKl
; %bb.0:
	s_load_dwordx2 s[4:5], s[0:1], 0x38
	s_mov_b32 s3, 0
	v_mov_b64_e32 v[2:3], s[2:3]
	s_waitcnt lgkmcnt(0)
	s_load_dwordx2 s[4:5], s[4:5], 0x0
	s_waitcnt lgkmcnt(0)
	v_cmp_le_i64_e32 vcc, s[4:5], v[2:3]
	s_cbranch_vccnz .LBB223_28
; %bb.1:
	s_load_dwordx4 s[20:23], s[0:1], 0x0
	s_lshl_b64 s[2:3], s[2:3], 2
	s_waitcnt lgkmcnt(0)
	s_add_u32 s2, s22, s2
	s_addc_u32 s3, s23, s3
	s_load_dword s2, s[2:3], 0x0
	s_waitcnt lgkmcnt(0)
	s_cmp_lt_i32 s2, 0
	s_cbranch_scc1 .LBB223_14
; %bb.2:
	s_load_dwordx8 s[12:19], s[0:1], 0x18
	s_ashr_i32 s3, s2, 31
	s_getpc_b64 s[4:5]
	s_add_u32 s4, s4, .str.2@rel32@lo+4
	s_addc_u32 s5, s5, .str.2@rel32@hi+12
	s_cmp_eq_u64 s[4:5], 0
	s_cselect_b64 s[4:5], -1, 0
	s_waitcnt lgkmcnt(0)
	v_mov_b32_e32 v2, s14
	v_mov_b32_e32 v3, s15
	v_cmp_ge_i64_e32 vcc, s[2:3], v[2:3]
	s_or_b64 s[10:11], s[4:5], vcc
	s_andn2_b64 vcc, exec, s[10:11]
	s_cbranch_vccz .LBB223_27
; %bb.3:
	s_load_dwordx2 s[22:23], s[0:1], 0x10
	s_mul_i32 s4, s2, s17
	s_mul_hi_u32 s5, s2, s16
	s_add_i32 s4, s5, s4
	s_mul_i32 s3, s3, s16
	v_mov_b32_e32 v1, 0
	s_add_i32 s15, s4, s3
	s_mul_i32 s14, s2, s16
	v_cmp_gt_i64_e64 s[2:3], s[12:13], v[0:1]
	v_mov_b32_e32 v6, v1
	s_and_saveexec_b64 s[16:17], s[2:3]
	s_cbranch_execz .LBB223_16
; %bb.4:
	s_load_dword s6, s[0:1], 0x4c
	s_lshl_b64 s[4:5], s[14:15], 1
	s_add_u32 s24, s20, s4
	s_addc_u32 s25, s21, s5
	s_waitcnt lgkmcnt(0)
	v_cmp_neq_f32_e64 s[26:27], s23, 1.0
	s_and_b32 s33, s6, 0xffff
	v_cmp_neq_f32_e64 s[28:29], s23, 2.0
	v_add_u32_e32 v2, s33, v0
	s_mov_b64 s[30:31], 0
	v_mov_b32_e32 v6, 0
	s_mov_b32 s34, 0x3f2aaaab
	v_mov_b32_e32 v7, 0x3e91f4c4
	s_mov_b32 s35, 0x3f317218
	s_movk_i32 s36, 0x204
	s_mov_b32 s37, 0x7f800000
	s_mov_b32 s38, 0x42b17218
	;; [unrolled: 1-line block ×4, first 2 shown]
	s_brev_b32 s41, -2
	v_mov_b32_e32 v8, 0x37000000
	v_mov_b32_e32 v9, 0x7f800000
	;; [unrolled: 1-line block ×3, first 2 shown]
	v_mov_b64_e32 v[4:5], v[0:1]
                                        ; implicit-def: $vgpr3
	s_branch .LBB223_6
.LBB223_5:                              ;   in Loop: Header=BB223_6 Depth=1
	v_ashrrev_i32_e32 v3, 31, v2
	v_cmp_le_i64_e32 vcc, s[12:13], v[2:3]
	v_add_f32_e32 v6, v6, v4
	v_mov_b64_e32 v[4:5], v[2:3]
	s_or_b64 s[30:31], vcc, s[30:31]
	v_add_u32_e32 v2, s33, v2
	s_andn2_b64 exec, exec, s[30:31]
	s_cbranch_execz .LBB223_15
.LBB223_6:                              ; =>This Inner Loop Header: Depth=1
	v_mul_lo_u32 v3, v5, s18
	v_mul_lo_u32 v11, v4, s19
	v_mad_u64_u32 v[4:5], s[4:5], v4, s18, 0
	v_add3_u32 v5, v5, v11, v3
	v_lshl_add_u64 v[4:5], v[4:5], 1, s[24:25]
	global_load_ushort v4, v[4:5], off
	s_and_b64 vcc, exec, s[26:27]
	s_waitcnt vmcnt(0)
	v_cvt_f32_f16_e32 v3, v4
	s_cbranch_vccz .LBB223_11
; %bb.7:                                ;   in Loop: Header=BB223_6 Depth=1
	s_and_b64 vcc, exec, s[28:29]
	s_cbranch_vccz .LBB223_13
; %bb.8:                                ;   in Loop: Header=BB223_6 Depth=1
	v_mov_b32_e32 v26, s23
	v_cmp_eq_f16_e32 vcc, 1.0, v4
	s_nop 1
	v_cndmask_b32_e64 v27, v26, 1.0, vcc
	v_cmp_eq_f32_e64 s[4:5], 0, v27
	v_cmp_gt_f32_e64 s[8:9], 0, v27
	s_nop 0
	v_cndmask_b32_e64 v28, |v3|, 1.0, s[4:5]
	v_frexp_mant_f32_e32 v4, v28
	v_cmp_gt_f32_e64 s[6:7], s34, v4
	s_nop 1
	v_cndmask_b32_e64 v5, 1.0, 2.0, s[6:7]
	v_mul_f32_e32 v4, v4, v5
	v_add_f32_e32 v11, 1.0, v4
	v_rcp_f32_e32 v18, v11
	v_add_f32_e32 v5, -1.0, v11
	v_sub_f32_e32 v13, v4, v5
	v_add_f32_e32 v5, -1.0, v4
	v_mul_f32_e32 v19, v5, v18
	v_mul_f32_e32 v12, v11, v19
	v_fma_f32 v14, v19, v11, -v12
	v_fmac_f32_e32 v14, v19, v13
	v_add_f32_e32 v4, v12, v14
	v_sub_f32_e32 v13, v5, v4
	v_pk_add_f32 v[16:17], v[4:5], v[12:13] neg_lo:[0,1] neg_hi:[0,1]
	v_mov_b32_e32 v15, v4
	v_pk_add_f32 v[4:5], v[16:17], v[14:15] neg_lo:[0,1] neg_hi:[0,1]
	s_nop 0
	v_add_f32_e32 v4, v4, v5
	v_add_f32_e32 v4, v13, v4
	v_mul_f32_e32 v5, v18, v4
	v_add_f32_e32 v4, v19, v5
	v_sub_f32_e32 v11, v4, v19
	v_sub_f32_e32 v11, v5, v11
	v_mul_f32_e32 v5, v4, v4
	v_fma_f32 v13, v4, v4, -v5
	v_add_f32_e32 v12, v11, v11
	v_fmac_f32_e32 v13, v4, v12
	v_add_f32_e32 v12, v5, v13
	v_fmamk_f32 v14, v12, 0x3e76c4e1, v7
	v_fmaak_f32 v14, v12, v14, 0x3ecccdef
	v_sub_f32_e32 v5, v12, v5
	v_sub_f32_e32 v20, v13, v5
	v_mul_f32_e32 v5, v12, v14
	v_fma_f32 v13, v12, v14, -v5
	v_fmac_f32_e32 v13, v20, v14
	v_add_f32_e32 v14, v5, v13
	v_add_f32_e32 v15, 0x3f2aaaaa, v14
	v_sub_f32_e32 v5, v14, v5
	v_sub_f32_e32 v5, v13, v5
	v_add_f32_e32 v13, 0xbf2aaaaa, v15
	v_add_f32_e32 v5, 0x31739010, v5
	v_sub_f32_e32 v13, v14, v13
	v_pk_mul_f32 v[16:17], v[4:5], v[12:13]
	v_pk_add_f32 v[18:19], v[4:5], v[12:13]
	v_fma_f32 v14, v12, v4, -v16
	v_fmac_f32_e32 v14, v12, v11
	v_mov_b32_e32 v17, v19
	v_fmac_f32_e32 v14, v20, v4
	v_pk_add_f32 v[12:13], v[16:17], v[14:15]
	v_ldexp_f32 v11, v11, 1
	v_sub_f32_e32 v5, v12, v16
	v_sub_f32_e32 v5, v14, v5
	;; [unrolled: 1-line block ×3, first 2 shown]
	v_add_f32_e32 v18, v19, v14
	v_mov_b32_e32 v14, v13
	v_pk_mul_f32 v[14:15], v[12:13], v[14:15]
	v_cvt_f64_f32_e32 v[16:17], v28
	v_frexp_exp_i32_f64_e32 v15, v[16:17]
	v_subbrev_co_u32_e64 v15, s[6:7], 0, v15, s[6:7]
	v_cvt_f32_i32_e32 v15, v15
	v_fma_f32 v16, v12, v13, -v14
	v_fmac_f32_e32 v16, v12, v18
	v_fmac_f32_e32 v16, v5, v13
	v_mul_f32_e32 v12, 0x3f317218, v15
	v_fma_f32 v18, v15, s35, -v12
	v_fmac_f32_e32 v18, 0xb102e308, v15
	v_ldexp_f32 v19, v4, 1
	v_add_f32_e32 v13, v14, v16
	v_pk_add_f32 v[4:5], v[12:13], v[18:19]
	v_mov_b32_e32 v20, v13
	v_mov_b32_e32 v21, v5
	;; [unrolled: 1-line block ×3, first 2 shown]
	v_pk_add_f32 v[14:15], v[20:21], v[14:15] neg_lo:[0,1] neg_hi:[0,1]
	v_mov_b32_e32 v17, v13
	v_pk_add_f32 v[14:15], v[16:17], v[14:15] neg_lo:[0,1] neg_hi:[0,1]
	v_mov_b32_e32 v19, v4
	v_add_f32_e32 v11, v11, v14
	v_add_f32_e32 v13, v11, v15
	v_pk_add_f32 v[14:15], v[4:5], v[12:13] neg_lo:[0,1] neg_hi:[0,1]
	v_pk_add_f32 v[16:17], v[4:5], v[12:13]
	v_mov_b32_e32 v20, v14
	v_mov_b32_e32 v21, v17
	v_pk_add_f32 v[20:21], v[18:19], v[20:21]
	v_pk_add_f32 v[14:15], v[18:19], v[14:15] neg_lo:[0,1] neg_hi:[0,1]
	v_mov_b32_e32 v12, v21
	v_pk_add_f32 v[22:23], v[12:13], v[4:5] neg_lo:[0,1] neg_hi:[0,1]
	v_mov_b32_e32 v20, v17
	v_mov_b32_e32 v11, v22
	;; [unrolled: 1-line block ×4, first 2 shown]
	v_pk_add_f32 v[24:25], v[16:17], v[10:11] neg_lo:[0,1] neg_hi:[0,1]
	v_pk_add_f32 v[4:5], v[20:21], v[4:5] neg_lo:[0,1] neg_hi:[0,1]
	v_mov_b32_e32 v18, v13
	v_pk_add_f32 v[4:5], v[18:19], v[4:5] neg_lo:[0,1] neg_hi:[0,1]
	v_mov_b32_e32 v24, v14
	v_pk_add_f32 v[16:17], v[24:25], v[4:5]
	v_mov_b32_e32 v15, v21
	v_mov_b32_e32 v18, v17
	v_pk_add_f32 v[18:19], v[16:17], v[18:19]
	s_nop 0
	v_pk_add_f32 v[12:13], v[12:13], v[18:19]
	v_mov_b32_e32 v5, v18
	v_mov_b32_e32 v17, v12
	v_pk_add_f32 v[20:21], v[16:17], v[14:15] neg_lo:[0,1] neg_hi:[0,1]
	s_nop 0
	v_sub_f32_e32 v11, v16, v20
	v_pk_add_f32 v[4:5], v[4:5], v[20:21] neg_lo:[0,1] neg_hi:[0,1]
	v_sub_f32_e32 v11, v14, v11
	v_add_f32_e32 v4, v4, v11
	v_add_f32_e32 v4, v4, v5
	;; [unrolled: 1-line block ×3, first 2 shown]
	v_sub_f32_e32 v11, v5, v12
	v_sub_f32_e32 v4, v4, v11
	v_mul_f32_e32 v11, v27, v5
	v_fma_f32 v5, v27, v5, -v11
	v_fmac_f32_e32 v5, v27, v4
	v_add_f32_e32 v4, v11, v5
	v_cmp_class_f32_e64 s[6:7], v11, s36
	v_sub_f32_e32 v12, v4, v11
	v_sub_f32_e32 v5, v5, v12
	v_cndmask_b32_e64 v4, v4, v11, s[6:7]
	v_cmp_eq_f32_e64 s[6:7], s38, v4
	s_nop 1
	v_cndmask_b32_e64 v11, 0, v8, s[6:7]
	v_sub_f32_e32 v12, v4, v11
	v_mul_f32_e32 v13, 0x3fb8aa3b, v12
	v_fma_f32 v14, v12, s39, -v13
	v_rndne_f32_e32 v15, v13
	v_fmac_f32_e32 v14, 0x32a5705f, v12
	v_sub_f32_e32 v13, v13, v15
	v_add_f32_e32 v13, v13, v14
	v_exp_f32_e32 v13, v13
	v_cvt_i32_f32_e32 v14, v15
	v_cmp_neq_f32_e64 s[6:7], |v4|, s37
	s_nop 1
	v_cndmask_b32_e64 v4, 0, v5, s[6:7]
	v_ldexp_f32 v5, v13, v14
	v_cmp_ngt_f32_e64 s[6:7], s40, v12
	v_add_f32_e32 v4, v11, v4
	v_trunc_f32_e32 v11, v27
	v_cndmask_b32_e64 v5, 0, v5, s[6:7]
	v_cmp_nlt_f32_e64 s[6:7], s38, v12
	s_nop 1
	v_cndmask_b32_e64 v5, v9, v5, s[6:7]
	v_fma_f32 v4, v5, v4, v5
	v_cmp_class_f32_e64 s[6:7], v5, s36
	s_nop 1
	v_cndmask_b32_e64 v4, v4, v5, s[6:7]
	v_cndmask_b32_e64 v5, v3, 1.0, s[4:5]
	v_cmp_eq_f32_e64 s[4:5], v11, v27
	v_mul_f32_e32 v11, 0.5, v27
	v_trunc_f32_e32 v12, v11
	v_cmp_neq_f32_e64 s[6:7], v12, v11
	s_and_b64 s[6:7], s[4:5], s[6:7]
	s_nop 0
	v_cndmask_b32_e64 v11, 1.0, v5, s[6:7]
	v_bfi_b32 v4, s41, v4, v11
	v_cndmask_b32_e64 v11, v10, v4, s[4:5]
	v_cmp_gt_f32_e64 s[4:5], 0, v5
	s_nop 1
	v_cndmask_b32_e64 v4, v4, v11, s[4:5]
	v_cndmask_b32_e64 v11, |v26|, 1.0, vcc
	v_cmp_neq_f32_e32 vcc, v27, v11
	v_cmp_gt_f32_e64 s[4:5], 1.0, v28
	s_xor_b64 s[4:5], vcc, s[4:5]
	v_cmp_eq_f32_e32 vcc, 1.0, v28
	v_cndmask_b32_e64 v12, v11, 0, s[4:5]
	v_cmp_eq_f32_e64 s[4:5], 0, v5
	v_cndmask_b32_e32 v12, v12, v28, vcc
	v_cmp_eq_f32_e32 vcc, s37, v11
	s_xor_b64 s[8:9], s[8:9], s[4:5]
	v_cndmask_b32_e64 v11, v9, 0, s[8:9]
	v_cndmask_b32_e32 v4, v4, v12, vcc
	v_cmp_eq_f32_e32 vcc, s37, v28
	v_cndmask_b32_e64 v12, 0, v5, s[6:7]
	v_bfi_b32 v11, s41, v11, v12
	s_or_b64 vcc, vcc, s[4:5]
	v_cndmask_b32_e32 v4, v4, v11, vcc
	v_cmp_o_f32_e32 vcc, v5, v27
	s_nop 1
	v_cndmask_b32_e32 v4, v10, v4, vcc
	s_cbranch_execnz .LBB223_10
.LBB223_9:                              ;   in Loop: Header=BB223_6 Depth=1
	v_mul_f32_e32 v4, v3, v3
.LBB223_10:                             ;   in Loop: Header=BB223_6 Depth=1
	s_cbranch_execnz .LBB223_5
	s_branch .LBB223_12
.LBB223_11:                             ;   in Loop: Header=BB223_6 Depth=1
                                        ; implicit-def: $vgpr4
.LBB223_12:                             ;   in Loop: Header=BB223_6 Depth=1
	v_and_b32_e32 v4, 0x7fffffff, v3
	s_branch .LBB223_5
.LBB223_13:                             ;   in Loop: Header=BB223_6 Depth=1
                                        ; implicit-def: $vgpr4
	s_branch .LBB223_9
.LBB223_14:
	s_mov_b64 s[10:11], -1
	s_branch .LBB223_27
.LBB223_15:
	s_or_b64 exec, exec, s[30:31]
.LBB223_16:
	s_or_b64 exec, exec, s[16:17]
	v_mbcnt_lo_u32_b32 v2, -1, 0
	v_mbcnt_hi_u32_b32 v8, -1, v2
	v_and_b32_e32 v10, 63, v8
	v_cmp_gt_u32_e32 vcc, 32, v10
	s_waitcnt lgkmcnt(0)
	s_barrier
	v_cndmask_b32_e64 v2, 0, 1, vcc
	v_lshlrev_b32_e32 v2, 5, v2
	v_add_lshl_u32 v3, v2, v8, 2
	ds_bpermute_b32 v2, v3, v6
	v_cmp_gt_u32_e32 vcc, 48, v10
	s_waitcnt lgkmcnt(0)
	v_add_f32_e32 v2, v6, v2
	v_cndmask_b32_e64 v4, 0, 1, vcc
	v_lshlrev_b32_e32 v4, 4, v4
	v_add_lshl_u32 v4, v4, v8, 2
	ds_bpermute_b32 v5, v4, v2
	v_cmp_gt_u32_e32 vcc, 56, v10
	s_waitcnt lgkmcnt(0)
	v_add_f32_e32 v2, v2, v5
	;; [unrolled: 7-line block ×4, first 2 shown]
	v_cndmask_b32_e64 v9, 0, 1, vcc
	v_lshlrev_b32_e32 v9, 1, v9
	v_add_lshl_u32 v7, v9, v8, 2
	ds_bpermute_b32 v11, v7, v2
	v_cmp_ne_u32_e32 vcc, 63, v10
	v_and_b32_e32 v9, 63, v0
	s_waitcnt lgkmcnt(0)
	v_add_f32_e32 v2, v2, v11
	v_addc_co_u32_e32 v8, vcc, 0, v8, vcc
	v_lshlrev_b32_e32 v8, 2, v8
	ds_bpermute_b32 v10, v8, v2
	v_cmp_eq_u32_e32 vcc, 0, v9
	s_and_saveexec_b64 s[4:5], vcc
	s_cbranch_execz .LBB223_18
; %bb.17:
	s_waitcnt lgkmcnt(0)
	v_add_f32_e32 v2, v2, v10
	v_lshrrev_b32_e32 v10, 4, v0
	v_add_u32_e32 v10, 0, v10
	ds_write_b32 v10, v2
.LBB223_18:
	s_or_b64 exec, exec, s[4:5]
	s_waitcnt lgkmcnt(0)
	s_barrier
	s_load_dword s16, s[0:1], 0x4c
	v_mov_b32_e32 v2, 0
	s_waitcnt lgkmcnt(0)
	s_bfe_u32 s0, s16, 0xa0006
	v_cmp_gt_u32_e32 vcc, s0, v0
	s_and_saveexec_b64 s[0:1], vcc
	s_cbranch_execnz .LBB223_29
; %bb.19:
	s_or_b64 exec, exec, s[0:1]
	v_cmp_gt_u32_e32 vcc, 64, v0
	s_and_saveexec_b64 s[0:1], vcc
	s_cbranch_execnz .LBB223_30
.LBB223_20:
	s_or_b64 exec, exec, s[0:1]
	v_cmp_eq_u32_e32 vcc, 0, v0
	s_and_saveexec_b64 s[8:9], vcc
	s_cbranch_execz .LBB223_22
.LBB223_21:
	v_div_scale_f32 v3, s[0:1], s23, s23, 1.0
	v_rcp_f32_e32 v4, v3
	v_div_scale_f32 v5, vcc, 1.0, s23, 1.0
	s_mov_b32 s4, 0x3f2aaaab
	v_fma_f32 v6, -v3, v4, 1.0
	v_fmac_f32_e32 v4, v6, v4
	v_mul_f32_e32 v6, v5, v4
	v_fma_f32 v7, -v3, v6, v5
	v_fmac_f32_e32 v6, v7, v4
	v_fma_f32 v3, -v3, v6, v5
	v_div_fmas_f32 v3, v3, v4, v6
	v_div_fixup_f32 v20, v3, s23, 1.0
	s_waitcnt lgkmcnt(0)
	v_cmp_eq_f32_e32 vcc, 1.0, v2
	s_movk_i32 s6, 0x204
	s_mov_b32 s17, 0x42b17218
	v_cndmask_b32_e64 v21, v20, 1.0, vcc
	v_cmp_eq_f32_e64 s[0:1], 0, v21
	s_mov_b32 s7, 0x7f800000
	s_nop 0
	v_cndmask_b32_e64 v22, |v2|, 1.0, s[0:1]
	v_frexp_mant_f32_e32 v3, v22
	v_cmp_gt_f32_e64 s[4:5], s4, v3
	s_nop 1
	v_cndmask_b32_e64 v4, 1.0, 2.0, s[4:5]
	v_mul_f32_e32 v3, v3, v4
	v_add_f32_e32 v4, 1.0, v3
	v_rcp_f32_e32 v12, v4
	v_add_f32_e32 v5, -1.0, v4
	v_sub_f32_e32 v7, v3, v5
	v_add_f32_e32 v5, -1.0, v3
	v_mul_f32_e32 v3, v5, v12
	v_mul_f32_e32 v6, v4, v3
	v_fma_f32 v8, v3, v4, -v6
	v_fmac_f32_e32 v8, v3, v7
	v_add_f32_e32 v4, v6, v8
	v_sub_f32_e32 v7, v5, v4
	v_pk_add_f32 v[10:11], v[4:5], v[6:7] neg_lo:[0,1] neg_hi:[0,1]
	v_mov_b32_e32 v9, v4
	v_pk_add_f32 v[4:5], v[10:11], v[8:9] neg_lo:[0,1] neg_hi:[0,1]
	v_mov_b32_e32 v8, 0x3e91f4c4
	v_add_f32_e32 v4, v4, v5
	v_add_f32_e32 v4, v7, v4
	v_mul_f32_e32 v5, v12, v4
	v_add_f32_e32 v4, v3, v5
	v_sub_f32_e32 v3, v4, v3
	v_sub_f32_e32 v3, v5, v3
	v_mul_f32_e32 v5, v4, v4
	v_fma_f32 v7, v4, v4, -v5
	v_add_f32_e32 v6, v3, v3
	v_fmac_f32_e32 v7, v4, v6
	v_add_f32_e32 v6, v5, v7
	v_fmac_f32_e32 v8, 0x3e76c4e1, v6
	v_fmaak_f32 v8, v6, v8, 0x3ecccdef
	v_sub_f32_e32 v5, v6, v5
	v_sub_f32_e32 v14, v7, v5
	v_mul_f32_e32 v5, v6, v8
	v_fma_f32 v7, v6, v8, -v5
	v_fmac_f32_e32 v7, v14, v8
	v_add_f32_e32 v8, v5, v7
	v_add_f32_e32 v9, 0x3f2aaaaa, v8
	v_sub_f32_e32 v5, v8, v5
	v_sub_f32_e32 v5, v7, v5
	v_add_f32_e32 v7, 0xbf2aaaaa, v9
	v_add_f32_e32 v5, 0x31739010, v5
	v_sub_f32_e32 v7, v8, v7
	v_pk_mul_f32 v[10:11], v[4:5], v[6:7]
	v_pk_add_f32 v[12:13], v[4:5], v[6:7]
	v_fma_f32 v8, v6, v4, -v10
	v_fmac_f32_e32 v8, v6, v3
	v_mov_b32_e32 v11, v13
	v_fmac_f32_e32 v8, v14, v4
	v_pk_add_f32 v[6:7], v[10:11], v[8:9]
	v_ldexp_f32 v3, v3, 1
	v_sub_f32_e32 v5, v6, v10
	v_sub_f32_e32 v5, v8, v5
	;; [unrolled: 1-line block ×3, first 2 shown]
	v_add_f32_e32 v11, v13, v8
	v_mov_b32_e32 v8, v7
	v_pk_mul_f32 v[8:9], v[6:7], v[8:9]
	v_cvt_f64_f32_e32 v[12:13], v22
	v_frexp_exp_i32_f64_e32 v9, v[12:13]
	v_subbrev_co_u32_e64 v9, s[4:5], 0, v9, s[4:5]
	v_cvt_f32_i32_e32 v9, v9
	v_fma_f32 v10, v6, v7, -v8
	v_fmac_f32_e32 v10, v6, v11
	s_mov_b32 s4, 0x3f317218
	v_mul_f32_e32 v6, 0x3f317218, v9
	v_fmac_f32_e32 v10, v5, v7
	v_fma_f32 v5, v9, s4, -v6
	v_fmamk_f32 v12, v9, 0xb102e308, v5
	v_ldexp_f32 v13, v4, 1
	v_add_f32_e32 v7, v8, v10
	v_pk_add_f32 v[4:5], v[6:7], v[12:13]
	v_mov_b32_e32 v14, v7
	v_mov_b32_e32 v15, v5
	;; [unrolled: 1-line block ×3, first 2 shown]
	v_pk_add_f32 v[8:9], v[14:15], v[8:9] neg_lo:[0,1] neg_hi:[0,1]
	v_mov_b32_e32 v11, v7
	v_pk_add_f32 v[8:9], v[10:11], v[8:9] neg_lo:[0,1] neg_hi:[0,1]
	v_mov_b32_e32 v13, v4
	v_add_f32_e32 v3, v3, v8
	v_add_f32_e32 v7, v3, v9
	v_pk_add_f32 v[8:9], v[4:5], v[6:7] neg_lo:[0,1] neg_hi:[0,1]
	v_pk_add_f32 v[10:11], v[4:5], v[6:7]
	v_mov_b32_e32 v14, v8
	v_mov_b32_e32 v15, v11
	v_pk_add_f32 v[14:15], v[12:13], v[14:15]
	v_pk_add_f32 v[8:9], v[12:13], v[8:9] neg_lo:[0,1] neg_hi:[0,1]
	v_mov_b32_e32 v6, v15
	v_pk_add_f32 v[16:17], v[6:7], v[4:5] neg_lo:[0,1] neg_hi:[0,1]
	v_mov_b32_e32 v14, v11
	v_mov_b32_e32 v3, v16
	;; [unrolled: 1-line block ×4, first 2 shown]
	v_pk_add_f32 v[18:19], v[10:11], v[2:3] neg_lo:[0,1] neg_hi:[0,1]
	v_pk_add_f32 v[4:5], v[14:15], v[4:5] neg_lo:[0,1] neg_hi:[0,1]
	v_mov_b32_e32 v12, v7
	v_pk_add_f32 v[4:5], v[12:13], v[4:5] neg_lo:[0,1] neg_hi:[0,1]
	v_mov_b32_e32 v18, v8
	v_pk_add_f32 v[10:11], v[18:19], v[4:5]
	v_mov_b32_e32 v9, v15
	v_mov_b32_e32 v12, v11
	v_pk_add_f32 v[12:13], v[10:11], v[12:13]
	v_cndmask_b32_e64 v2, v2, 1.0, s[0:1]
	v_pk_add_f32 v[6:7], v[6:7], v[12:13]
	v_mov_b32_e32 v5, v12
	v_mov_b32_e32 v11, v6
	v_pk_add_f32 v[14:15], v[10:11], v[8:9] neg_lo:[0,1] neg_hi:[0,1]
	s_nop 0
	v_sub_f32_e32 v3, v10, v14
	v_pk_add_f32 v[4:5], v[4:5], v[14:15] neg_lo:[0,1] neg_hi:[0,1]
	v_sub_f32_e32 v3, v8, v3
	v_add_f32_e32 v3, v4, v3
	v_add_f32_e32 v3, v3, v5
	;; [unrolled: 1-line block ×3, first 2 shown]
	v_sub_f32_e32 v5, v4, v6
	v_sub_f32_e32 v3, v3, v5
	v_mul_f32_e32 v5, v21, v4
	v_fma_f32 v4, v21, v4, -v5
	v_fmac_f32_e32 v4, v21, v3
	v_add_f32_e32 v3, v5, v4
	v_cmp_class_f32_e64 s[4:5], v5, s6
	v_sub_f32_e32 v6, v3, v5
	v_sub_f32_e32 v4, v4, v6
	v_cndmask_b32_e64 v3, v3, v5, s[4:5]
	v_mov_b32_e32 v5, 0x37000000
	v_cmp_eq_f32_e64 s[4:5], s17, v3
	s_nop 1
	v_cndmask_b32_e64 v5, 0, v5, s[4:5]
	v_sub_f32_e32 v6, v3, v5
	s_mov_b32 s4, 0x3fb8aa3b
	v_mul_f32_e32 v7, 0x3fb8aa3b, v6
	v_fma_f32 v8, v6, s4, -v7
	v_rndne_f32_e32 v9, v7
	v_fmamk_f32 v8, v6, 0x32a5705f, v8
	v_sub_f32_e32 v7, v7, v9
	v_add_f32_e32 v7, v7, v8
	v_exp_f32_e32 v7, v7
	v_cvt_i32_f32_e32 v8, v9
	v_cmp_neq_f32_e64 s[4:5], |v3|, s7
	s_nop 1
	v_cndmask_b32_e64 v3, 0, v4, s[4:5]
	s_mov_b32 s4, 0xc2ce8ed0
	v_ldexp_f32 v4, v7, v8
	v_cmp_ngt_f32_e64 s[4:5], s4, v6
	v_add_f32_e32 v3, v5, v3
	v_mov_b32_e32 v5, 0x7f800000
	v_cndmask_b32_e64 v4, 0, v4, s[4:5]
	v_cmp_nlt_f32_e64 s[4:5], s17, v6
	s_brev_b32 s17, -2
	v_mov_b32_e32 v6, 0x7fc00000
	v_cndmask_b32_e64 v4, v5, v4, s[4:5]
	v_fma_f32 v3, v4, v3, v4
	v_cmp_class_f32_e64 s[4:5], v4, s6
	s_nop 1
	v_cndmask_b32_e64 v3, v3, v4, s[4:5]
	v_trunc_f32_e32 v4, v21
	v_cmp_eq_f32_e64 s[0:1], v4, v21
	v_mul_f32_e32 v4, 0.5, v21
	v_trunc_f32_e32 v7, v4
	v_cmp_neq_f32_e64 s[4:5], v7, v4
	s_and_b64 s[4:5], s[0:1], s[4:5]
	s_nop 0
	v_cndmask_b32_e64 v4, 1.0, v2, s[4:5]
	v_bfi_b32 v3, s17, v3, v4
	v_cndmask_b32_e64 v4, v6, v3, s[0:1]
	v_cmp_gt_f32_e64 s[0:1], 0, v2
	s_nop 1
	v_cndmask_b32_e64 v3, v3, v4, s[0:1]
	v_cndmask_b32_e64 v4, |v20|, 1.0, vcc
	v_cmp_neq_f32_e32 vcc, v21, v4
	v_cmp_gt_f32_e64 s[0:1], 1.0, v22
	s_xor_b64 s[0:1], vcc, s[0:1]
	v_cmp_eq_f32_e32 vcc, 1.0, v22
	v_cndmask_b32_e64 v7, v4, 0, s[0:1]
	v_cmp_eq_f32_e64 s[0:1], 0, v2
	v_cndmask_b32_e32 v7, v7, v22, vcc
	v_cmp_eq_f32_e32 vcc, s7, v4
	s_nop 1
	v_cndmask_b32_e32 v3, v3, v7, vcc
	v_cmp_eq_f32_e32 vcc, s7, v22
	v_cmp_gt_f32_e64 s[6:7], 0, v21
	s_xor_b64 s[6:7], s[6:7], s[0:1]
	s_or_b64 vcc, vcc, s[0:1]
	v_cndmask_b32_e64 v4, v5, 0, s[6:7]
	v_cndmask_b32_e64 v5, 0, v2, s[4:5]
	v_bfi_b32 v4, s17, v4, v5
	v_cndmask_b32_e32 v3, v3, v4, vcc
	v_cmp_o_f32_e32 vcc, v2, v21
	s_nop 1
	v_cndmask_b32_e32 v2, v6, v3, vcc
	v_mov_b32_e32 v3, 0
	ds_write_b32 v3, v2
.LBB223_22:
	s_or_b64 exec, exec, s[8:9]
	s_waitcnt lgkmcnt(0)
	v_mov_b32_e32 v2, 0
	s_barrier
	ds_read_b32 v2, v2
	s_waitcnt lgkmcnt(0)
	v_cmp_nlt_f32_e32 vcc, s22, v2
	s_cbranch_vccnz .LBB223_27
; %bb.23:
	s_and_saveexec_b64 s[0:1], s[2:3]
	s_cbranch_execz .LBB223_26
; %bb.24:
	s_mov_b32 s2, 0x9abcaf48
	v_cvt_f64_f32_e32 v[2:3], v2
	s_mov_b32 s3, 0x3e7ad7f2
	v_cvt_f64_f32_e32 v[4:5], s22
	v_add_f64 v[2:3], v[2:3], s[2:3]
	v_div_scale_f64 v[6:7], s[2:3], v[2:3], v[2:3], v[4:5]
	v_rcp_f64_e32 v[8:9], v[6:7]
	s_and_b32 s6, s16, 0xffff
	s_lshl_b64 s[2:3], s[14:15], 1
	s_add_u32 s2, s20, s2
	v_fma_f64 v[10:11], -v[6:7], v[8:9], 1.0
	v_fmac_f64_e32 v[8:9], v[8:9], v[10:11]
	v_fma_f64 v[10:11], -v[6:7], v[8:9], 1.0
	v_fmac_f64_e32 v[8:9], v[8:9], v[10:11]
	v_div_scale_f64 v[10:11], vcc, v[4:5], v[2:3], v[4:5]
	v_mul_f64 v[12:13], v[10:11], v[8:9]
	v_fma_f64 v[6:7], -v[6:7], v[12:13], v[10:11]
	s_addc_u32 s3, s21, s3
	s_nop 0
	v_div_fmas_f64 v[6:7], v[6:7], v[8:9], v[12:13]
	v_div_fixup_f64 v[2:3], v[6:7], v[2:3], v[4:5]
	v_cvt_f32_f64_e32 v2, v[2:3]
	v_cvt_f16_f32_e32 v4, v2
	v_add_u32_e32 v2, s6, v0
	s_mov_b64 s[4:5], 0
.LBB223_25:                             ; =>This Inner Loop Header: Depth=1
	v_mul_lo_u32 v3, v1, s18
	v_mul_lo_u32 v5, v0, s19
	v_mad_u64_u32 v[0:1], s[8:9], v0, s18, 0
	v_add3_u32 v1, v1, v5, v3
	v_lshl_add_u64 v[6:7], v[0:1], 1, s[2:3]
	global_load_ushort v5, v[6:7], off
	v_ashrrev_i32_e32 v3, 31, v2
	v_cmp_le_i64_e32 vcc, s[12:13], v[2:3]
	v_mov_b64_e32 v[0:1], v[2:3]
	v_add_u32_e32 v2, s6, v2
	s_or_b64 s[4:5], vcc, s[4:5]
	s_waitcnt vmcnt(0)
	v_mul_f16_e32 v3, v5, v4
	global_store_short v[6:7], v3, off
	s_andn2_b64 exec, exec, s[4:5]
	s_cbranch_execnz .LBB223_25
.LBB223_26:
	s_or_b64 exec, exec, s[0:1]
.LBB223_27:
	s_and_b64 vcc, exec, s[10:11]
	s_cbranch_vccnz .LBB223_31
.LBB223_28:
	s_endpgm
.LBB223_29:
	v_lshl_add_u32 v2, v9, 2, 0
	ds_read_b32 v2, v2
	s_or_b64 exec, exec, s[0:1]
	v_cmp_gt_u32_e32 vcc, 64, v0
	s_and_saveexec_b64 s[0:1], vcc
	s_cbranch_execz .LBB223_20
.LBB223_30:
	s_waitcnt lgkmcnt(0)
	ds_bpermute_b32 v3, v3, v2
	s_waitcnt lgkmcnt(0)
	v_add_f32_e32 v2, v2, v3
	ds_bpermute_b32 v3, v4, v2
	s_waitcnt lgkmcnt(0)
	v_add_f32_e32 v2, v2, v3
	;; [unrolled: 3-line block ×6, first 2 shown]
	s_or_b64 exec, exec, s[0:1]
	v_cmp_eq_u32_e32 vcc, 0, v0
	s_and_saveexec_b64 s[8:9], vcc
	s_cbranch_execnz .LBB223_21
	s_branch .LBB223_22
.LBB223_31:
	s_trap 2
	; divergent unreachable
	s_endpgm
	.section	.rodata,"a",@progbits
	.p2align	6, 0x0
	.amdhsa_kernel _ZN2at6native12_GLOBAL__N_113renorm_kernelIN3c104HalfEfKiEEvPT_PT1_T0_SA_llllPKl
		.amdhsa_group_segment_fixed_size 0
		.amdhsa_private_segment_fixed_size 0
		.amdhsa_kernarg_size 320
		.amdhsa_user_sgpr_count 2
		.amdhsa_user_sgpr_dispatch_ptr 0
		.amdhsa_user_sgpr_queue_ptr 0
		.amdhsa_user_sgpr_kernarg_segment_ptr 1
		.amdhsa_user_sgpr_dispatch_id 0
		.amdhsa_user_sgpr_kernarg_preload_length 0
		.amdhsa_user_sgpr_kernarg_preload_offset 0
		.amdhsa_user_sgpr_private_segment_size 0
		.amdhsa_uses_dynamic_stack 0
		.amdhsa_enable_private_segment 0
		.amdhsa_system_sgpr_workgroup_id_x 1
		.amdhsa_system_sgpr_workgroup_id_y 0
		.amdhsa_system_sgpr_workgroup_id_z 0
		.amdhsa_system_sgpr_workgroup_info 0
		.amdhsa_system_vgpr_workitem_id 0
		.amdhsa_next_free_vgpr 29
		.amdhsa_next_free_sgpr 42
		.amdhsa_accum_offset 32
		.amdhsa_reserve_vcc 1
		.amdhsa_float_round_mode_32 0
		.amdhsa_float_round_mode_16_64 0
		.amdhsa_float_denorm_mode_32 3
		.amdhsa_float_denorm_mode_16_64 3
		.amdhsa_dx10_clamp 1
		.amdhsa_ieee_mode 1
		.amdhsa_fp16_overflow 0
		.amdhsa_tg_split 0
		.amdhsa_exception_fp_ieee_invalid_op 0
		.amdhsa_exception_fp_denorm_src 0
		.amdhsa_exception_fp_ieee_div_zero 0
		.amdhsa_exception_fp_ieee_overflow 0
		.amdhsa_exception_fp_ieee_underflow 0
		.amdhsa_exception_fp_ieee_inexact 0
		.amdhsa_exception_int_div_zero 0
	.end_amdhsa_kernel
	.section	.text._ZN2at6native12_GLOBAL__N_113renorm_kernelIN3c104HalfEfKiEEvPT_PT1_T0_SA_llllPKl,"axG",@progbits,_ZN2at6native12_GLOBAL__N_113renorm_kernelIN3c104HalfEfKiEEvPT_PT1_T0_SA_llllPKl,comdat
.Lfunc_end223:
	.size	_ZN2at6native12_GLOBAL__N_113renorm_kernelIN3c104HalfEfKiEEvPT_PT1_T0_SA_llllPKl, .Lfunc_end223-_ZN2at6native12_GLOBAL__N_113renorm_kernelIN3c104HalfEfKiEEvPT_PT1_T0_SA_llllPKl
                                        ; -- End function
	.section	.AMDGPU.csdata,"",@progbits
; Kernel info:
; codeLenInByte = 3656
; NumSgprs: 48
; NumVgprs: 29
; NumAgprs: 0
; TotalNumVgprs: 29
; ScratchSize: 0
; MemoryBound: 0
; FloatMode: 240
; IeeeMode: 1
; LDSByteSize: 0 bytes/workgroup (compile time only)
; SGPRBlocks: 5
; VGPRBlocks: 3
; NumSGPRsForWavesPerEU: 48
; NumVGPRsForWavesPerEU: 29
; AccumOffset: 32
; Occupancy: 8
; WaveLimiterHint : 1
; COMPUTE_PGM_RSRC2:SCRATCH_EN: 0
; COMPUTE_PGM_RSRC2:USER_SGPR: 2
; COMPUTE_PGM_RSRC2:TRAP_HANDLER: 0
; COMPUTE_PGM_RSRC2:TGID_X_EN: 1
; COMPUTE_PGM_RSRC2:TGID_Y_EN: 0
; COMPUTE_PGM_RSRC2:TGID_Z_EN: 0
; COMPUTE_PGM_RSRC2:TIDIG_COMP_CNT: 0
; COMPUTE_PGM_RSRC3_GFX90A:ACCUM_OFFSET: 7
; COMPUTE_PGM_RSRC3_GFX90A:TG_SPLIT: 0
	.section	.text._ZN2at6native12_GLOBAL__N_113renorm_kernelIN3c108BFloat16EfKiEEvPT_PT1_T0_SA_llllPKl,"axG",@progbits,_ZN2at6native12_GLOBAL__N_113renorm_kernelIN3c108BFloat16EfKiEEvPT_PT1_T0_SA_llllPKl,comdat
	.globl	_ZN2at6native12_GLOBAL__N_113renorm_kernelIN3c108BFloat16EfKiEEvPT_PT1_T0_SA_llllPKl ; -- Begin function _ZN2at6native12_GLOBAL__N_113renorm_kernelIN3c108BFloat16EfKiEEvPT_PT1_T0_SA_llllPKl
	.p2align	8
	.type	_ZN2at6native12_GLOBAL__N_113renorm_kernelIN3c108BFloat16EfKiEEvPT_PT1_T0_SA_llllPKl,@function
_ZN2at6native12_GLOBAL__N_113renorm_kernelIN3c108BFloat16EfKiEEvPT_PT1_T0_SA_llllPKl: ; @_ZN2at6native12_GLOBAL__N_113renorm_kernelIN3c108BFloat16EfKiEEvPT_PT1_T0_SA_llllPKl
; %bb.0:
	s_load_dwordx2 s[4:5], s[0:1], 0x38
	s_mov_b32 s3, 0
	v_mov_b64_e32 v[2:3], s[2:3]
	s_waitcnt lgkmcnt(0)
	s_load_dwordx2 s[4:5], s[4:5], 0x0
	s_waitcnt lgkmcnt(0)
	v_cmp_le_i64_e32 vcc, s[4:5], v[2:3]
	s_cbranch_vccnz .LBB224_16
; %bb.1:
	s_load_dwordx4 s[20:23], s[0:1], 0x0
	s_lshl_b64 s[2:3], s[2:3], 2
	s_waitcnt lgkmcnt(0)
	s_add_u32 s2, s22, s2
	s_addc_u32 s3, s23, s3
	s_load_dword s2, s[2:3], 0x0
	s_waitcnt lgkmcnt(0)
	s_cmp_lt_i32 s2, 0
	s_cbranch_scc1 .LBB224_14
; %bb.2:
	s_load_dwordx8 s[12:19], s[0:1], 0x18
	s_ashr_i32 s3, s2, 31
	s_getpc_b64 s[4:5]
	s_add_u32 s4, s4, .str.2@rel32@lo+4
	s_addc_u32 s5, s5, .str.2@rel32@hi+12
	s_cmp_eq_u64 s[4:5], 0
	s_cselect_b64 s[4:5], -1, 0
	s_waitcnt lgkmcnt(0)
	v_mov_b32_e32 v2, s14
	v_mov_b32_e32 v3, s15
	v_cmp_ge_i64_e32 vcc, s[2:3], v[2:3]
	s_or_b64 s[10:11], s[4:5], vcc
	s_andn2_b64 vcc, exec, s[10:11]
	s_cbranch_vccz .LBB224_15
; %bb.3:
	s_load_dwordx2 s[22:23], s[0:1], 0x10
	s_mul_i32 s4, s2, s17
	s_mul_hi_u32 s5, s2, s16
	s_add_i32 s4, s5, s4
	s_mul_i32 s3, s3, s16
	v_mov_b32_e32 v1, 0
	s_add_i32 s15, s4, s3
	s_mul_i32 s14, s2, s16
	v_cmp_le_i64_e64 s[2:3], s[12:13], v[0:1]
	v_cmp_gt_i64_e32 vcc, s[12:13], v[0:1]
	v_mov_b32_e32 v6, v1
	s_and_saveexec_b64 s[16:17], vcc
	s_cbranch_execz .LBB224_18
; %bb.4:
	s_load_dword s6, s[0:1], 0x4c
	s_lshl_b64 s[4:5], s[14:15], 1
	s_add_u32 s24, s20, s4
	s_addc_u32 s25, s21, s5
	s_waitcnt lgkmcnt(0)
	v_cmp_neq_f32_e64 s[26:27], s23, 1.0
	s_and_b32 s33, s6, 0xffff
	v_cmp_neq_f32_e64 s[28:29], s23, 2.0
	v_add_u32_e32 v2, s33, v0
	s_mov_b64 s[30:31], 0
	v_mov_b32_e32 v6, 0
	s_mov_b32 s34, 0x3f2aaaab
	v_mov_b32_e32 v7, 0x3e91f4c4
	s_mov_b32 s35, 0x3f317218
	s_movk_i32 s36, 0x204
	s_mov_b32 s37, 0x7f800000
	s_mov_b32 s38, 0x42b17218
	;; [unrolled: 1-line block ×4, first 2 shown]
	s_brev_b32 s41, -2
	v_mov_b32_e32 v8, 0x37000000
	v_mov_b32_e32 v9, 0x7f800000
	;; [unrolled: 1-line block ×3, first 2 shown]
	v_mov_b64_e32 v[4:5], v[0:1]
                                        ; implicit-def: $vgpr3
	s_branch .LBB224_6
.LBB224_5:                              ;   in Loop: Header=BB224_6 Depth=1
	v_ashrrev_i32_e32 v3, 31, v2
	v_cmp_le_i64_e32 vcc, s[12:13], v[2:3]
	v_add_f32_e32 v6, v6, v4
	v_mov_b64_e32 v[4:5], v[2:3]
	s_or_b64 s[30:31], vcc, s[30:31]
	v_add_u32_e32 v2, s33, v2
	s_andn2_b64 exec, exec, s[30:31]
	s_cbranch_execz .LBB224_17
.LBB224_6:                              ; =>This Inner Loop Header: Depth=1
	v_mul_lo_u32 v3, v5, s18
	v_mul_lo_u32 v11, v4, s19
	v_mad_u64_u32 v[4:5], s[4:5], v4, s18, 0
	v_add3_u32 v5, v5, v11, v3
	v_lshl_add_u64 v[4:5], v[4:5], 1, s[24:25]
	global_load_ushort v3, v[4:5], off
	s_and_b64 vcc, exec, s[26:27]
	s_waitcnt vmcnt(0)
	v_lshlrev_b32_e32 v3, 16, v3
	s_cbranch_vccz .LBB224_11
; %bb.7:                                ;   in Loop: Header=BB224_6 Depth=1
	s_and_b64 vcc, exec, s[28:29]
	s_cbranch_vccz .LBB224_13
; %bb.8:                                ;   in Loop: Header=BB224_6 Depth=1
	v_mov_b32_e32 v26, s23
	v_cmp_eq_f32_e32 vcc, 1.0, v3
	s_nop 1
	v_cndmask_b32_e64 v27, v26, 1.0, vcc
	v_cmp_eq_f32_e64 s[4:5], 0, v27
	v_cmp_gt_f32_e64 s[8:9], 0, v27
	s_nop 0
	v_cndmask_b32_e64 v28, |v3|, 1.0, s[4:5]
	v_frexp_mant_f32_e32 v4, v28
	v_cmp_gt_f32_e64 s[6:7], s34, v4
	s_nop 1
	v_cndmask_b32_e64 v5, 1.0, 2.0, s[6:7]
	v_mul_f32_e32 v4, v4, v5
	v_add_f32_e32 v11, 1.0, v4
	v_rcp_f32_e32 v18, v11
	v_add_f32_e32 v5, -1.0, v11
	v_sub_f32_e32 v13, v4, v5
	v_add_f32_e32 v5, -1.0, v4
	v_mul_f32_e32 v19, v5, v18
	v_mul_f32_e32 v12, v11, v19
	v_fma_f32 v14, v19, v11, -v12
	v_fmac_f32_e32 v14, v19, v13
	v_add_f32_e32 v4, v12, v14
	v_sub_f32_e32 v13, v5, v4
	v_pk_add_f32 v[16:17], v[4:5], v[12:13] neg_lo:[0,1] neg_hi:[0,1]
	v_mov_b32_e32 v15, v4
	v_pk_add_f32 v[4:5], v[16:17], v[14:15] neg_lo:[0,1] neg_hi:[0,1]
	s_nop 0
	v_add_f32_e32 v4, v4, v5
	v_add_f32_e32 v4, v13, v4
	v_mul_f32_e32 v5, v18, v4
	v_add_f32_e32 v4, v19, v5
	v_sub_f32_e32 v11, v4, v19
	v_sub_f32_e32 v11, v5, v11
	v_mul_f32_e32 v5, v4, v4
	v_fma_f32 v13, v4, v4, -v5
	v_add_f32_e32 v12, v11, v11
	v_fmac_f32_e32 v13, v4, v12
	v_add_f32_e32 v12, v5, v13
	v_fmamk_f32 v14, v12, 0x3e76c4e1, v7
	v_fmaak_f32 v14, v12, v14, 0x3ecccdef
	v_sub_f32_e32 v5, v12, v5
	v_sub_f32_e32 v20, v13, v5
	v_mul_f32_e32 v5, v12, v14
	v_fma_f32 v13, v12, v14, -v5
	v_fmac_f32_e32 v13, v20, v14
	v_add_f32_e32 v14, v5, v13
	v_add_f32_e32 v15, 0x3f2aaaaa, v14
	v_sub_f32_e32 v5, v14, v5
	v_sub_f32_e32 v5, v13, v5
	v_add_f32_e32 v13, 0xbf2aaaaa, v15
	v_add_f32_e32 v5, 0x31739010, v5
	v_sub_f32_e32 v13, v14, v13
	v_pk_mul_f32 v[16:17], v[4:5], v[12:13]
	v_pk_add_f32 v[18:19], v[4:5], v[12:13]
	v_fma_f32 v14, v12, v4, -v16
	v_fmac_f32_e32 v14, v12, v11
	v_mov_b32_e32 v17, v19
	v_fmac_f32_e32 v14, v20, v4
	v_pk_add_f32 v[12:13], v[16:17], v[14:15]
	v_ldexp_f32 v11, v11, 1
	v_sub_f32_e32 v5, v12, v16
	v_sub_f32_e32 v5, v14, v5
	v_sub_f32_e32 v14, v15, v13
	v_add_f32_e32 v18, v19, v14
	v_mov_b32_e32 v14, v13
	v_pk_mul_f32 v[14:15], v[12:13], v[14:15]
	v_cvt_f64_f32_e32 v[16:17], v28
	v_frexp_exp_i32_f64_e32 v15, v[16:17]
	v_subbrev_co_u32_e64 v15, s[6:7], 0, v15, s[6:7]
	v_cvt_f32_i32_e32 v15, v15
	v_fma_f32 v16, v12, v13, -v14
	v_fmac_f32_e32 v16, v12, v18
	v_fmac_f32_e32 v16, v5, v13
	v_mul_f32_e32 v12, 0x3f317218, v15
	v_fma_f32 v18, v15, s35, -v12
	v_fmac_f32_e32 v18, 0xb102e308, v15
	v_ldexp_f32 v19, v4, 1
	v_add_f32_e32 v13, v14, v16
	v_pk_add_f32 v[4:5], v[12:13], v[18:19]
	v_mov_b32_e32 v20, v13
	v_mov_b32_e32 v21, v5
	;; [unrolled: 1-line block ×3, first 2 shown]
	v_pk_add_f32 v[14:15], v[20:21], v[14:15] neg_lo:[0,1] neg_hi:[0,1]
	v_mov_b32_e32 v17, v13
	v_pk_add_f32 v[14:15], v[16:17], v[14:15] neg_lo:[0,1] neg_hi:[0,1]
	v_mov_b32_e32 v19, v4
	v_add_f32_e32 v11, v11, v14
	v_add_f32_e32 v13, v11, v15
	v_pk_add_f32 v[14:15], v[4:5], v[12:13] neg_lo:[0,1] neg_hi:[0,1]
	v_pk_add_f32 v[16:17], v[4:5], v[12:13]
	v_mov_b32_e32 v20, v14
	v_mov_b32_e32 v21, v17
	v_pk_add_f32 v[20:21], v[18:19], v[20:21]
	v_pk_add_f32 v[14:15], v[18:19], v[14:15] neg_lo:[0,1] neg_hi:[0,1]
	v_mov_b32_e32 v12, v21
	v_pk_add_f32 v[22:23], v[12:13], v[4:5] neg_lo:[0,1] neg_hi:[0,1]
	v_mov_b32_e32 v20, v17
	v_mov_b32_e32 v11, v22
	;; [unrolled: 1-line block ×4, first 2 shown]
	v_pk_add_f32 v[24:25], v[16:17], v[10:11] neg_lo:[0,1] neg_hi:[0,1]
	v_pk_add_f32 v[4:5], v[20:21], v[4:5] neg_lo:[0,1] neg_hi:[0,1]
	v_mov_b32_e32 v18, v13
	v_pk_add_f32 v[4:5], v[18:19], v[4:5] neg_lo:[0,1] neg_hi:[0,1]
	v_mov_b32_e32 v24, v14
	v_pk_add_f32 v[16:17], v[24:25], v[4:5]
	v_mov_b32_e32 v15, v21
	v_mov_b32_e32 v18, v17
	v_pk_add_f32 v[18:19], v[16:17], v[18:19]
	s_nop 0
	v_pk_add_f32 v[12:13], v[12:13], v[18:19]
	v_mov_b32_e32 v5, v18
	v_mov_b32_e32 v17, v12
	v_pk_add_f32 v[20:21], v[16:17], v[14:15] neg_lo:[0,1] neg_hi:[0,1]
	s_nop 0
	v_sub_f32_e32 v11, v16, v20
	v_pk_add_f32 v[4:5], v[4:5], v[20:21] neg_lo:[0,1] neg_hi:[0,1]
	v_sub_f32_e32 v11, v14, v11
	v_add_f32_e32 v4, v4, v11
	v_add_f32_e32 v4, v4, v5
	;; [unrolled: 1-line block ×3, first 2 shown]
	v_sub_f32_e32 v11, v5, v12
	v_sub_f32_e32 v4, v4, v11
	v_mul_f32_e32 v11, v27, v5
	v_fma_f32 v5, v27, v5, -v11
	v_fmac_f32_e32 v5, v27, v4
	v_add_f32_e32 v4, v11, v5
	v_cmp_class_f32_e64 s[6:7], v11, s36
	v_sub_f32_e32 v12, v4, v11
	v_sub_f32_e32 v5, v5, v12
	v_cndmask_b32_e64 v4, v4, v11, s[6:7]
	v_cmp_eq_f32_e64 s[6:7], s38, v4
	s_nop 1
	v_cndmask_b32_e64 v11, 0, v8, s[6:7]
	v_sub_f32_e32 v12, v4, v11
	v_mul_f32_e32 v13, 0x3fb8aa3b, v12
	v_fma_f32 v14, v12, s39, -v13
	v_rndne_f32_e32 v15, v13
	v_fmac_f32_e32 v14, 0x32a5705f, v12
	v_sub_f32_e32 v13, v13, v15
	v_add_f32_e32 v13, v13, v14
	v_exp_f32_e32 v13, v13
	v_cvt_i32_f32_e32 v14, v15
	v_cmp_neq_f32_e64 s[6:7], |v4|, s37
	s_nop 1
	v_cndmask_b32_e64 v4, 0, v5, s[6:7]
	v_ldexp_f32 v5, v13, v14
	v_cmp_ngt_f32_e64 s[6:7], s40, v12
	v_add_f32_e32 v4, v11, v4
	v_trunc_f32_e32 v11, v27
	v_cndmask_b32_e64 v5, 0, v5, s[6:7]
	v_cmp_nlt_f32_e64 s[6:7], s38, v12
	s_nop 1
	v_cndmask_b32_e64 v5, v9, v5, s[6:7]
	v_fma_f32 v4, v5, v4, v5
	v_cmp_class_f32_e64 s[6:7], v5, s36
	s_nop 1
	v_cndmask_b32_e64 v4, v4, v5, s[6:7]
	v_cndmask_b32_e64 v5, v3, 1.0, s[4:5]
	v_cmp_eq_f32_e64 s[4:5], v11, v27
	v_mul_f32_e32 v11, 0.5, v27
	v_trunc_f32_e32 v12, v11
	v_cmp_neq_f32_e64 s[6:7], v12, v11
	s_and_b64 s[6:7], s[4:5], s[6:7]
	s_nop 0
	v_cndmask_b32_e64 v11, 1.0, v5, s[6:7]
	v_bfi_b32 v4, s41, v4, v11
	v_cndmask_b32_e64 v11, v10, v4, s[4:5]
	v_cmp_gt_f32_e64 s[4:5], 0, v5
	s_nop 1
	v_cndmask_b32_e64 v4, v4, v11, s[4:5]
	v_cndmask_b32_e64 v11, |v26|, 1.0, vcc
	v_cmp_neq_f32_e32 vcc, v27, v11
	v_cmp_gt_f32_e64 s[4:5], 1.0, v28
	s_xor_b64 s[4:5], vcc, s[4:5]
	v_cmp_eq_f32_e32 vcc, 1.0, v28
	v_cndmask_b32_e64 v12, v11, 0, s[4:5]
	v_cmp_eq_f32_e64 s[4:5], 0, v5
	v_cndmask_b32_e32 v12, v12, v28, vcc
	v_cmp_eq_f32_e32 vcc, s37, v11
	s_xor_b64 s[8:9], s[8:9], s[4:5]
	v_cndmask_b32_e64 v11, v9, 0, s[8:9]
	v_cndmask_b32_e32 v4, v4, v12, vcc
	v_cmp_eq_f32_e32 vcc, s37, v28
	v_cndmask_b32_e64 v12, 0, v5, s[6:7]
	v_bfi_b32 v11, s41, v11, v12
	s_or_b64 vcc, vcc, s[4:5]
	v_cndmask_b32_e32 v4, v4, v11, vcc
	v_cmp_o_f32_e32 vcc, v5, v27
	s_nop 1
	v_cndmask_b32_e32 v4, v10, v4, vcc
	s_cbranch_execnz .LBB224_10
.LBB224_9:                              ;   in Loop: Header=BB224_6 Depth=1
	v_mul_f32_e32 v4, v3, v3
.LBB224_10:                             ;   in Loop: Header=BB224_6 Depth=1
	s_cbranch_execnz .LBB224_5
	s_branch .LBB224_12
.LBB224_11:                             ;   in Loop: Header=BB224_6 Depth=1
                                        ; implicit-def: $vgpr4
.LBB224_12:                             ;   in Loop: Header=BB224_6 Depth=1
	v_and_b32_e32 v4, 0x7fffffff, v3
	s_branch .LBB224_5
.LBB224_13:                             ;   in Loop: Header=BB224_6 Depth=1
                                        ; implicit-def: $vgpr4
	s_branch .LBB224_9
.LBB224_14:
	s_mov_b64 s[10:11], -1
.LBB224_15:
	s_and_b64 vcc, exec, s[10:11]
	s_cbranch_vccnz .LBB224_28
.LBB224_16:
	s_endpgm
.LBB224_17:
	s_or_b64 exec, exec, s[30:31]
.LBB224_18:
	s_or_b64 exec, exec, s[16:17]
	v_mbcnt_lo_u32_b32 v2, -1, 0
	v_mbcnt_hi_u32_b32 v8, -1, v2
	v_and_b32_e32 v10, 63, v8
	v_cmp_gt_u32_e32 vcc, 32, v10
	s_waitcnt lgkmcnt(0)
	s_barrier
	v_cndmask_b32_e64 v2, 0, 1, vcc
	v_lshlrev_b32_e32 v2, 5, v2
	v_add_lshl_u32 v3, v2, v8, 2
	ds_bpermute_b32 v2, v3, v6
	v_cmp_gt_u32_e32 vcc, 48, v10
	s_waitcnt lgkmcnt(0)
	v_add_f32_e32 v2, v6, v2
	v_cndmask_b32_e64 v4, 0, 1, vcc
	v_lshlrev_b32_e32 v4, 4, v4
	v_add_lshl_u32 v4, v4, v8, 2
	ds_bpermute_b32 v5, v4, v2
	v_cmp_gt_u32_e32 vcc, 56, v10
	s_waitcnt lgkmcnt(0)
	v_add_f32_e32 v2, v2, v5
	;; [unrolled: 7-line block ×4, first 2 shown]
	v_cndmask_b32_e64 v9, 0, 1, vcc
	v_lshlrev_b32_e32 v9, 1, v9
	v_add_lshl_u32 v7, v9, v8, 2
	ds_bpermute_b32 v11, v7, v2
	v_cmp_ne_u32_e32 vcc, 63, v10
	v_and_b32_e32 v9, 63, v0
	s_waitcnt lgkmcnt(0)
	v_add_f32_e32 v2, v2, v11
	v_addc_co_u32_e32 v8, vcc, 0, v8, vcc
	v_lshlrev_b32_e32 v8, 2, v8
	ds_bpermute_b32 v10, v8, v2
	v_cmp_eq_u32_e32 vcc, 0, v9
	s_and_saveexec_b64 s[4:5], vcc
	s_cbranch_execz .LBB224_20
; %bb.19:
	s_waitcnt lgkmcnt(0)
	v_add_f32_e32 v2, v2, v10
	v_lshrrev_b32_e32 v10, 4, v0
	v_add_u32_e32 v10, 0, v10
	ds_write_b32 v10, v2
.LBB224_20:
	s_or_b64 exec, exec, s[4:5]
	s_waitcnt lgkmcnt(0)
	s_barrier
	s_load_dword s16, s[0:1], 0x4c
	v_mov_b32_e32 v2, 0
	s_waitcnt lgkmcnt(0)
	s_bfe_u32 s0, s16, 0xa0006
	v_cmp_gt_u32_e32 vcc, s0, v0
	s_and_saveexec_b64 s[0:1], vcc
	s_cbranch_execnz .LBB224_29
; %bb.21:
	s_or_b64 exec, exec, s[0:1]
	v_cmp_gt_u32_e32 vcc, 64, v0
	s_and_saveexec_b64 s[0:1], vcc
	s_cbranch_execnz .LBB224_30
.LBB224_22:
	s_or_b64 exec, exec, s[0:1]
	v_cmp_eq_u32_e32 vcc, 0, v0
	s_and_saveexec_b64 s[8:9], vcc
	s_cbranch_execz .LBB224_24
.LBB224_23:
	v_div_scale_f32 v3, s[0:1], s23, s23, 1.0
	v_rcp_f32_e32 v4, v3
	v_div_scale_f32 v5, vcc, 1.0, s23, 1.0
	s_mov_b32 s4, 0x3f2aaaab
	v_fma_f32 v6, -v3, v4, 1.0
	v_fmac_f32_e32 v4, v6, v4
	v_mul_f32_e32 v6, v5, v4
	v_fma_f32 v7, -v3, v6, v5
	v_fmac_f32_e32 v6, v7, v4
	v_fma_f32 v3, -v3, v6, v5
	v_div_fmas_f32 v3, v3, v4, v6
	v_div_fixup_f32 v20, v3, s23, 1.0
	s_waitcnt lgkmcnt(0)
	v_cmp_eq_f32_e32 vcc, 1.0, v2
	s_movk_i32 s6, 0x204
	s_mov_b32 s17, 0x42b17218
	v_cndmask_b32_e64 v21, v20, 1.0, vcc
	v_cmp_eq_f32_e64 s[0:1], 0, v21
	s_mov_b32 s7, 0x7f800000
	s_nop 0
	v_cndmask_b32_e64 v22, |v2|, 1.0, s[0:1]
	v_frexp_mant_f32_e32 v3, v22
	v_cmp_gt_f32_e64 s[4:5], s4, v3
	s_nop 1
	v_cndmask_b32_e64 v4, 1.0, 2.0, s[4:5]
	v_mul_f32_e32 v3, v3, v4
	v_add_f32_e32 v4, 1.0, v3
	v_rcp_f32_e32 v12, v4
	v_add_f32_e32 v5, -1.0, v4
	v_sub_f32_e32 v7, v3, v5
	v_add_f32_e32 v5, -1.0, v3
	v_mul_f32_e32 v3, v5, v12
	v_mul_f32_e32 v6, v4, v3
	v_fma_f32 v8, v3, v4, -v6
	v_fmac_f32_e32 v8, v3, v7
	v_add_f32_e32 v4, v6, v8
	v_sub_f32_e32 v7, v5, v4
	v_pk_add_f32 v[10:11], v[4:5], v[6:7] neg_lo:[0,1] neg_hi:[0,1]
	v_mov_b32_e32 v9, v4
	v_pk_add_f32 v[4:5], v[10:11], v[8:9] neg_lo:[0,1] neg_hi:[0,1]
	v_mov_b32_e32 v8, 0x3e91f4c4
	v_add_f32_e32 v4, v4, v5
	v_add_f32_e32 v4, v7, v4
	v_mul_f32_e32 v5, v12, v4
	v_add_f32_e32 v4, v3, v5
	v_sub_f32_e32 v3, v4, v3
	v_sub_f32_e32 v3, v5, v3
	v_mul_f32_e32 v5, v4, v4
	v_fma_f32 v7, v4, v4, -v5
	v_add_f32_e32 v6, v3, v3
	v_fmac_f32_e32 v7, v4, v6
	v_add_f32_e32 v6, v5, v7
	v_fmac_f32_e32 v8, 0x3e76c4e1, v6
	v_fmaak_f32 v8, v6, v8, 0x3ecccdef
	v_sub_f32_e32 v5, v6, v5
	v_sub_f32_e32 v14, v7, v5
	v_mul_f32_e32 v5, v6, v8
	v_fma_f32 v7, v6, v8, -v5
	v_fmac_f32_e32 v7, v14, v8
	v_add_f32_e32 v8, v5, v7
	v_add_f32_e32 v9, 0x3f2aaaaa, v8
	v_sub_f32_e32 v5, v8, v5
	v_sub_f32_e32 v5, v7, v5
	v_add_f32_e32 v7, 0xbf2aaaaa, v9
	v_add_f32_e32 v5, 0x31739010, v5
	v_sub_f32_e32 v7, v8, v7
	v_pk_mul_f32 v[10:11], v[4:5], v[6:7]
	v_pk_add_f32 v[12:13], v[4:5], v[6:7]
	v_fma_f32 v8, v6, v4, -v10
	v_fmac_f32_e32 v8, v6, v3
	v_mov_b32_e32 v11, v13
	v_fmac_f32_e32 v8, v14, v4
	v_pk_add_f32 v[6:7], v[10:11], v[8:9]
	v_ldexp_f32 v3, v3, 1
	v_sub_f32_e32 v5, v6, v10
	v_sub_f32_e32 v5, v8, v5
	;; [unrolled: 1-line block ×3, first 2 shown]
	v_add_f32_e32 v11, v13, v8
	v_mov_b32_e32 v8, v7
	v_pk_mul_f32 v[8:9], v[6:7], v[8:9]
	v_cvt_f64_f32_e32 v[12:13], v22
	v_frexp_exp_i32_f64_e32 v9, v[12:13]
	v_subbrev_co_u32_e64 v9, s[4:5], 0, v9, s[4:5]
	v_cvt_f32_i32_e32 v9, v9
	v_fma_f32 v10, v6, v7, -v8
	v_fmac_f32_e32 v10, v6, v11
	s_mov_b32 s4, 0x3f317218
	v_mul_f32_e32 v6, 0x3f317218, v9
	v_fmac_f32_e32 v10, v5, v7
	v_fma_f32 v5, v9, s4, -v6
	v_fmamk_f32 v12, v9, 0xb102e308, v5
	v_ldexp_f32 v13, v4, 1
	v_add_f32_e32 v7, v8, v10
	v_pk_add_f32 v[4:5], v[6:7], v[12:13]
	v_mov_b32_e32 v14, v7
	v_mov_b32_e32 v15, v5
	;; [unrolled: 1-line block ×3, first 2 shown]
	v_pk_add_f32 v[8:9], v[14:15], v[8:9] neg_lo:[0,1] neg_hi:[0,1]
	v_mov_b32_e32 v11, v7
	v_pk_add_f32 v[8:9], v[10:11], v[8:9] neg_lo:[0,1] neg_hi:[0,1]
	v_mov_b32_e32 v13, v4
	v_add_f32_e32 v3, v3, v8
	v_add_f32_e32 v7, v3, v9
	v_pk_add_f32 v[8:9], v[4:5], v[6:7] neg_lo:[0,1] neg_hi:[0,1]
	v_pk_add_f32 v[10:11], v[4:5], v[6:7]
	v_mov_b32_e32 v14, v8
	v_mov_b32_e32 v15, v11
	v_pk_add_f32 v[14:15], v[12:13], v[14:15]
	v_pk_add_f32 v[8:9], v[12:13], v[8:9] neg_lo:[0,1] neg_hi:[0,1]
	v_mov_b32_e32 v6, v15
	v_pk_add_f32 v[16:17], v[6:7], v[4:5] neg_lo:[0,1] neg_hi:[0,1]
	v_mov_b32_e32 v14, v11
	v_mov_b32_e32 v3, v16
	;; [unrolled: 1-line block ×4, first 2 shown]
	v_pk_add_f32 v[18:19], v[10:11], v[2:3] neg_lo:[0,1] neg_hi:[0,1]
	v_pk_add_f32 v[4:5], v[14:15], v[4:5] neg_lo:[0,1] neg_hi:[0,1]
	v_mov_b32_e32 v12, v7
	v_pk_add_f32 v[4:5], v[12:13], v[4:5] neg_lo:[0,1] neg_hi:[0,1]
	v_mov_b32_e32 v18, v8
	v_pk_add_f32 v[10:11], v[18:19], v[4:5]
	v_mov_b32_e32 v9, v15
	v_mov_b32_e32 v12, v11
	v_pk_add_f32 v[12:13], v[10:11], v[12:13]
	v_cndmask_b32_e64 v2, v2, 1.0, s[0:1]
	v_pk_add_f32 v[6:7], v[6:7], v[12:13]
	v_mov_b32_e32 v5, v12
	v_mov_b32_e32 v11, v6
	v_pk_add_f32 v[14:15], v[10:11], v[8:9] neg_lo:[0,1] neg_hi:[0,1]
	s_nop 0
	v_sub_f32_e32 v3, v10, v14
	v_pk_add_f32 v[4:5], v[4:5], v[14:15] neg_lo:[0,1] neg_hi:[0,1]
	v_sub_f32_e32 v3, v8, v3
	v_add_f32_e32 v3, v4, v3
	v_add_f32_e32 v3, v3, v5
	;; [unrolled: 1-line block ×3, first 2 shown]
	v_sub_f32_e32 v5, v4, v6
	v_sub_f32_e32 v3, v3, v5
	v_mul_f32_e32 v5, v21, v4
	v_fma_f32 v4, v21, v4, -v5
	v_fmac_f32_e32 v4, v21, v3
	v_add_f32_e32 v3, v5, v4
	v_cmp_class_f32_e64 s[4:5], v5, s6
	v_sub_f32_e32 v6, v3, v5
	v_sub_f32_e32 v4, v4, v6
	v_cndmask_b32_e64 v3, v3, v5, s[4:5]
	v_mov_b32_e32 v5, 0x37000000
	v_cmp_eq_f32_e64 s[4:5], s17, v3
	s_nop 1
	v_cndmask_b32_e64 v5, 0, v5, s[4:5]
	v_sub_f32_e32 v6, v3, v5
	s_mov_b32 s4, 0x3fb8aa3b
	v_mul_f32_e32 v7, 0x3fb8aa3b, v6
	v_fma_f32 v8, v6, s4, -v7
	v_rndne_f32_e32 v9, v7
	v_fmamk_f32 v8, v6, 0x32a5705f, v8
	v_sub_f32_e32 v7, v7, v9
	v_add_f32_e32 v7, v7, v8
	v_exp_f32_e32 v7, v7
	v_cvt_i32_f32_e32 v8, v9
	v_cmp_neq_f32_e64 s[4:5], |v3|, s7
	s_nop 1
	v_cndmask_b32_e64 v3, 0, v4, s[4:5]
	s_mov_b32 s4, 0xc2ce8ed0
	v_ldexp_f32 v4, v7, v8
	v_cmp_ngt_f32_e64 s[4:5], s4, v6
	v_add_f32_e32 v3, v5, v3
	v_mov_b32_e32 v5, 0x7f800000
	v_cndmask_b32_e64 v4, 0, v4, s[4:5]
	v_cmp_nlt_f32_e64 s[4:5], s17, v6
	s_brev_b32 s17, -2
	v_mov_b32_e32 v6, 0x7fc00000
	v_cndmask_b32_e64 v4, v5, v4, s[4:5]
	v_fma_f32 v3, v4, v3, v4
	v_cmp_class_f32_e64 s[4:5], v4, s6
	s_nop 1
	v_cndmask_b32_e64 v3, v3, v4, s[4:5]
	v_trunc_f32_e32 v4, v21
	v_cmp_eq_f32_e64 s[0:1], v4, v21
	v_mul_f32_e32 v4, 0.5, v21
	v_trunc_f32_e32 v7, v4
	v_cmp_neq_f32_e64 s[4:5], v7, v4
	s_and_b64 s[4:5], s[0:1], s[4:5]
	s_nop 0
	v_cndmask_b32_e64 v4, 1.0, v2, s[4:5]
	v_bfi_b32 v3, s17, v3, v4
	v_cndmask_b32_e64 v4, v6, v3, s[0:1]
	v_cmp_gt_f32_e64 s[0:1], 0, v2
	s_nop 1
	v_cndmask_b32_e64 v3, v3, v4, s[0:1]
	v_cndmask_b32_e64 v4, |v20|, 1.0, vcc
	v_cmp_neq_f32_e32 vcc, v21, v4
	v_cmp_gt_f32_e64 s[0:1], 1.0, v22
	s_xor_b64 s[0:1], vcc, s[0:1]
	v_cmp_eq_f32_e32 vcc, 1.0, v22
	v_cndmask_b32_e64 v7, v4, 0, s[0:1]
	v_cmp_eq_f32_e64 s[0:1], 0, v2
	v_cndmask_b32_e32 v7, v7, v22, vcc
	v_cmp_eq_f32_e32 vcc, s7, v4
	s_nop 1
	v_cndmask_b32_e32 v3, v3, v7, vcc
	v_cmp_eq_f32_e32 vcc, s7, v22
	v_cmp_gt_f32_e64 s[6:7], 0, v21
	s_xor_b64 s[6:7], s[6:7], s[0:1]
	s_or_b64 vcc, vcc, s[0:1]
	v_cndmask_b32_e64 v4, v5, 0, s[6:7]
	v_cndmask_b32_e64 v5, 0, v2, s[4:5]
	v_bfi_b32 v4, s17, v4, v5
	v_cndmask_b32_e32 v3, v3, v4, vcc
	v_cmp_o_f32_e32 vcc, v2, v21
	s_nop 1
	v_cndmask_b32_e32 v2, v6, v3, vcc
	v_mov_b32_e32 v3, 0
	ds_write_b32 v3, v2
.LBB224_24:
	s_or_b64 exec, exec, s[8:9]
	s_waitcnt lgkmcnt(0)
	v_mov_b32_e32 v2, 0
	s_barrier
	ds_read_b32 v2, v2
	s_xor_b64 s[0:1], s[2:3], -1
	s_waitcnt lgkmcnt(0)
	v_cmp_lt_f32_e32 vcc, s22, v2
	s_and_b64 s[2:3], vcc, s[0:1]
	s_and_saveexec_b64 s[0:1], s[2:3]
	s_cbranch_execz .LBB224_27
; %bb.25:
	s_mov_b32 s2, 0x9abcaf48
	v_cvt_f64_f32_e32 v[2:3], v2
	s_mov_b32 s3, 0x3e7ad7f2
	v_cvt_f64_f32_e32 v[4:5], s22
	v_add_f64 v[2:3], v[2:3], s[2:3]
	v_div_scale_f64 v[6:7], s[2:3], v[2:3], v[2:3], v[4:5]
	v_rcp_f64_e32 v[8:9], v[6:7]
	s_and_b32 s6, s16, 0xffff
	s_lshl_b64 s[2:3], s[14:15], 1
	s_add_u32 s2, s20, s2
	v_fma_f64 v[10:11], -v[6:7], v[8:9], 1.0
	v_fmac_f64_e32 v[8:9], v[8:9], v[10:11]
	v_fma_f64 v[10:11], -v[6:7], v[8:9], 1.0
	v_fmac_f64_e32 v[8:9], v[8:9], v[10:11]
	v_div_scale_f64 v[10:11], vcc, v[4:5], v[2:3], v[4:5]
	v_mul_f64 v[12:13], v[10:11], v[8:9]
	v_fma_f64 v[6:7], -v[6:7], v[12:13], v[10:11]
	s_movk_i32 s7, 0x7fff
	s_nop 0
	v_div_fmas_f64 v[6:7], v[6:7], v[8:9], v[12:13]
	v_div_fixup_f64 v[2:3], v[6:7], v[2:3], v[4:5]
	v_cvt_f32_f64_e32 v2, v[2:3]
	v_bfe_u32 v3, v2, 16, 1
	v_add_u32_e32 v3, v2, v3
	v_add_u32_e32 v3, 0x7fff, v3
	v_and_b32_e32 v3, 0xffff0000, v3
	v_mov_b32_e32 v4, 0x7fc00000
	v_cmp_o_f32_e32 vcc, v2, v2
	s_addc_u32 s3, s21, s3
	v_add_u32_e32 v2, s6, v0
	v_cndmask_b32_e32 v4, v4, v3, vcc
	s_mov_b64 s[4:5], 0
	v_mov_b32_e32 v5, 0x7fc0
.LBB224_26:                             ; =>This Inner Loop Header: Depth=1
	v_mul_lo_u32 v3, v1, s18
	v_mul_lo_u32 v6, v0, s19
	v_mad_u64_u32 v[0:1], s[8:9], v0, s18, 0
	v_add3_u32 v1, v1, v6, v3
	v_lshl_add_u64 v[6:7], v[0:1], 1, s[2:3]
	global_load_ushort v8, v[6:7], off
	v_ashrrev_i32_e32 v3, 31, v2
	v_mov_b64_e32 v[0:1], v[2:3]
	v_cmp_le_i64_e32 vcc, s[12:13], v[2:3]
	s_or_b64 s[4:5], vcc, s[4:5]
	v_add_u32_e32 v2, s6, v2
	s_waitcnt vmcnt(0)
	v_lshlrev_b32_e32 v3, 16, v8
	v_mul_f32_e32 v3, v4, v3
	v_bfe_u32 v8, v3, 16, 1
	v_add3_u32 v8, v3, v8, s7
	v_lshrrev_b32_e32 v8, 16, v8
	v_cmp_o_f32_e32 vcc, v3, v3
	s_nop 1
	v_cndmask_b32_e32 v3, v5, v8, vcc
	global_store_short v[6:7], v3, off
	s_andn2_b64 exec, exec, s[4:5]
	s_cbranch_execnz .LBB224_26
.LBB224_27:
	s_or_b64 exec, exec, s[0:1]
	s_and_b64 vcc, exec, s[10:11]
	s_cbranch_vccz .LBB224_16
.LBB224_28:
	s_trap 2
	; divergent unreachable
	s_endpgm
.LBB224_29:
	v_lshl_add_u32 v2, v9, 2, 0
	ds_read_b32 v2, v2
	s_or_b64 exec, exec, s[0:1]
	v_cmp_gt_u32_e32 vcc, 64, v0
	s_and_saveexec_b64 s[0:1], vcc
	s_cbranch_execz .LBB224_22
.LBB224_30:
	s_waitcnt lgkmcnt(0)
	ds_bpermute_b32 v3, v3, v2
	s_waitcnt lgkmcnt(0)
	v_add_f32_e32 v2, v2, v3
	ds_bpermute_b32 v3, v4, v2
	s_waitcnt lgkmcnt(0)
	v_add_f32_e32 v2, v2, v3
	;; [unrolled: 3-line block ×6, first 2 shown]
	s_or_b64 exec, exec, s[0:1]
	v_cmp_eq_u32_e32 vcc, 0, v0
	s_and_saveexec_b64 s[8:9], vcc
	s_cbranch_execnz .LBB224_23
	s_branch .LBB224_24
	.section	.rodata,"a",@progbits
	.p2align	6, 0x0
	.amdhsa_kernel _ZN2at6native12_GLOBAL__N_113renorm_kernelIN3c108BFloat16EfKiEEvPT_PT1_T0_SA_llllPKl
		.amdhsa_group_segment_fixed_size 0
		.amdhsa_private_segment_fixed_size 0
		.amdhsa_kernarg_size 320
		.amdhsa_user_sgpr_count 2
		.amdhsa_user_sgpr_dispatch_ptr 0
		.amdhsa_user_sgpr_queue_ptr 0
		.amdhsa_user_sgpr_kernarg_segment_ptr 1
		.amdhsa_user_sgpr_dispatch_id 0
		.amdhsa_user_sgpr_kernarg_preload_length 0
		.amdhsa_user_sgpr_kernarg_preload_offset 0
		.amdhsa_user_sgpr_private_segment_size 0
		.amdhsa_uses_dynamic_stack 0
		.amdhsa_enable_private_segment 0
		.amdhsa_system_sgpr_workgroup_id_x 1
		.amdhsa_system_sgpr_workgroup_id_y 0
		.amdhsa_system_sgpr_workgroup_id_z 0
		.amdhsa_system_sgpr_workgroup_info 0
		.amdhsa_system_vgpr_workitem_id 0
		.amdhsa_next_free_vgpr 29
		.amdhsa_next_free_sgpr 42
		.amdhsa_accum_offset 32
		.amdhsa_reserve_vcc 1
		.amdhsa_float_round_mode_32 0
		.amdhsa_float_round_mode_16_64 0
		.amdhsa_float_denorm_mode_32 3
		.amdhsa_float_denorm_mode_16_64 3
		.amdhsa_dx10_clamp 1
		.amdhsa_ieee_mode 1
		.amdhsa_fp16_overflow 0
		.amdhsa_tg_split 0
		.amdhsa_exception_fp_ieee_invalid_op 0
		.amdhsa_exception_fp_denorm_src 0
		.amdhsa_exception_fp_ieee_div_zero 0
		.amdhsa_exception_fp_ieee_overflow 0
		.amdhsa_exception_fp_ieee_underflow 0
		.amdhsa_exception_fp_ieee_inexact 0
		.amdhsa_exception_int_div_zero 0
	.end_amdhsa_kernel
	.section	.text._ZN2at6native12_GLOBAL__N_113renorm_kernelIN3c108BFloat16EfKiEEvPT_PT1_T0_SA_llllPKl,"axG",@progbits,_ZN2at6native12_GLOBAL__N_113renorm_kernelIN3c108BFloat16EfKiEEvPT_PT1_T0_SA_llllPKl,comdat
.Lfunc_end224:
	.size	_ZN2at6native12_GLOBAL__N_113renorm_kernelIN3c108BFloat16EfKiEEvPT_PT1_T0_SA_llllPKl, .Lfunc_end224-_ZN2at6native12_GLOBAL__N_113renorm_kernelIN3c108BFloat16EfKiEEvPT_PT1_T0_SA_llllPKl
                                        ; -- End function
	.section	.AMDGPU.csdata,"",@progbits
; Kernel info:
; codeLenInByte = 3756
; NumSgprs: 48
; NumVgprs: 29
; NumAgprs: 0
; TotalNumVgprs: 29
; ScratchSize: 0
; MemoryBound: 0
; FloatMode: 240
; IeeeMode: 1
; LDSByteSize: 0 bytes/workgroup (compile time only)
; SGPRBlocks: 5
; VGPRBlocks: 3
; NumSGPRsForWavesPerEU: 48
; NumVGPRsForWavesPerEU: 29
; AccumOffset: 32
; Occupancy: 8
; WaveLimiterHint : 1
; COMPUTE_PGM_RSRC2:SCRATCH_EN: 0
; COMPUTE_PGM_RSRC2:USER_SGPR: 2
; COMPUTE_PGM_RSRC2:TRAP_HANDLER: 0
; COMPUTE_PGM_RSRC2:TGID_X_EN: 1
; COMPUTE_PGM_RSRC2:TGID_Y_EN: 0
; COMPUTE_PGM_RSRC2:TGID_Z_EN: 0
; COMPUTE_PGM_RSRC2:TIDIG_COMP_CNT: 0
; COMPUTE_PGM_RSRC3_GFX90A:ACCUM_OFFSET: 7
; COMPUTE_PGM_RSRC3_GFX90A:TG_SPLIT: 0
	.section	.text._ZN2at6native12_GLOBAL__N_136embedding_renorm_wrap_indices_kernelIlEEvPKT_PS3_ll,"axG",@progbits,_ZN2at6native12_GLOBAL__N_136embedding_renorm_wrap_indices_kernelIlEEvPKT_PS3_ll,comdat
	.globl	_ZN2at6native12_GLOBAL__N_136embedding_renorm_wrap_indices_kernelIlEEvPKT_PS3_ll ; -- Begin function _ZN2at6native12_GLOBAL__N_136embedding_renorm_wrap_indices_kernelIlEEvPKT_PS3_ll
	.p2align	8
	.type	_ZN2at6native12_GLOBAL__N_136embedding_renorm_wrap_indices_kernelIlEEvPKT_PS3_ll,@function
_ZN2at6native12_GLOBAL__N_136embedding_renorm_wrap_indices_kernelIlEEvPKT_PS3_ll: ; @_ZN2at6native12_GLOBAL__N_136embedding_renorm_wrap_indices_kernelIlEEvPKT_PS3_ll
; %bb.0:
	s_load_dword s3, s[0:1], 0x2c
	s_load_dwordx8 s[4:11], s[0:1], 0x0
	v_mov_b32_e32 v1, 0
	v_mov_b32_e32 v2, s2
	s_waitcnt lgkmcnt(0)
	s_and_b32 s0, s3, 0xffff
	v_mad_u64_u32 v[0:1], s[0:1], s0, v2, v[0:1]
	v_cmp_gt_i64_e32 vcc, s[8:9], v[0:1]
	s_and_saveexec_b64 s[0:1], vcc
	s_cbranch_execz .LBB225_6
; %bb.1:
	v_mov_b32_e32 v2, s4
	v_mov_b32_e32 v3, s5
	v_lshl_add_u64 v[2:3], v[0:1], 3, v[2:3]
	global_load_dwordx2 v[2:3], v[2:3], off
	s_sub_u32 s0, 0, s10
	s_subb_u32 s1, 0, s11
	s_mov_b64 s[2:3], -1
	s_waitcnt vmcnt(0)
	v_cmp_le_i64_e32 vcc, s[0:1], v[2:3]
	s_and_saveexec_b64 s[0:1], vcc
	s_cbranch_execz .LBB225_5
; %bb.2:
	s_getpc_b64 s[2:3]
	s_add_u32 s2, s2, .str.2@rel32@lo+4
	s_addc_u32 s3, s3, .str.2@rel32@hi+12
	s_cmp_eq_u64 s[2:3], 0
	v_cmp_le_i64_e32 vcc, s[10:11], v[2:3]
	s_cselect_b64 s[2:3], -1, 0
	s_or_b64 s[2:3], s[2:3], vcc
	s_xor_b64 s[8:9], s[2:3], -1
	s_and_saveexec_b64 s[4:5], s[8:9]
	s_cbranch_execz .LBB225_4
; %bb.3:
	v_ashrrev_i32_e32 v6, 31, v3
	v_mov_b32_e32 v4, s6
	v_mov_b32_e32 v5, s7
	v_and_b32_e32 v7, s11, v6
	v_and_b32_e32 v6, s10, v6
	v_lshl_add_u64 v[2:3], v[6:7], 0, v[2:3]
	v_lshl_add_u64 v[0:1], v[0:1], 3, v[4:5]
	global_store_dwordx2 v[0:1], v[2:3], off
.LBB225_4:
	s_or_b64 exec, exec, s[4:5]
	s_orn2_b64 s[2:3], s[2:3], exec
.LBB225_5:
	s_or_b64 exec, exec, s[0:1]
	s_and_b64 exec, exec, s[2:3]
	s_cbranch_execnz .LBB225_7
.LBB225_6:
	s_endpgm
.LBB225_7:
	s_trap 2
	; divergent unreachable
	s_endpgm
	.section	.rodata,"a",@progbits
	.p2align	6, 0x0
	.amdhsa_kernel _ZN2at6native12_GLOBAL__N_136embedding_renorm_wrap_indices_kernelIlEEvPKT_PS3_ll
		.amdhsa_group_segment_fixed_size 0
		.amdhsa_private_segment_fixed_size 0
		.amdhsa_kernarg_size 288
		.amdhsa_user_sgpr_count 2
		.amdhsa_user_sgpr_dispatch_ptr 0
		.amdhsa_user_sgpr_queue_ptr 0
		.amdhsa_user_sgpr_kernarg_segment_ptr 1
		.amdhsa_user_sgpr_dispatch_id 0
		.amdhsa_user_sgpr_kernarg_preload_length 0
		.amdhsa_user_sgpr_kernarg_preload_offset 0
		.amdhsa_user_sgpr_private_segment_size 0
		.amdhsa_uses_dynamic_stack 0
		.amdhsa_enable_private_segment 0
		.amdhsa_system_sgpr_workgroup_id_x 1
		.amdhsa_system_sgpr_workgroup_id_y 0
		.amdhsa_system_sgpr_workgroup_id_z 0
		.amdhsa_system_sgpr_workgroup_info 0
		.amdhsa_system_vgpr_workitem_id 0
		.amdhsa_next_free_vgpr 8
		.amdhsa_next_free_sgpr 12
		.amdhsa_accum_offset 8
		.amdhsa_reserve_vcc 1
		.amdhsa_float_round_mode_32 0
		.amdhsa_float_round_mode_16_64 0
		.amdhsa_float_denorm_mode_32 3
		.amdhsa_float_denorm_mode_16_64 3
		.amdhsa_dx10_clamp 1
		.amdhsa_ieee_mode 1
		.amdhsa_fp16_overflow 0
		.amdhsa_tg_split 0
		.amdhsa_exception_fp_ieee_invalid_op 0
		.amdhsa_exception_fp_denorm_src 0
		.amdhsa_exception_fp_ieee_div_zero 0
		.amdhsa_exception_fp_ieee_overflow 0
		.amdhsa_exception_fp_ieee_underflow 0
		.amdhsa_exception_fp_ieee_inexact 0
		.amdhsa_exception_int_div_zero 0
	.end_amdhsa_kernel
	.section	.text._ZN2at6native12_GLOBAL__N_136embedding_renorm_wrap_indices_kernelIlEEvPKT_PS3_ll,"axG",@progbits,_ZN2at6native12_GLOBAL__N_136embedding_renorm_wrap_indices_kernelIlEEvPKT_PS3_ll,comdat
.Lfunc_end225:
	.size	_ZN2at6native12_GLOBAL__N_136embedding_renorm_wrap_indices_kernelIlEEvPKT_PS3_ll, .Lfunc_end225-_ZN2at6native12_GLOBAL__N_136embedding_renorm_wrap_indices_kernelIlEEvPKT_PS3_ll
                                        ; -- End function
	.section	.AMDGPU.csdata,"",@progbits
; Kernel info:
; codeLenInByte = 232
; NumSgprs: 18
; NumVgprs: 8
; NumAgprs: 0
; TotalNumVgprs: 8
; ScratchSize: 0
; MemoryBound: 0
; FloatMode: 240
; IeeeMode: 1
; LDSByteSize: 0 bytes/workgroup (compile time only)
; SGPRBlocks: 2
; VGPRBlocks: 0
; NumSGPRsForWavesPerEU: 18
; NumVGPRsForWavesPerEU: 8
; AccumOffset: 8
; Occupancy: 8
; WaveLimiterHint : 0
; COMPUTE_PGM_RSRC2:SCRATCH_EN: 0
; COMPUTE_PGM_RSRC2:USER_SGPR: 2
; COMPUTE_PGM_RSRC2:TRAP_HANDLER: 0
; COMPUTE_PGM_RSRC2:TGID_X_EN: 1
; COMPUTE_PGM_RSRC2:TGID_Y_EN: 0
; COMPUTE_PGM_RSRC2:TGID_Z_EN: 0
; COMPUTE_PGM_RSRC2:TIDIG_COMP_CNT: 0
; COMPUTE_PGM_RSRC3_GFX90A:ACCUM_OFFSET: 1
; COMPUTE_PGM_RSRC3_GFX90A:TG_SPLIT: 0
	.section	.text._ZN7rocprim17ROCPRIM_400000_NS6detail17trampoline_kernelINS0_14default_configENS1_25partition_config_selectorILNS1_17partition_subalgoE8ElNS0_10empty_typeEbEEZZNS1_14partition_implILS5_8ELb0ES3_jPKlPS6_PKS6_NS0_5tupleIJPlS6_EEENSE_IJSB_SB_EEENS0_18inequality_wrapperIN6hipcub16HIPCUB_304000_NS8EqualityEEESF_JS6_EEE10hipError_tPvRmT3_T4_T5_T6_T7_T9_mT8_P12ihipStream_tbDpT10_ENKUlT_T0_E_clISt17integral_constantIbLb0EES16_EEDaS11_S12_EUlS11_E_NS1_11comp_targetILNS1_3genE0ELNS1_11target_archE4294967295ELNS1_3gpuE0ELNS1_3repE0EEENS1_30default_config_static_selectorELNS0_4arch9wavefront6targetE1EEEvT1_,"axG",@progbits,_ZN7rocprim17ROCPRIM_400000_NS6detail17trampoline_kernelINS0_14default_configENS1_25partition_config_selectorILNS1_17partition_subalgoE8ElNS0_10empty_typeEbEEZZNS1_14partition_implILS5_8ELb0ES3_jPKlPS6_PKS6_NS0_5tupleIJPlS6_EEENSE_IJSB_SB_EEENS0_18inequality_wrapperIN6hipcub16HIPCUB_304000_NS8EqualityEEESF_JS6_EEE10hipError_tPvRmT3_T4_T5_T6_T7_T9_mT8_P12ihipStream_tbDpT10_ENKUlT_T0_E_clISt17integral_constantIbLb0EES16_EEDaS11_S12_EUlS11_E_NS1_11comp_targetILNS1_3genE0ELNS1_11target_archE4294967295ELNS1_3gpuE0ELNS1_3repE0EEENS1_30default_config_static_selectorELNS0_4arch9wavefront6targetE1EEEvT1_,comdat
	.protected	_ZN7rocprim17ROCPRIM_400000_NS6detail17trampoline_kernelINS0_14default_configENS1_25partition_config_selectorILNS1_17partition_subalgoE8ElNS0_10empty_typeEbEEZZNS1_14partition_implILS5_8ELb0ES3_jPKlPS6_PKS6_NS0_5tupleIJPlS6_EEENSE_IJSB_SB_EEENS0_18inequality_wrapperIN6hipcub16HIPCUB_304000_NS8EqualityEEESF_JS6_EEE10hipError_tPvRmT3_T4_T5_T6_T7_T9_mT8_P12ihipStream_tbDpT10_ENKUlT_T0_E_clISt17integral_constantIbLb0EES16_EEDaS11_S12_EUlS11_E_NS1_11comp_targetILNS1_3genE0ELNS1_11target_archE4294967295ELNS1_3gpuE0ELNS1_3repE0EEENS1_30default_config_static_selectorELNS0_4arch9wavefront6targetE1EEEvT1_ ; -- Begin function _ZN7rocprim17ROCPRIM_400000_NS6detail17trampoline_kernelINS0_14default_configENS1_25partition_config_selectorILNS1_17partition_subalgoE8ElNS0_10empty_typeEbEEZZNS1_14partition_implILS5_8ELb0ES3_jPKlPS6_PKS6_NS0_5tupleIJPlS6_EEENSE_IJSB_SB_EEENS0_18inequality_wrapperIN6hipcub16HIPCUB_304000_NS8EqualityEEESF_JS6_EEE10hipError_tPvRmT3_T4_T5_T6_T7_T9_mT8_P12ihipStream_tbDpT10_ENKUlT_T0_E_clISt17integral_constantIbLb0EES16_EEDaS11_S12_EUlS11_E_NS1_11comp_targetILNS1_3genE0ELNS1_11target_archE4294967295ELNS1_3gpuE0ELNS1_3repE0EEENS1_30default_config_static_selectorELNS0_4arch9wavefront6targetE1EEEvT1_
	.globl	_ZN7rocprim17ROCPRIM_400000_NS6detail17trampoline_kernelINS0_14default_configENS1_25partition_config_selectorILNS1_17partition_subalgoE8ElNS0_10empty_typeEbEEZZNS1_14partition_implILS5_8ELb0ES3_jPKlPS6_PKS6_NS0_5tupleIJPlS6_EEENSE_IJSB_SB_EEENS0_18inequality_wrapperIN6hipcub16HIPCUB_304000_NS8EqualityEEESF_JS6_EEE10hipError_tPvRmT3_T4_T5_T6_T7_T9_mT8_P12ihipStream_tbDpT10_ENKUlT_T0_E_clISt17integral_constantIbLb0EES16_EEDaS11_S12_EUlS11_E_NS1_11comp_targetILNS1_3genE0ELNS1_11target_archE4294967295ELNS1_3gpuE0ELNS1_3repE0EEENS1_30default_config_static_selectorELNS0_4arch9wavefront6targetE1EEEvT1_
	.p2align	8
	.type	_ZN7rocprim17ROCPRIM_400000_NS6detail17trampoline_kernelINS0_14default_configENS1_25partition_config_selectorILNS1_17partition_subalgoE8ElNS0_10empty_typeEbEEZZNS1_14partition_implILS5_8ELb0ES3_jPKlPS6_PKS6_NS0_5tupleIJPlS6_EEENSE_IJSB_SB_EEENS0_18inequality_wrapperIN6hipcub16HIPCUB_304000_NS8EqualityEEESF_JS6_EEE10hipError_tPvRmT3_T4_T5_T6_T7_T9_mT8_P12ihipStream_tbDpT10_ENKUlT_T0_E_clISt17integral_constantIbLb0EES16_EEDaS11_S12_EUlS11_E_NS1_11comp_targetILNS1_3genE0ELNS1_11target_archE4294967295ELNS1_3gpuE0ELNS1_3repE0EEENS1_30default_config_static_selectorELNS0_4arch9wavefront6targetE1EEEvT1_,@function
_ZN7rocprim17ROCPRIM_400000_NS6detail17trampoline_kernelINS0_14default_configENS1_25partition_config_selectorILNS1_17partition_subalgoE8ElNS0_10empty_typeEbEEZZNS1_14partition_implILS5_8ELb0ES3_jPKlPS6_PKS6_NS0_5tupleIJPlS6_EEENSE_IJSB_SB_EEENS0_18inequality_wrapperIN6hipcub16HIPCUB_304000_NS8EqualityEEESF_JS6_EEE10hipError_tPvRmT3_T4_T5_T6_T7_T9_mT8_P12ihipStream_tbDpT10_ENKUlT_T0_E_clISt17integral_constantIbLb0EES16_EEDaS11_S12_EUlS11_E_NS1_11comp_targetILNS1_3genE0ELNS1_11target_archE4294967295ELNS1_3gpuE0ELNS1_3repE0EEENS1_30default_config_static_selectorELNS0_4arch9wavefront6targetE1EEEvT1_: ; @_ZN7rocprim17ROCPRIM_400000_NS6detail17trampoline_kernelINS0_14default_configENS1_25partition_config_selectorILNS1_17partition_subalgoE8ElNS0_10empty_typeEbEEZZNS1_14partition_implILS5_8ELb0ES3_jPKlPS6_PKS6_NS0_5tupleIJPlS6_EEENSE_IJSB_SB_EEENS0_18inequality_wrapperIN6hipcub16HIPCUB_304000_NS8EqualityEEESF_JS6_EEE10hipError_tPvRmT3_T4_T5_T6_T7_T9_mT8_P12ihipStream_tbDpT10_ENKUlT_T0_E_clISt17integral_constantIbLb0EES16_EEDaS11_S12_EUlS11_E_NS1_11comp_targetILNS1_3genE0ELNS1_11target_archE4294967295ELNS1_3gpuE0ELNS1_3repE0EEENS1_30default_config_static_selectorELNS0_4arch9wavefront6targetE1EEEvT1_
; %bb.0:
	.section	.rodata,"a",@progbits
	.p2align	6, 0x0
	.amdhsa_kernel _ZN7rocprim17ROCPRIM_400000_NS6detail17trampoline_kernelINS0_14default_configENS1_25partition_config_selectorILNS1_17partition_subalgoE8ElNS0_10empty_typeEbEEZZNS1_14partition_implILS5_8ELb0ES3_jPKlPS6_PKS6_NS0_5tupleIJPlS6_EEENSE_IJSB_SB_EEENS0_18inequality_wrapperIN6hipcub16HIPCUB_304000_NS8EqualityEEESF_JS6_EEE10hipError_tPvRmT3_T4_T5_T6_T7_T9_mT8_P12ihipStream_tbDpT10_ENKUlT_T0_E_clISt17integral_constantIbLb0EES16_EEDaS11_S12_EUlS11_E_NS1_11comp_targetILNS1_3genE0ELNS1_11target_archE4294967295ELNS1_3gpuE0ELNS1_3repE0EEENS1_30default_config_static_selectorELNS0_4arch9wavefront6targetE1EEEvT1_
		.amdhsa_group_segment_fixed_size 0
		.amdhsa_private_segment_fixed_size 0
		.amdhsa_kernarg_size 112
		.amdhsa_user_sgpr_count 2
		.amdhsa_user_sgpr_dispatch_ptr 0
		.amdhsa_user_sgpr_queue_ptr 0
		.amdhsa_user_sgpr_kernarg_segment_ptr 1
		.amdhsa_user_sgpr_dispatch_id 0
		.amdhsa_user_sgpr_kernarg_preload_length 0
		.amdhsa_user_sgpr_kernarg_preload_offset 0
		.amdhsa_user_sgpr_private_segment_size 0
		.amdhsa_uses_dynamic_stack 0
		.amdhsa_enable_private_segment 0
		.amdhsa_system_sgpr_workgroup_id_x 1
		.amdhsa_system_sgpr_workgroup_id_y 0
		.amdhsa_system_sgpr_workgroup_id_z 0
		.amdhsa_system_sgpr_workgroup_info 0
		.amdhsa_system_vgpr_workitem_id 0
		.amdhsa_next_free_vgpr 1
		.amdhsa_next_free_sgpr 0
		.amdhsa_accum_offset 4
		.amdhsa_reserve_vcc 0
		.amdhsa_float_round_mode_32 0
		.amdhsa_float_round_mode_16_64 0
		.amdhsa_float_denorm_mode_32 3
		.amdhsa_float_denorm_mode_16_64 3
		.amdhsa_dx10_clamp 1
		.amdhsa_ieee_mode 1
		.amdhsa_fp16_overflow 0
		.amdhsa_tg_split 0
		.amdhsa_exception_fp_ieee_invalid_op 0
		.amdhsa_exception_fp_denorm_src 0
		.amdhsa_exception_fp_ieee_div_zero 0
		.amdhsa_exception_fp_ieee_overflow 0
		.amdhsa_exception_fp_ieee_underflow 0
		.amdhsa_exception_fp_ieee_inexact 0
		.amdhsa_exception_int_div_zero 0
	.end_amdhsa_kernel
	.section	.text._ZN7rocprim17ROCPRIM_400000_NS6detail17trampoline_kernelINS0_14default_configENS1_25partition_config_selectorILNS1_17partition_subalgoE8ElNS0_10empty_typeEbEEZZNS1_14partition_implILS5_8ELb0ES3_jPKlPS6_PKS6_NS0_5tupleIJPlS6_EEENSE_IJSB_SB_EEENS0_18inequality_wrapperIN6hipcub16HIPCUB_304000_NS8EqualityEEESF_JS6_EEE10hipError_tPvRmT3_T4_T5_T6_T7_T9_mT8_P12ihipStream_tbDpT10_ENKUlT_T0_E_clISt17integral_constantIbLb0EES16_EEDaS11_S12_EUlS11_E_NS1_11comp_targetILNS1_3genE0ELNS1_11target_archE4294967295ELNS1_3gpuE0ELNS1_3repE0EEENS1_30default_config_static_selectorELNS0_4arch9wavefront6targetE1EEEvT1_,"axG",@progbits,_ZN7rocprim17ROCPRIM_400000_NS6detail17trampoline_kernelINS0_14default_configENS1_25partition_config_selectorILNS1_17partition_subalgoE8ElNS0_10empty_typeEbEEZZNS1_14partition_implILS5_8ELb0ES3_jPKlPS6_PKS6_NS0_5tupleIJPlS6_EEENSE_IJSB_SB_EEENS0_18inequality_wrapperIN6hipcub16HIPCUB_304000_NS8EqualityEEESF_JS6_EEE10hipError_tPvRmT3_T4_T5_T6_T7_T9_mT8_P12ihipStream_tbDpT10_ENKUlT_T0_E_clISt17integral_constantIbLb0EES16_EEDaS11_S12_EUlS11_E_NS1_11comp_targetILNS1_3genE0ELNS1_11target_archE4294967295ELNS1_3gpuE0ELNS1_3repE0EEENS1_30default_config_static_selectorELNS0_4arch9wavefront6targetE1EEEvT1_,comdat
.Lfunc_end226:
	.size	_ZN7rocprim17ROCPRIM_400000_NS6detail17trampoline_kernelINS0_14default_configENS1_25partition_config_selectorILNS1_17partition_subalgoE8ElNS0_10empty_typeEbEEZZNS1_14partition_implILS5_8ELb0ES3_jPKlPS6_PKS6_NS0_5tupleIJPlS6_EEENSE_IJSB_SB_EEENS0_18inequality_wrapperIN6hipcub16HIPCUB_304000_NS8EqualityEEESF_JS6_EEE10hipError_tPvRmT3_T4_T5_T6_T7_T9_mT8_P12ihipStream_tbDpT10_ENKUlT_T0_E_clISt17integral_constantIbLb0EES16_EEDaS11_S12_EUlS11_E_NS1_11comp_targetILNS1_3genE0ELNS1_11target_archE4294967295ELNS1_3gpuE0ELNS1_3repE0EEENS1_30default_config_static_selectorELNS0_4arch9wavefront6targetE1EEEvT1_, .Lfunc_end226-_ZN7rocprim17ROCPRIM_400000_NS6detail17trampoline_kernelINS0_14default_configENS1_25partition_config_selectorILNS1_17partition_subalgoE8ElNS0_10empty_typeEbEEZZNS1_14partition_implILS5_8ELb0ES3_jPKlPS6_PKS6_NS0_5tupleIJPlS6_EEENSE_IJSB_SB_EEENS0_18inequality_wrapperIN6hipcub16HIPCUB_304000_NS8EqualityEEESF_JS6_EEE10hipError_tPvRmT3_T4_T5_T6_T7_T9_mT8_P12ihipStream_tbDpT10_ENKUlT_T0_E_clISt17integral_constantIbLb0EES16_EEDaS11_S12_EUlS11_E_NS1_11comp_targetILNS1_3genE0ELNS1_11target_archE4294967295ELNS1_3gpuE0ELNS1_3repE0EEENS1_30default_config_static_selectorELNS0_4arch9wavefront6targetE1EEEvT1_
                                        ; -- End function
	.section	.AMDGPU.csdata,"",@progbits
; Kernel info:
; codeLenInByte = 0
; NumSgprs: 6
; NumVgprs: 0
; NumAgprs: 0
; TotalNumVgprs: 0
; ScratchSize: 0
; MemoryBound: 0
; FloatMode: 240
; IeeeMode: 1
; LDSByteSize: 0 bytes/workgroup (compile time only)
; SGPRBlocks: 0
; VGPRBlocks: 0
; NumSGPRsForWavesPerEU: 6
; NumVGPRsForWavesPerEU: 1
; AccumOffset: 4
; Occupancy: 8
; WaveLimiterHint : 0
; COMPUTE_PGM_RSRC2:SCRATCH_EN: 0
; COMPUTE_PGM_RSRC2:USER_SGPR: 2
; COMPUTE_PGM_RSRC2:TRAP_HANDLER: 0
; COMPUTE_PGM_RSRC2:TGID_X_EN: 1
; COMPUTE_PGM_RSRC2:TGID_Y_EN: 0
; COMPUTE_PGM_RSRC2:TGID_Z_EN: 0
; COMPUTE_PGM_RSRC2:TIDIG_COMP_CNT: 0
; COMPUTE_PGM_RSRC3_GFX90A:ACCUM_OFFSET: 0
; COMPUTE_PGM_RSRC3_GFX90A:TG_SPLIT: 0
	.section	.text._ZN7rocprim17ROCPRIM_400000_NS6detail17trampoline_kernelINS0_14default_configENS1_25partition_config_selectorILNS1_17partition_subalgoE8ElNS0_10empty_typeEbEEZZNS1_14partition_implILS5_8ELb0ES3_jPKlPS6_PKS6_NS0_5tupleIJPlS6_EEENSE_IJSB_SB_EEENS0_18inequality_wrapperIN6hipcub16HIPCUB_304000_NS8EqualityEEESF_JS6_EEE10hipError_tPvRmT3_T4_T5_T6_T7_T9_mT8_P12ihipStream_tbDpT10_ENKUlT_T0_E_clISt17integral_constantIbLb0EES16_EEDaS11_S12_EUlS11_E_NS1_11comp_targetILNS1_3genE5ELNS1_11target_archE942ELNS1_3gpuE9ELNS1_3repE0EEENS1_30default_config_static_selectorELNS0_4arch9wavefront6targetE1EEEvT1_,"axG",@progbits,_ZN7rocprim17ROCPRIM_400000_NS6detail17trampoline_kernelINS0_14default_configENS1_25partition_config_selectorILNS1_17partition_subalgoE8ElNS0_10empty_typeEbEEZZNS1_14partition_implILS5_8ELb0ES3_jPKlPS6_PKS6_NS0_5tupleIJPlS6_EEENSE_IJSB_SB_EEENS0_18inequality_wrapperIN6hipcub16HIPCUB_304000_NS8EqualityEEESF_JS6_EEE10hipError_tPvRmT3_T4_T5_T6_T7_T9_mT8_P12ihipStream_tbDpT10_ENKUlT_T0_E_clISt17integral_constantIbLb0EES16_EEDaS11_S12_EUlS11_E_NS1_11comp_targetILNS1_3genE5ELNS1_11target_archE942ELNS1_3gpuE9ELNS1_3repE0EEENS1_30default_config_static_selectorELNS0_4arch9wavefront6targetE1EEEvT1_,comdat
	.protected	_ZN7rocprim17ROCPRIM_400000_NS6detail17trampoline_kernelINS0_14default_configENS1_25partition_config_selectorILNS1_17partition_subalgoE8ElNS0_10empty_typeEbEEZZNS1_14partition_implILS5_8ELb0ES3_jPKlPS6_PKS6_NS0_5tupleIJPlS6_EEENSE_IJSB_SB_EEENS0_18inequality_wrapperIN6hipcub16HIPCUB_304000_NS8EqualityEEESF_JS6_EEE10hipError_tPvRmT3_T4_T5_T6_T7_T9_mT8_P12ihipStream_tbDpT10_ENKUlT_T0_E_clISt17integral_constantIbLb0EES16_EEDaS11_S12_EUlS11_E_NS1_11comp_targetILNS1_3genE5ELNS1_11target_archE942ELNS1_3gpuE9ELNS1_3repE0EEENS1_30default_config_static_selectorELNS0_4arch9wavefront6targetE1EEEvT1_ ; -- Begin function _ZN7rocprim17ROCPRIM_400000_NS6detail17trampoline_kernelINS0_14default_configENS1_25partition_config_selectorILNS1_17partition_subalgoE8ElNS0_10empty_typeEbEEZZNS1_14partition_implILS5_8ELb0ES3_jPKlPS6_PKS6_NS0_5tupleIJPlS6_EEENSE_IJSB_SB_EEENS0_18inequality_wrapperIN6hipcub16HIPCUB_304000_NS8EqualityEEESF_JS6_EEE10hipError_tPvRmT3_T4_T5_T6_T7_T9_mT8_P12ihipStream_tbDpT10_ENKUlT_T0_E_clISt17integral_constantIbLb0EES16_EEDaS11_S12_EUlS11_E_NS1_11comp_targetILNS1_3genE5ELNS1_11target_archE942ELNS1_3gpuE9ELNS1_3repE0EEENS1_30default_config_static_selectorELNS0_4arch9wavefront6targetE1EEEvT1_
	.globl	_ZN7rocprim17ROCPRIM_400000_NS6detail17trampoline_kernelINS0_14default_configENS1_25partition_config_selectorILNS1_17partition_subalgoE8ElNS0_10empty_typeEbEEZZNS1_14partition_implILS5_8ELb0ES3_jPKlPS6_PKS6_NS0_5tupleIJPlS6_EEENSE_IJSB_SB_EEENS0_18inequality_wrapperIN6hipcub16HIPCUB_304000_NS8EqualityEEESF_JS6_EEE10hipError_tPvRmT3_T4_T5_T6_T7_T9_mT8_P12ihipStream_tbDpT10_ENKUlT_T0_E_clISt17integral_constantIbLb0EES16_EEDaS11_S12_EUlS11_E_NS1_11comp_targetILNS1_3genE5ELNS1_11target_archE942ELNS1_3gpuE9ELNS1_3repE0EEENS1_30default_config_static_selectorELNS0_4arch9wavefront6targetE1EEEvT1_
	.p2align	8
	.type	_ZN7rocprim17ROCPRIM_400000_NS6detail17trampoline_kernelINS0_14default_configENS1_25partition_config_selectorILNS1_17partition_subalgoE8ElNS0_10empty_typeEbEEZZNS1_14partition_implILS5_8ELb0ES3_jPKlPS6_PKS6_NS0_5tupleIJPlS6_EEENSE_IJSB_SB_EEENS0_18inequality_wrapperIN6hipcub16HIPCUB_304000_NS8EqualityEEESF_JS6_EEE10hipError_tPvRmT3_T4_T5_T6_T7_T9_mT8_P12ihipStream_tbDpT10_ENKUlT_T0_E_clISt17integral_constantIbLb0EES16_EEDaS11_S12_EUlS11_E_NS1_11comp_targetILNS1_3genE5ELNS1_11target_archE942ELNS1_3gpuE9ELNS1_3repE0EEENS1_30default_config_static_selectorELNS0_4arch9wavefront6targetE1EEEvT1_,@function
_ZN7rocprim17ROCPRIM_400000_NS6detail17trampoline_kernelINS0_14default_configENS1_25partition_config_selectorILNS1_17partition_subalgoE8ElNS0_10empty_typeEbEEZZNS1_14partition_implILS5_8ELb0ES3_jPKlPS6_PKS6_NS0_5tupleIJPlS6_EEENSE_IJSB_SB_EEENS0_18inequality_wrapperIN6hipcub16HIPCUB_304000_NS8EqualityEEESF_JS6_EEE10hipError_tPvRmT3_T4_T5_T6_T7_T9_mT8_P12ihipStream_tbDpT10_ENKUlT_T0_E_clISt17integral_constantIbLb0EES16_EEDaS11_S12_EUlS11_E_NS1_11comp_targetILNS1_3genE5ELNS1_11target_archE942ELNS1_3gpuE9ELNS1_3repE0EEENS1_30default_config_static_selectorELNS0_4arch9wavefront6targetE1EEEvT1_: ; @_ZN7rocprim17ROCPRIM_400000_NS6detail17trampoline_kernelINS0_14default_configENS1_25partition_config_selectorILNS1_17partition_subalgoE8ElNS0_10empty_typeEbEEZZNS1_14partition_implILS5_8ELb0ES3_jPKlPS6_PKS6_NS0_5tupleIJPlS6_EEENSE_IJSB_SB_EEENS0_18inequality_wrapperIN6hipcub16HIPCUB_304000_NS8EqualityEEESF_JS6_EEE10hipError_tPvRmT3_T4_T5_T6_T7_T9_mT8_P12ihipStream_tbDpT10_ENKUlT_T0_E_clISt17integral_constantIbLb0EES16_EEDaS11_S12_EUlS11_E_NS1_11comp_targetILNS1_3genE5ELNS1_11target_archE942ELNS1_3gpuE9ELNS1_3repE0EEENS1_30default_config_static_selectorELNS0_4arch9wavefront6targetE1EEEvT1_
; %bb.0:
	s_load_dwordx2 s[8:9], s[0:1], 0x50
	s_load_dwordx4 s[4:7], s[0:1], 0x8
	s_load_dwordx4 s[20:23], s[0:1], 0x40
	s_load_dword s3, s[0:1], 0x68
	s_waitcnt lgkmcnt(0)
	v_mov_b32_e32 v3, s9
	s_lshl_b64 s[10:11], s[6:7], 3
	s_add_u32 s10, s4, s10
	s_mul_i32 s9, s3, 0xe00
	s_addc_u32 s11, s5, s11
	s_add_i32 s12, s3, -1
	s_add_i32 s3, s9, s6
	s_sub_i32 s3, s8, s3
	v_mov_b32_e32 v2, s8
	s_add_u32 s8, s6, s9
	s_addc_u32 s9, s7, 0
	s_cmp_eq_u32 s2, s12
	s_load_dwordx2 s[22:23], s[22:23], 0x0
	v_cmp_ge_u64_e32 vcc, s[8:9], v[2:3]
	s_cselect_b64 s[24:25], -1, 0
	s_mul_i32 s4, s2, 0xe00
	s_mov_b32 s5, 0
	s_and_b64 s[16:17], s[24:25], vcc
	s_xor_b64 s[26:27], s[16:17], -1
	s_lshl_b64 s[4:5], s[4:5], 3
	s_add_u32 s4, s10, s4
	s_mov_b64 s[8:9], -1
	s_addc_u32 s5, s11, s5
	s_and_b64 vcc, exec, s[26:27]
	s_cbranch_vccz .LBB227_2
; %bb.1:
	v_lshlrev_b32_e32 v2, 3, v0
	v_mov_b32_e32 v3, 0
	v_lshl_add_u64 v[4:5], s[4:5], 0, v[2:3]
	v_add_co_u32_e32 v8, vcc, 0x1000, v4
	global_load_dwordx2 v[6:7], v2, s[4:5]
	s_nop 0
	v_addc_co_u32_e32 v9, vcc, 0, v5, vcc
	v_add_co_u32_e32 v10, vcc, 0x2000, v4
	s_mov_b64 s[8:9], 0
	s_nop 0
	v_addc_co_u32_e32 v11, vcc, 0, v5, vcc
	v_add_co_u32_e32 v12, vcc, 0x3000, v4
	s_nop 1
	v_addc_co_u32_e32 v13, vcc, 0, v5, vcc
	v_add_co_u32_e32 v14, vcc, 0x4000, v4
	s_nop 1
	v_addc_co_u32_e32 v15, vcc, 0, v5, vcc
	global_load_dwordx2 v[16:17], v[8:9], off
	global_load_dwordx2 v[18:19], v[10:11], off
	;; [unrolled: 1-line block ×4, first 2 shown]
	v_add_co_u32_e32 v8, vcc, 0x5000, v4
	s_nop 1
	v_addc_co_u32_e32 v9, vcc, 0, v5, vcc
	v_add_co_u32_e32 v4, vcc, 0x6000, v4
	global_load_dwordx2 v[8:9], v[8:9], off
	s_nop 0
	v_addc_co_u32_e32 v5, vcc, 0, v5, vcc
	global_load_dwordx2 v[4:5], v[4:5], off
	s_waitcnt vmcnt(5)
	ds_write2st64_b64 v2, v[6:7], v[16:17] offset1:8
	s_waitcnt vmcnt(3)
	ds_write2st64_b64 v2, v[18:19], v[20:21] offset0:16 offset1:24
	s_waitcnt vmcnt(1)
	ds_write2st64_b64 v2, v[22:23], v[8:9] offset0:32 offset1:40
	s_waitcnt vmcnt(0)
	ds_write_b64 v2, v[4:5] offset:24576
	s_waitcnt lgkmcnt(0)
	s_barrier
.LBB227_2:
	s_andn2_b64 vcc, exec, s[8:9]
	s_addk_i32 s3, 0xe00
	s_cbranch_vccnz .LBB227_18
; %bb.3:
	v_cmp_gt_u32_e32 vcc, s3, v0
                                        ; implicit-def: $vgpr2_vgpr3_vgpr4_vgpr5_vgpr6_vgpr7_vgpr8_vgpr9_vgpr10_vgpr11_vgpr12_vgpr13_vgpr14_vgpr15_vgpr16_vgpr17
	s_and_saveexec_b64 s[8:9], vcc
	s_cbranch_execz .LBB227_5
; %bb.4:
	v_lshlrev_b32_e32 v1, 3, v0
	global_load_dwordx2 v[2:3], v1, s[4:5]
.LBB227_5:
	s_or_b64 exec, exec, s[8:9]
	v_or_b32_e32 v1, 0x200, v0
	v_cmp_gt_u32_e32 vcc, s3, v1
	s_and_saveexec_b64 s[8:9], vcc
	s_cbranch_execz .LBB227_7
; %bb.6:
	v_lshlrev_b32_e32 v1, 3, v1
	global_load_dwordx2 v[4:5], v1, s[4:5]
.LBB227_7:
	s_or_b64 exec, exec, s[8:9]
	v_or_b32_e32 v1, 0x400, v0
	v_cmp_gt_u32_e32 vcc, s3, v1
	;; [unrolled: 9-line block ×6, first 2 shown]
	s_and_saveexec_b64 s[8:9], vcc
	s_cbranch_execz .LBB227_17
; %bb.16:
	v_lshlrev_b32_e32 v1, 3, v1
	global_load_dwordx2 v[14:15], v1, s[4:5]
.LBB227_17:
	s_or_b64 exec, exec, s[8:9]
	v_lshlrev_b32_e32 v1, 3, v0
	s_waitcnt vmcnt(0)
	ds_write2st64_b64 v1, v[2:3], v[4:5] offset1:8
	ds_write2st64_b64 v1, v[6:7], v[8:9] offset0:16 offset1:24
	ds_write2st64_b64 v1, v[10:11], v[12:13] offset0:32 offset1:40
	ds_write_b64 v1, v[14:15] offset:24576
	s_waitcnt lgkmcnt(0)
	s_barrier
.LBB227_18:
	v_mul_u32_u24_e32 v18, 7, v0
	v_lshlrev_b32_e32 v1, 3, v18
	s_waitcnt lgkmcnt(0)
	ds_read2_b64 v[10:13], v1 offset1:1
	ds_read2_b64 v[6:9], v1 offset0:2 offset1:3
	ds_read2_b64 v[2:5], v1 offset0:4 offset1:5
	ds_read_b64 v[14:15], v1 offset:48
	s_cmp_lg_u32 s2, 0
	s_cselect_b64 s[30:31], -1, 0
	s_cmp_lg_u64 s[6:7], 0
	s_cselect_b64 s[6:7], -1, 0
	s_or_b64 s[6:7], s[30:31], s[6:7]
	v_mad_u32_u24 v20, v0, 7, 1
	v_mad_u32_u24 v19, v0, 7, 2
	;; [unrolled: 1-line block ×6, first 2 shown]
	s_mov_b64 s[18:19], 0
	s_and_b64 vcc, exec, s[6:7]
	s_waitcnt lgkmcnt(0)
	s_barrier
	s_cbranch_vccz .LBB227_23
; %bb.19:
	s_add_u32 s4, s4, -8
	s_addc_u32 s5, s5, -1
	s_load_dwordx2 s[6:7], s[4:5], 0x0
	v_lshlrev_b32_e32 v29, 3, v0
	s_and_b64 vcc, exec, s[26:27]
	ds_write_b64 v29, v[14:15]
	s_cbranch_vccz .LBB227_25
; %bb.20:
	v_cmp_ne_u32_e32 vcc, 0, v0
	s_waitcnt lgkmcnt(0)
	v_mov_b64_e32 v[16:17], s[6:7]
	s_barrier
	s_and_saveexec_b64 s[4:5], vcc
	s_cbranch_execz .LBB227_22
; %bb.21:
	v_add_u32_e32 v16, -8, v29
	ds_read_b64 v[16:17], v16
.LBB227_22:
	s_or_b64 exec, exec, s[4:5]
	v_cmp_ne_u64_e32 vcc, v[4:5], v[14:15]
	s_waitcnt lgkmcnt(0)
	v_cmp_ne_u64_e64 s[4:5], v[16:17], v[10:11]
	v_cndmask_b32_e64 v27, 0, 1, vcc
	v_cmp_ne_u64_e32 vcc, v[2:3], v[4:5]
	s_nop 1
	v_cndmask_b32_e64 v25, 0, 1, vcc
	v_cmp_ne_u64_e32 vcc, v[8:9], v[2:3]
	s_nop 1
	;; [unrolled: 3-line block ×3, first 2 shown]
	v_cndmask_b32_e64 v28, 0, 1, vcc
	v_cmp_ne_u64_e32 vcc, v[12:13], v[6:7]
	v_lshlrev_b16_e32 v16, 8, v28
	s_nop 0
	v_cndmask_b32_e64 v30, 0, 1, vcc
	v_cmp_ne_u64_e32 vcc, v[10:11], v[12:13]
	v_or_b32_sdwa v16, v30, v16 dst_sel:WORD_1 dst_unused:UNUSED_PAD src0_sel:DWORD src1_sel:DWORD
	s_nop 0
	v_cndmask_b32_e64 v31, 0, 1, vcc
	v_lshlrev_b16_e32 v17, 8, v31
	v_or_b32_e32 v28, v17, v16
	s_branch .LBB227_29
.LBB227_23:
                                        ; implicit-def: $sgpr4_sgpr5
                                        ; implicit-def: $vgpr27
                                        ; implicit-def: $vgpr25
                                        ; implicit-def: $vgpr26
                                        ; implicit-def: $vgpr28
	s_branch .LBB227_30
.LBB227_24:
                                        ; implicit-def: $vgpr16_vgpr17
	s_and_saveexec_b64 s[6:7], s[18:19]
	s_cbranch_execnz .LBB227_38
	s_branch .LBB227_39
.LBB227_25:
                                        ; implicit-def: $sgpr4_sgpr5
                                        ; implicit-def: $vgpr27
                                        ; implicit-def: $vgpr25
                                        ; implicit-def: $vgpr26
                                        ; implicit-def: $vgpr28
	s_cbranch_execz .LBB227_29
; %bb.26:
	v_cmp_ne_u32_e32 vcc, 0, v0
	s_waitcnt lgkmcnt(0)
	v_mov_b64_e32 v[16:17], s[6:7]
	s_barrier
	s_and_saveexec_b64 s[4:5], vcc
	s_cbranch_execz .LBB227_28
; %bb.27:
	v_add_u32_e32 v16, -8, v29
	ds_read_b64 v[16:17], v16
.LBB227_28:
	s_or_b64 exec, exec, s[4:5]
	v_cmp_gt_u32_e32 vcc, s3, v22
	v_cmp_ne_u64_e64 s[4:5], v[4:5], v[14:15]
	s_and_b64 s[4:5], vcc, s[4:5]
	v_cmp_gt_u32_e32 vcc, s3, v24
	v_cndmask_b32_e64 v27, 0, 1, s[4:5]
	v_cmp_ne_u64_e64 s[4:5], v[2:3], v[4:5]
	s_and_b64 s[4:5], vcc, s[4:5]
	v_cmp_gt_u32_e32 vcc, s3, v21
	v_cndmask_b32_e64 v25, 0, 1, s[4:5]
	;; [unrolled: 4-line block ×6, first 2 shown]
	s_waitcnt lgkmcnt(0)
	v_cmp_ne_u64_e64 s[4:5], v[16:17], v[10:11]
	v_lshlrev_b16_e32 v16, 8, v28
	v_or_b32_sdwa v16, v29, v16 dst_sel:WORD_1 dst_unused:UNUSED_PAD src0_sel:DWORD src1_sel:DWORD
	v_lshlrev_b16_e32 v17, 8, v30
	s_and_b64 s[4:5], vcc, s[4:5]
	v_or_b32_e32 v28, v17, v16
.LBB227_29:
	s_waitcnt lgkmcnt(0)
	s_mov_b64 s[18:19], -1
	s_cbranch_execnz .LBB227_24
.LBB227_30:
	s_movk_i32 s4, 0xffd0
	v_mad_i32_i24 v29, v0, s4, v1
	s_and_b64 vcc, exec, s[26:27]
	v_cmp_ne_u64_e64 s[14:15], v[4:5], v[14:15]
	v_cmp_ne_u64_e64 s[4:5], v[2:3], v[4:5]
	;; [unrolled: 1-line block ×6, first 2 shown]
	ds_write_b64 v29, v[14:15]
	s_cbranch_vccz .LBB227_34
; %bb.31:
	v_cndmask_b32_e64 v25, 0, 1, s[4:5]
	v_cndmask_b32_e64 v16, 0, 1, s[8:9]
	;; [unrolled: 1-line block ×5, first 2 shown]
	v_lshlrev_b16_e32 v17, 8, v25
	v_lshlrev_b16_e32 v16, 8, v16
	v_or_b32_e32 v17, v26, v17
	v_or_b32_sdwa v16, v28, v16 dst_sel:WORD_1 dst_unused:UNUSED_PAD src0_sel:DWORD src1_sel:DWORD
	v_lshlrev_b16_e32 v28, 8, v30
	v_and_b32_e32 v17, 0xffff, v17
	v_cndmask_b32_e64 v27, 0, 1, s[14:15]
	v_or_b32_e32 v28, 1, v28
	v_lshl_or_b32 v17, v27, 16, v17
	v_or_b32_sdwa v16, v28, v16 dst_sel:DWORD dst_unused:UNUSED_PAD src0_sel:WORD_0 src1_sel:DWORD
	v_cmp_ne_u32_e32 vcc, 0, v0
	s_waitcnt lgkmcnt(0)
	s_barrier
	s_waitcnt lgkmcnt(0)
                                        ; implicit-def: $sgpr4_sgpr5
                                        ; implicit-def: $vgpr28
	s_and_saveexec_b64 s[6:7], vcc
	s_xor_b64 s[6:7], exec, s[6:7]
	s_cbranch_execz .LBB227_33
; %bb.32:
	v_add_u32_e32 v17, -8, v29
	ds_read_b64 v[30:31], v17
	s_mov_b32 s4, 0x3020104
	v_perm_b32 v28, v16, v16, s4
	s_or_b64 s[18:19], s[18:19], exec
                                        ; implicit-def: $vgpr16_vgpr17
	s_waitcnt lgkmcnt(0)
	v_cmp_ne_u64_e32 vcc, v[30:31], v[10:11]
	s_and_b64 s[4:5], vcc, exec
.LBB227_33:
	s_or_b64 exec, exec, s[6:7]
	s_branch .LBB227_37
.LBB227_34:
                                        ; implicit-def: $sgpr4_sgpr5
                                        ; implicit-def: $vgpr27
                                        ; implicit-def: $vgpr25
                                        ; implicit-def: $vgpr26
                                        ; implicit-def: $vgpr28
                                        ; implicit-def: $vgpr16_vgpr17
	s_cbranch_execz .LBB227_37
; %bb.35:
	v_cmp_gt_u32_e64 s[6:7], s3, v24
	v_cmp_ne_u64_e64 s[8:9], v[2:3], v[4:5]
	s_and_b64 s[6:7], s[6:7], s[8:9]
	v_cndmask_b32_e64 v25, 0, 1, s[6:7]
	v_cmp_gt_u32_e64 s[6:7], s3, v21
	v_cmp_ne_u64_e64 s[8:9], v[8:9], v[2:3]
	s_and_b64 s[6:7], s[6:7], s[8:9]
	v_cndmask_b32_e64 v26, 0, 1, s[6:7]
	;; [unrolled: 4-line block ×4, first 2 shown]
	v_cmp_gt_u32_e64 s[6:7], s3, v20
	v_cmp_ne_u64_e64 s[8:9], v[10:11], v[12:13]
	s_and_b64 s[6:7], s[6:7], s[8:9]
	v_cmp_gt_u32_e32 vcc, s3, v22
	v_cmp_ne_u64_e64 s[4:5], v[4:5], v[14:15]
	v_cndmask_b32_e64 v30, 0, 1, s[6:7]
	v_lshlrev_b16_e32 v17, 8, v25
	v_lshlrev_b16_e32 v16, 8, v16
	v_or_b32_e32 v17, v26, v17
	s_and_b64 s[4:5], vcc, s[4:5]
	v_or_b32_sdwa v16, v28, v16 dst_sel:WORD_1 dst_unused:UNUSED_PAD src0_sel:DWORD src1_sel:DWORD
	v_lshlrev_b16_e32 v28, 8, v30
	v_and_b32_e32 v17, 0xffff, v17
	v_cndmask_b32_e64 v27, 0, 1, s[4:5]
	v_or_b32_e32 v28, 1, v28
	v_lshl_or_b32 v17, v27, 16, v17
	v_or_b32_sdwa v16, v28, v16 dst_sel:DWORD dst_unused:UNUSED_PAD src0_sel:WORD_0 src1_sel:DWORD
	v_cmp_ne_u32_e32 vcc, 0, v0
	s_waitcnt lgkmcnt(0)
	s_barrier
	s_waitcnt lgkmcnt(0)
                                        ; implicit-def: $sgpr4_sgpr5
                                        ; implicit-def: $vgpr28
	s_and_saveexec_b64 s[6:7], vcc
	s_cbranch_execz .LBB227_123
; %bb.36:
	v_add_u32_e32 v17, -8, v29
	ds_read_b64 v[30:31], v17
	s_mov_b32 s4, 0x3020104
	v_cmp_gt_u32_e32 vcc, s3, v18
	v_perm_b32 v28, v16, v16, s4
	s_or_b64 s[18:19], s[18:19], exec
	s_waitcnt lgkmcnt(0)
	v_cmp_ne_u64_e64 s[4:5], v[30:31], v[10:11]
	s_and_b64 s[4:5], vcc, s[4:5]
	s_and_b64 s[4:5], s[4:5], exec
                                        ; implicit-def: $vgpr16_vgpr17
	s_or_b64 exec, exec, s[6:7]
.LBB227_37:
	s_and_saveexec_b64 s[6:7], s[18:19]
	s_cbranch_execz .LBB227_39
.LBB227_38:
	v_lshlrev_b16_e32 v17, 8, v25
	v_and_b32_e32 v25, 0xff, v27
	v_or_b32_sdwa v17, v26, v17 dst_sel:DWORD dst_unused:UNUSED_PAD src0_sel:BYTE_0 src1_sel:DWORD
	v_lshlrev_b32_e32 v25, 16, v25
	v_cndmask_b32_e64 v16, 0, 1, s[4:5]
	s_movk_i32 s4, 0xff
	v_or_b32_sdwa v17, v17, v25 dst_sel:DWORD dst_unused:UNUSED_PAD src0_sel:WORD_0 src1_sel:DWORD
	v_lshrrev_b32_e32 v25, 24, v28
	v_lshlrev_b16_e32 v25, 8, v25
	v_and_b32_sdwa v26, v28, s4 dst_sel:DWORD dst_unused:UNUSED_PAD src0_sel:WORD_1 src1_sel:DWORD
	v_or_b32_sdwa v25, v26, v25 dst_sel:WORD_1 dst_unused:UNUSED_PAD src0_sel:DWORD src1_sel:DWORD
	v_mov_b32_e32 v26, 8
	v_lshrrev_b32_sdwa v26, v26, v28 dst_sel:BYTE_1 dst_unused:UNUSED_PAD src0_sel:DWORD src1_sel:DWORD
	s_nop 0
	v_or_b32_e32 v16, v16, v26
	v_or_b32_sdwa v16, v16, v25 dst_sel:DWORD dst_unused:UNUSED_PAD src0_sel:WORD_0 src1_sel:DWORD
.LBB227_39:
	s_or_b64 exec, exec, s[6:7]
	s_load_dwordx2 s[28:29], s[0:1], 0x60
	s_andn2_b64 vcc, exec, s[16:17]
	s_cbranch_vccnz .LBB227_41
; %bb.40:
	v_and_b32_e32 v25, 0xffff0000, v16
	v_cmp_gt_u32_e32 vcc, s3, v18
	s_mov_b32 s4, 0x40c0100
	s_nop 0
	v_cndmask_b32_e32 v18, v25, v16, vcc
	v_and_b32_e32 v18, 0xffff00ff, v18
	v_cmp_gt_u32_e32 vcc, s3, v20
	s_nop 1
	v_cndmask_b32_e32 v18, v18, v16, vcc
	v_lshrrev_b32_e32 v20, 24, v18
	v_perm_b32 v18, v20, v18, s4
	v_cmp_gt_u32_e32 vcc, s3, v19
	v_and_b32_e32 v19, 0xffffff00, v17
	s_nop 0
	v_cndmask_b32_e32 v18, v18, v16, vcc
	v_and_b32_e32 v18, 0xffffff, v18
	v_cmp_gt_u32_e32 vcc, s3, v23
	s_nop 1
	v_cndmask_b32_e32 v18, v18, v16, vcc
	v_cmp_gt_u32_e32 vcc, s3, v21
	s_nop 1
	v_cndmask_b32_e32 v19, v19, v17, vcc
	v_and_b32_e32 v19, 0xffff00ff, v19
	v_cndmask_b32_e32 v18, v18, v16, vcc
	v_cmp_gt_u32_e32 vcc, s3, v24
	s_nop 1
	v_cndmask_b32_e32 v19, v19, v17, vcc
	v_lshrrev_b32_e32 v20, 24, v19
	v_cndmask_b32_e32 v18, v18, v16, vcc
	v_perm_b32 v19, v20, v19, s4
	v_cmp_gt_u32_e32 vcc, s3, v22
	s_mov_b32 s3, 0x3020104
	s_nop 0
	v_cndmask_b32_e32 v16, v18, v16, vcc
	v_cndmask_b32_e32 v17, v19, v17, vcc
	v_mov_b32_e32 v18, 8
	v_lshrrev_b32_sdwa v18, v18, v17 dst_sel:BYTE_1 dst_unused:UNUSED_PAD src0_sel:DWORD src1_sel:DWORD
	v_perm_b32 v16, v16, v16, s3
	v_or_b32_sdwa v18, v17, v18 dst_sel:DWORD dst_unused:UNUSED_PAD src0_sel:BYTE_0 src1_sel:DWORD
	v_and_b32_e32 v18, 0xffff, v18
	v_bfe_u32 v17, v17, 16, 8
	v_lshl_or_b32 v17, v17, 16, v18
.LBB227_41:
	v_and_b32_e32 v29, 0xff, v16
	v_bfe_u32 v31, v16, 8, 8
	v_bfe_u32 v33, v16, 16, 8
	v_alignbit_b32 v18, v17, v16, 24
	v_and_b32_e32 v35, 0xff, v18
	v_and_b32_e32 v36, 0xff, v17
	v_add3_u32 v19, v31, v29, v33
	v_bfe_u32 v37, v17, 8, 8
	v_bfe_u32 v18, v17, 16, 8
	v_add3_u32 v19, v19, v35, v36
	v_add3_u32 v40, v19, v37, v18
	v_mbcnt_lo_u32_b32 v18, -1, 0
	v_mbcnt_hi_u32_b32 v38, -1, v18
	v_and_b32_e32 v18, 15, v38
	v_cmp_eq_u32_e64 s[14:15], 0, v18
	v_cmp_lt_u32_e64 s[12:13], 1, v18
	v_cmp_lt_u32_e64 s[10:11], 3, v18
	;; [unrolled: 1-line block ×3, first 2 shown]
	v_and_b32_e32 v18, 16, v38
	v_cmp_eq_u32_e64 s[6:7], 0, v18
	v_or_b32_e32 v18, 63, v0
	v_cmp_lt_u32_e64 s[18:19], 31, v38
	v_lshrrev_b32_e32 v39, 6, v0
	v_cmp_eq_u32_e64 s[4:5], v18, v0
	s_and_b64 vcc, exec, s[30:31]
	s_waitcnt lgkmcnt(0)
	s_barrier
	s_cbranch_vccz .LBB227_68
; %bb.42:
	v_mov_b32_dpp v18, v40 row_shr:1 row_mask:0xf bank_mask:0xf
	v_cndmask_b32_e64 v18, v18, 0, s[14:15]
	v_add_u32_e32 v18, v18, v40
	s_nop 1
	v_mov_b32_dpp v19, v18 row_shr:2 row_mask:0xf bank_mask:0xf
	v_cndmask_b32_e64 v19, 0, v19, s[12:13]
	v_add_u32_e32 v18, v18, v19
	s_nop 1
	v_mov_b32_dpp v19, v18 row_shr:4 row_mask:0xf bank_mask:0xf
	v_cndmask_b32_e64 v19, 0, v19, s[10:11]
	v_add_u32_e32 v18, v18, v19
	s_nop 1
	v_mov_b32_dpp v19, v18 row_shr:8 row_mask:0xf bank_mask:0xf
	v_cndmask_b32_e64 v19, 0, v19, s[8:9]
	v_add_u32_e32 v18, v18, v19
	s_nop 1
	v_mov_b32_dpp v19, v18 row_bcast:15 row_mask:0xf bank_mask:0xf
	v_cndmask_b32_e64 v19, v19, 0, s[6:7]
	v_add_u32_e32 v18, v18, v19
	s_nop 1
	v_mov_b32_dpp v19, v18 row_bcast:31 row_mask:0xf bank_mask:0xf
	v_cndmask_b32_e64 v19, 0, v19, s[18:19]
	v_add_u32_e32 v18, v18, v19
	s_and_saveexec_b64 s[16:17], s[4:5]
	s_cbranch_execz .LBB227_44
; %bb.43:
	v_lshlrev_b32_e32 v19, 2, v39
	ds_write_b32 v19, v18
.LBB227_44:
	s_or_b64 exec, exec, s[16:17]
	v_cmp_gt_u32_e32 vcc, 8, v0
	s_waitcnt lgkmcnt(0)
	s_barrier
	s_and_saveexec_b64 s[16:17], vcc
	s_cbranch_execz .LBB227_46
; %bb.45:
	v_lshlrev_b32_e32 v19, 2, v0
	ds_read_b32 v20, v19
	v_and_b32_e32 v21, 7, v38
	v_cmp_ne_u32_e32 vcc, 0, v21
	s_waitcnt lgkmcnt(0)
	v_mov_b32_dpp v22, v20 row_shr:1 row_mask:0xf bank_mask:0xf
	v_cndmask_b32_e32 v22, 0, v22, vcc
	v_add_u32_e32 v20, v22, v20
	v_cmp_lt_u32_e32 vcc, 1, v21
	s_nop 0
	v_mov_b32_dpp v22, v20 row_shr:2 row_mask:0xf bank_mask:0xf
	v_cndmask_b32_e32 v22, 0, v22, vcc
	v_add_u32_e32 v20, v20, v22
	v_cmp_lt_u32_e32 vcc, 3, v21
	s_nop 0
	v_mov_b32_dpp v22, v20 row_shr:4 row_mask:0xf bank_mask:0xf
	v_cndmask_b32_e32 v21, 0, v22, vcc
	v_add_u32_e32 v20, v20, v21
	ds_write_b32 v19, v20
.LBB227_46:
	s_or_b64 exec, exec, s[16:17]
	v_cmp_gt_u32_e32 vcc, 64, v0
	v_cmp_lt_u32_e64 s[16:17], 63, v0
	s_waitcnt lgkmcnt(0)
	s_barrier
	s_waitcnt lgkmcnt(0)
                                        ; implicit-def: $vgpr28
	s_and_saveexec_b64 s[30:31], s[16:17]
	s_cbranch_execz .LBB227_48
; %bb.47:
	v_lshl_add_u32 v19, v39, 2, -4
	ds_read_b32 v28, v19
	s_waitcnt lgkmcnt(0)
	v_add_u32_e32 v18, v28, v18
.LBB227_48:
	s_or_b64 exec, exec, s[30:31]
	v_add_u32_e32 v19, -1, v38
	v_and_b32_e32 v20, 64, v38
	v_cmp_lt_i32_e64 s[16:17], v19, v20
	s_nop 1
	v_cndmask_b32_e64 v19, v19, v38, s[16:17]
	v_lshlrev_b32_e32 v19, 2, v19
	ds_bpermute_b32 v30, v19, v18
	v_cmp_eq_u32_e64 s[16:17], 0, v38
	s_and_saveexec_b64 s[30:31], vcc
	s_cbranch_execz .LBB227_67
; %bb.49:
	v_mov_b32_e32 v25, 0
	ds_read_b32 v18, v25 offset:28
	s_and_saveexec_b64 s[34:35], s[16:17]
	s_cbranch_execz .LBB227_51
; %bb.50:
	s_add_i32 s36, s2, 64
	s_mov_b32 s37, 0
	s_lshl_b64 s[36:37], s[36:37], 3
	s_add_u32 s36, s28, s36
	v_mov_b32_e32 v19, 1
	s_addc_u32 s37, s29, s37
	s_waitcnt lgkmcnt(0)
	global_store_dwordx2 v25, v[18:19], s[36:37] sc1
.LBB227_51:
	s_or_b64 exec, exec, s[34:35]
	v_xad_u32 v20, v38, -1, s2
	v_add_u32_e32 v24, 64, v20
	v_lshl_add_u64 v[26:27], v[24:25], 3, s[28:29]
	global_load_dwordx2 v[22:23], v[26:27], off sc1
	s_waitcnt vmcnt(0)
	v_cmp_eq_u16_sdwa s[36:37], v23, v25 src0_sel:BYTE_0 src1_sel:DWORD
	s_and_saveexec_b64 s[34:35], s[36:37]
	s_cbranch_execz .LBB227_55
; %bb.52:
	s_mov_b64 s[36:37], 0
	v_mov_b32_e32 v19, 0
.LBB227_53:                             ; =>This Inner Loop Header: Depth=1
	global_load_dwordx2 v[22:23], v[26:27], off sc1
	s_waitcnt vmcnt(0)
	v_cmp_ne_u16_sdwa s[38:39], v23, v19 src0_sel:BYTE_0 src1_sel:DWORD
	s_or_b64 s[36:37], s[38:39], s[36:37]
	s_andn2_b64 exec, exec, s[36:37]
	s_cbranch_execnz .LBB227_53
; %bb.54:
	s_or_b64 exec, exec, s[36:37]
.LBB227_55:
	s_or_b64 exec, exec, s[34:35]
	v_and_b32_e32 v34, 63, v38
	v_mov_b32_e32 v32, 2
	v_cmp_ne_u32_e32 vcc, 63, v34
	v_cmp_eq_u16_sdwa s[34:35], v23, v32 src0_sel:BYTE_0 src1_sel:DWORD
	v_lshlrev_b64 v[24:25], v38, -1
	v_addc_co_u32_e32 v26, vcc, 0, v38, vcc
	v_and_b32_e32 v19, s35, v25
	v_lshlrev_b32_e32 v41, 2, v26
	v_or_b32_e32 v19, 0x80000000, v19
	ds_bpermute_b32 v26, v41, v22
	v_and_b32_e32 v21, s34, v24
	v_ffbl_b32_e32 v19, v19
	v_add_u32_e32 v19, 32, v19
	v_ffbl_b32_e32 v21, v21
	v_min_u32_e32 v19, v21, v19
	v_cmp_lt_u32_e32 vcc, v34, v19
	v_add_u32_e32 v43, 2, v34
	v_add_u32_e32 v45, 4, v34
	s_waitcnt lgkmcnt(0)
	v_cndmask_b32_e32 v21, 0, v26, vcc
	v_cmp_gt_u32_e32 vcc, 62, v34
	v_add_u32_e32 v21, v21, v22
	v_add_u32_e32 v47, 8, v34
	v_cndmask_b32_e64 v22, 0, 1, vcc
	v_lshlrev_b32_e32 v22, 1, v22
	v_add_lshl_u32 v42, v22, v38, 2
	ds_bpermute_b32 v22, v42, v21
	v_cmp_le_u32_e32 vcc, v43, v19
	v_add_u32_e32 v49, 16, v34
	v_add_u32_e32 v51, 32, v34
	s_waitcnt lgkmcnt(0)
	v_cndmask_b32_e32 v22, 0, v22, vcc
	v_cmp_gt_u32_e32 vcc, 60, v34
	v_add_u32_e32 v21, v21, v22
	s_nop 0
	v_cndmask_b32_e64 v22, 0, 1, vcc
	v_lshlrev_b32_e32 v22, 2, v22
	v_add_lshl_u32 v44, v22, v38, 2
	ds_bpermute_b32 v22, v44, v21
	v_cmp_le_u32_e32 vcc, v45, v19
	s_waitcnt lgkmcnt(0)
	s_nop 0
	v_cndmask_b32_e32 v22, 0, v22, vcc
	v_cmp_gt_u32_e32 vcc, 56, v34
	v_add_u32_e32 v21, v21, v22
	s_nop 0
	v_cndmask_b32_e64 v22, 0, 1, vcc
	v_lshlrev_b32_e32 v22, 3, v22
	v_add_lshl_u32 v46, v22, v38, 2
	ds_bpermute_b32 v22, v46, v21
	v_cmp_le_u32_e32 vcc, v47, v19
	s_waitcnt lgkmcnt(0)
	s_nop 0
	;; [unrolled: 11-line block ×4, first 2 shown]
	v_cndmask_b32_e32 v19, 0, v22, vcc
	v_add_u32_e32 v22, v21, v19
	v_mov_b32_e32 v21, 0
	s_branch .LBB227_57
.LBB227_56:                             ;   in Loop: Header=BB227_57 Depth=1
	s_or_b64 exec, exec, s[34:35]
	v_cmp_eq_u16_sdwa s[34:35], v23, v32 src0_sel:BYTE_0 src1_sel:DWORD
	ds_bpermute_b32 v52, v41, v22
	v_subrev_u32_e32 v20, 64, v20
	v_and_b32_e32 v26, s35, v25
	v_or_b32_e32 v26, 0x80000000, v26
	v_and_b32_e32 v27, s34, v24
	v_ffbl_b32_e32 v26, v26
	v_add_u32_e32 v26, 32, v26
	v_ffbl_b32_e32 v27, v27
	v_min_u32_e32 v26, v27, v26
	v_cmp_lt_u32_e32 vcc, v34, v26
	s_waitcnt lgkmcnt(0)
	s_nop 0
	v_cndmask_b32_e32 v27, 0, v52, vcc
	v_add_u32_e32 v22, v27, v22
	ds_bpermute_b32 v27, v42, v22
	v_cmp_le_u32_e32 vcc, v43, v26
	s_waitcnt lgkmcnt(0)
	s_nop 0
	v_cndmask_b32_e32 v27, 0, v27, vcc
	v_add_u32_e32 v22, v22, v27
	ds_bpermute_b32 v27, v44, v22
	v_cmp_le_u32_e32 vcc, v45, v26
	;; [unrolled: 6-line block ×5, first 2 shown]
	s_waitcnt lgkmcnt(0)
	s_nop 0
	v_cndmask_b32_e32 v26, 0, v27, vcc
	v_add3_u32 v22, v26, v19, v22
.LBB227_57:                             ; =>This Loop Header: Depth=1
                                        ;     Child Loop BB227_60 Depth 2
	v_cmp_ne_u16_sdwa s[34:35], v23, v32 src0_sel:BYTE_0 src1_sel:DWORD
	s_nop 1
	v_cndmask_b32_e64 v19, 0, 1, s[34:35]
	;;#ASMSTART
	;;#ASMEND
	s_nop 0
	v_cmp_ne_u32_e32 vcc, 0, v19
	s_cmp_lg_u64 vcc, exec
	v_mov_b32_e32 v19, v22
	s_cbranch_scc1 .LBB227_62
; %bb.58:                               ;   in Loop: Header=BB227_57 Depth=1
	v_lshl_add_u64 v[26:27], v[20:21], 3, s[28:29]
	global_load_dwordx2 v[22:23], v[26:27], off sc1
	s_waitcnt vmcnt(0)
	v_cmp_eq_u16_sdwa s[36:37], v23, v21 src0_sel:BYTE_0 src1_sel:DWORD
	s_and_saveexec_b64 s[34:35], s[36:37]
	s_cbranch_execz .LBB227_56
; %bb.59:                               ;   in Loop: Header=BB227_57 Depth=1
	s_mov_b64 s[36:37], 0
.LBB227_60:                             ;   Parent Loop BB227_57 Depth=1
                                        ; =>  This Inner Loop Header: Depth=2
	global_load_dwordx2 v[22:23], v[26:27], off sc1
	s_waitcnt vmcnt(0)
	v_cmp_ne_u16_sdwa s[38:39], v23, v21 src0_sel:BYTE_0 src1_sel:DWORD
	s_or_b64 s[36:37], s[38:39], s[36:37]
	s_andn2_b64 exec, exec, s[36:37]
	s_cbranch_execnz .LBB227_60
; %bb.61:                               ;   in Loop: Header=BB227_57 Depth=1
	s_or_b64 exec, exec, s[36:37]
	s_branch .LBB227_56
.LBB227_62:                             ;   in Loop: Header=BB227_57 Depth=1
                                        ; implicit-def: $vgpr22
                                        ; implicit-def: $vgpr23
	s_cbranch_execz .LBB227_57
; %bb.63:
	s_and_saveexec_b64 s[34:35], s[16:17]
	s_cbranch_execz .LBB227_65
; %bb.64:
	s_add_i32 s2, s2, 64
	s_mov_b32 s3, 0
	s_lshl_b64 s[2:3], s[2:3], 3
	s_add_u32 s2, s28, s2
	v_add_u32_e32 v20, v19, v18
	v_mov_b32_e32 v21, 2
	s_addc_u32 s3, s29, s3
	v_mov_b32_e32 v22, 0
	global_store_dwordx2 v22, v[20:21], s[2:3] sc1
	ds_write_b64 v22, v[18:19] offset:28672
.LBB227_65:
	s_or_b64 exec, exec, s[34:35]
	v_cmp_eq_u32_e32 vcc, 0, v0
	s_and_b64 exec, exec, vcc
	s_cbranch_execz .LBB227_67
; %bb.66:
	v_mov_b32_e32 v18, 0
	ds_write_b32 v18, v19 offset:28
.LBB227_67:
	s_or_b64 exec, exec, s[30:31]
	v_mov_b32_e32 v18, 0
	s_waitcnt lgkmcnt(0)
	s_barrier
	ds_read_b32 v19, v18 offset:28
	v_cndmask_b32_e64 v20, v30, v28, s[16:17]
	v_cmp_ne_u32_e32 vcc, 0, v0
	s_waitcnt lgkmcnt(0)
	s_barrier
	v_cndmask_b32_e32 v20, 0, v20, vcc
	v_add_u32_e32 v34, v19, v20
	v_add_u32_e32 v32, v34, v29
	;; [unrolled: 1-line block ×3, first 2 shown]
	ds_read_b64 v[18:19], v18 offset:28672
	v_add_u32_e32 v28, v30, v33
	v_add_u32_e32 v26, v28, v35
	;; [unrolled: 1-line block ×4, first 2 shown]
	s_load_dwordx2 s[2:3], s[0:1], 0x28
	v_lshrrev_b64 v[20:21], 24, v[16:17]
	s_branch .LBB227_78
.LBB227_68:
                                        ; implicit-def: $vgpr19
                                        ; implicit-def: $vgpr22
                                        ; implicit-def: $vgpr24
                                        ; implicit-def: $vgpr26
                                        ; implicit-def: $vgpr28
                                        ; implicit-def: $vgpr30
                                        ; implicit-def: $vgpr32
                                        ; implicit-def: $vgpr34
	s_load_dwordx2 s[2:3], s[0:1], 0x28
	v_lshrrev_b64 v[20:21], 24, v[16:17]
	s_cbranch_execz .LBB227_78
; %bb.69:
	s_waitcnt lgkmcnt(0)
	v_mov_b32_dpp v18, v40 row_shr:1 row_mask:0xf bank_mask:0xf
	v_cndmask_b32_e64 v18, v18, 0, s[14:15]
	v_add_u32_e32 v18, v18, v40
	s_nop 1
	v_mov_b32_dpp v19, v18 row_shr:2 row_mask:0xf bank_mask:0xf
	v_cndmask_b32_e64 v19, 0, v19, s[12:13]
	v_add_u32_e32 v18, v18, v19
	s_nop 1
	;; [unrolled: 4-line block ×4, first 2 shown]
	v_mov_b32_dpp v19, v18 row_bcast:15 row_mask:0xf bank_mask:0xf
	v_cndmask_b32_e64 v19, v19, 0, s[6:7]
	v_add_u32_e32 v18, v18, v19
	s_nop 1
	v_mov_b32_dpp v19, v18 row_bcast:31 row_mask:0xf bank_mask:0xf
	v_cndmask_b32_e64 v19, 0, v19, s[18:19]
	v_add_u32_e32 v18, v18, v19
	s_and_saveexec_b64 s[0:1], s[4:5]
	s_cbranch_execz .LBB227_71
; %bb.70:
	v_lshlrev_b32_e32 v19, 2, v39
	ds_write_b32 v19, v18
.LBB227_71:
	s_or_b64 exec, exec, s[0:1]
	v_cmp_gt_u32_e32 vcc, 8, v0
	s_waitcnt lgkmcnt(0)
	s_barrier
	s_and_saveexec_b64 s[0:1], vcc
	s_cbranch_execz .LBB227_73
; %bb.72:
	s_movk_i32 s4, 0xffcc
	v_mad_i32_i24 v1, v0, s4, v1
	ds_read_b32 v19, v1
	v_and_b32_e32 v21, 7, v38
	v_cmp_ne_u32_e32 vcc, 0, v21
	s_waitcnt lgkmcnt(0)
	v_mov_b32_dpp v22, v19 row_shr:1 row_mask:0xf bank_mask:0xf
	v_cndmask_b32_e32 v22, 0, v22, vcc
	v_add_u32_e32 v19, v22, v19
	v_cmp_lt_u32_e32 vcc, 1, v21
	s_nop 0
	v_mov_b32_dpp v22, v19 row_shr:2 row_mask:0xf bank_mask:0xf
	v_cndmask_b32_e32 v22, 0, v22, vcc
	v_add_u32_e32 v19, v19, v22
	v_cmp_lt_u32_e32 vcc, 3, v21
	s_nop 0
	v_mov_b32_dpp v22, v19 row_shr:4 row_mask:0xf bank_mask:0xf
	v_cndmask_b32_e32 v21, 0, v22, vcc
	v_add_u32_e32 v19, v19, v21
	ds_write_b32 v1, v19
.LBB227_73:
	s_or_b64 exec, exec, s[0:1]
	v_cmp_lt_u32_e32 vcc, 63, v0
	v_mov_b32_e32 v19, 0
	v_mov_b32_e32 v1, 0
	s_waitcnt lgkmcnt(0)
	s_barrier
	s_and_saveexec_b64 s[0:1], vcc
	s_cbranch_execz .LBB227_75
; %bb.74:
	v_lshl_add_u32 v1, v39, 2, -4
	ds_read_b32 v1, v1
.LBB227_75:
	s_or_b64 exec, exec, s[0:1]
	v_add_u32_e32 v21, -1, v38
	v_and_b32_e32 v22, 64, v38
	v_cmp_lt_i32_e32 vcc, v21, v22
	s_waitcnt lgkmcnt(0)
	v_add_u32_e32 v18, v1, v18
	v_cndmask_b32_e32 v21, v21, v38, vcc
	v_lshlrev_b32_e32 v21, 2, v21
	ds_bpermute_b32 v21, v21, v18
	ds_read_b32 v18, v19 offset:28
	v_cmp_eq_u32_e32 vcc, 0, v0
	s_and_saveexec_b64 s[0:1], vcc
	s_cbranch_execz .LBB227_77
; %bb.76:
	v_mov_b32_e32 v22, 0
	v_mov_b32_e32 v19, 2
	s_waitcnt lgkmcnt(0)
	global_store_dwordx2 v22, v[18:19], s[28:29] offset:512 sc1
.LBB227_77:
	s_or_b64 exec, exec, s[0:1]
	v_cmp_eq_u32_e64 s[0:1], 0, v38
	v_mov_b32_e32 v19, 0
	s_waitcnt lgkmcnt(0)
	v_cndmask_b32_e64 v1, v21, v1, s[0:1]
	v_cndmask_b32_e64 v34, v1, 0, vcc
	v_add_u32_e32 v32, v34, v29
	v_add_u32_e32 v30, v32, v31
	;; [unrolled: 1-line block ×6, first 2 shown]
	s_barrier
.LBB227_78:
	s_movk_i32 s0, 0x201
	s_waitcnt lgkmcnt(0)
	v_cmp_gt_u32_e32 vcc, s0, v18
	v_lshrrev_b32_e32 v21, 8, v16
	v_lshrrev_b32_e32 v1, 8, v17
	s_mov_b64 s[0:1], -1
	s_cbranch_vccnz .LBB227_82
; %bb.79:
	s_and_b64 vcc, exec, s[0:1]
	s_cbranch_vccnz .LBB227_104
.LBB227_80:
	v_cmp_eq_u32_e32 vcc, 0, v0
	s_and_b64 s[0:1], vcc, s[24:25]
	s_and_saveexec_b64 s[2:3], s[0:1]
	s_cbranch_execnz .LBB227_122
.LBB227_81:
	s_endpgm
.LBB227_82:
	v_add_u32_e32 v23, v19, v18
	v_cmp_lt_u32_e32 vcc, v34, v23
	s_or_b64 s[4:5], s[26:27], vcc
	s_and_saveexec_b64 s[0:1], s[4:5]
	s_cbranch_execz .LBB227_85
; %bb.83:
	v_and_b32_e32 v25, 1, v16
	v_cmp_eq_u32_e32 vcc, 1, v25
	s_and_b64 exec, exec, vcc
	s_cbranch_execz .LBB227_85
; %bb.84:
	s_lshl_b64 s[4:5], s[22:23], 3
	s_add_u32 s4, s2, s4
	s_addc_u32 s5, s3, s5
	v_mov_b32_e32 v35, 0
	v_lshl_add_u64 v[36:37], v[34:35], 3, s[4:5]
	global_store_dwordx2 v[36:37], v[10:11], off
.LBB227_85:
	s_or_b64 exec, exec, s[0:1]
	v_cmp_lt_u32_e32 vcc, v32, v23
	s_or_b64 s[4:5], s[26:27], vcc
	s_and_saveexec_b64 s[0:1], s[4:5]
	s_cbranch_execz .LBB227_88
; %bb.86:
	v_and_b32_e32 v25, 1, v21
	v_cmp_eq_u32_e32 vcc, 1, v25
	s_and_b64 exec, exec, vcc
	s_cbranch_execz .LBB227_88
; %bb.87:
	s_lshl_b64 s[4:5], s[22:23], 3
	s_add_u32 s4, s2, s4
	s_addc_u32 s5, s3, s5
	v_mov_b32_e32 v33, 0
	v_lshl_add_u64 v[36:37], v[32:33], 3, s[4:5]
	global_store_dwordx2 v[36:37], v[12:13], off
.LBB227_88:
	s_or_b64 exec, exec, s[0:1]
	v_cmp_lt_u32_e32 vcc, v30, v23
	s_or_b64 s[4:5], s[26:27], vcc
	s_and_saveexec_b64 s[0:1], s[4:5]
	s_cbranch_execz .LBB227_91
; %bb.89:
	v_mov_b32_e32 v25, 1
	v_and_b32_sdwa v25, v25, v16 dst_sel:DWORD dst_unused:UNUSED_PAD src0_sel:DWORD src1_sel:WORD_1
	v_cmp_eq_u32_e32 vcc, 1, v25
	s_and_b64 exec, exec, vcc
	s_cbranch_execz .LBB227_91
; %bb.90:
	s_lshl_b64 s[4:5], s[22:23], 3
	s_add_u32 s4, s2, s4
	s_addc_u32 s5, s3, s5
	v_mov_b32_e32 v31, 0
	v_lshl_add_u64 v[36:37], v[30:31], 3, s[4:5]
	global_store_dwordx2 v[36:37], v[6:7], off
.LBB227_91:
	s_or_b64 exec, exec, s[0:1]
	v_cmp_lt_u32_e32 vcc, v28, v23
	s_or_b64 s[4:5], s[26:27], vcc
	s_and_saveexec_b64 s[0:1], s[4:5]
	s_cbranch_execz .LBB227_94
; %bb.92:
	v_and_b32_e32 v25, 1, v20
	v_cmp_eq_u32_e32 vcc, 1, v25
	s_and_b64 exec, exec, vcc
	s_cbranch_execz .LBB227_94
; %bb.93:
	s_lshl_b64 s[4:5], s[22:23], 3
	s_add_u32 s4, s2, s4
	s_addc_u32 s5, s3, s5
	v_mov_b32_e32 v29, 0
	v_lshl_add_u64 v[36:37], v[28:29], 3, s[4:5]
	global_store_dwordx2 v[36:37], v[8:9], off
.LBB227_94:
	s_or_b64 exec, exec, s[0:1]
	v_cmp_lt_u32_e32 vcc, v26, v23
	s_or_b64 s[4:5], s[26:27], vcc
	s_and_saveexec_b64 s[0:1], s[4:5]
	s_cbranch_execz .LBB227_97
; %bb.95:
	v_and_b32_e32 v25, 1, v17
	v_cmp_eq_u32_e32 vcc, 1, v25
	s_and_b64 exec, exec, vcc
	s_cbranch_execz .LBB227_97
; %bb.96:
	s_lshl_b64 s[4:5], s[22:23], 3
	s_add_u32 s4, s2, s4
	s_addc_u32 s5, s3, s5
	v_mov_b32_e32 v27, 0
	v_lshl_add_u64 v[36:37], v[26:27], 3, s[4:5]
	global_store_dwordx2 v[36:37], v[2:3], off
.LBB227_97:
	;; [unrolled: 18-line block ×3, first 2 shown]
	s_or_b64 exec, exec, s[0:1]
	v_cmp_lt_u32_e32 vcc, v22, v23
	s_or_b64 s[4:5], s[26:27], vcc
	s_and_saveexec_b64 s[0:1], s[4:5]
	s_cbranch_execz .LBB227_103
; %bb.101:
	v_mov_b32_e32 v23, 1
	v_and_b32_sdwa v23, v23, v17 dst_sel:DWORD dst_unused:UNUSED_PAD src0_sel:DWORD src1_sel:WORD_1
	v_cmp_eq_u32_e32 vcc, 1, v23
	s_and_b64 exec, exec, vcc
	s_cbranch_execz .LBB227_103
; %bb.102:
	s_lshl_b64 s[4:5], s[22:23], 3
	s_add_u32 s4, s2, s4
	s_addc_u32 s5, s3, s5
	v_mov_b32_e32 v23, 0
	v_lshl_add_u64 v[36:37], v[22:23], 3, s[4:5]
	global_store_dwordx2 v[36:37], v[14:15], off
.LBB227_103:
	s_or_b64 exec, exec, s[0:1]
	s_branch .LBB227_80
.LBB227_104:
	v_and_b32_e32 v23, 1, v16
	v_cmp_eq_u32_e32 vcc, 1, v23
	s_and_saveexec_b64 s[0:1], vcc
	s_cbranch_execz .LBB227_106
; %bb.105:
	v_sub_u32_e32 v23, v34, v19
	v_lshlrev_b32_e32 v23, 3, v23
	ds_write_b64 v23, v[10:11]
.LBB227_106:
	s_or_b64 exec, exec, s[0:1]
	v_and_b32_e32 v10, 1, v21
	v_cmp_eq_u32_e32 vcc, 1, v10
	s_and_saveexec_b64 s[0:1], vcc
	s_cbranch_execz .LBB227_108
; %bb.107:
	v_sub_u32_e32 v10, v32, v19
	v_lshlrev_b32_e32 v10, 3, v10
	ds_write_b64 v10, v[12:13]
.LBB227_108:
	s_or_b64 exec, exec, s[0:1]
	v_mov_b32_e32 v10, 1
	v_and_b32_sdwa v10, v10, v16 dst_sel:DWORD dst_unused:UNUSED_PAD src0_sel:DWORD src1_sel:WORD_1
	v_cmp_eq_u32_e32 vcc, 1, v10
	s_and_saveexec_b64 s[0:1], vcc
	s_cbranch_execz .LBB227_110
; %bb.109:
	v_sub_u32_e32 v10, v30, v19
	v_lshlrev_b32_e32 v10, 3, v10
	ds_write_b64 v10, v[6:7]
.LBB227_110:
	s_or_b64 exec, exec, s[0:1]
	v_and_b32_e32 v6, 1, v20
	v_cmp_eq_u32_e32 vcc, 1, v6
	s_and_saveexec_b64 s[0:1], vcc
	s_cbranch_execz .LBB227_112
; %bb.111:
	v_sub_u32_e32 v6, v28, v19
	v_lshlrev_b32_e32 v6, 3, v6
	ds_write_b64 v6, v[8:9]
.LBB227_112:
	s_or_b64 exec, exec, s[0:1]
	v_and_b32_e32 v6, 1, v17
	;; [unrolled: 10-line block ×3, first 2 shown]
	v_cmp_eq_u32_e32 vcc, 1, v1
	s_and_saveexec_b64 s[0:1], vcc
	s_cbranch_execz .LBB227_116
; %bb.115:
	v_sub_u32_e32 v1, v24, v19
	v_lshlrev_b32_e32 v1, 3, v1
	ds_write_b64 v1, v[4:5]
.LBB227_116:
	s_or_b64 exec, exec, s[0:1]
	v_mov_b32_e32 v1, 1
	v_and_b32_sdwa v1, v1, v17 dst_sel:DWORD dst_unused:UNUSED_PAD src0_sel:DWORD src1_sel:WORD_1
	v_cmp_eq_u32_e32 vcc, 1, v1
	s_and_saveexec_b64 s[0:1], vcc
	s_cbranch_execz .LBB227_118
; %bb.117:
	v_sub_u32_e32 v1, v22, v19
	v_lshlrev_b32_e32 v1, 3, v1
	ds_write_b64 v1, v[14:15]
.LBB227_118:
	s_or_b64 exec, exec, s[0:1]
	v_cmp_lt_u32_e32 vcc, v0, v18
	s_waitcnt lgkmcnt(0)
	s_barrier
	s_and_saveexec_b64 s[0:1], vcc
	s_cbranch_execz .LBB227_121
; %bb.119:
	v_mov_b32_e32 v5, 0
	v_mov_b32_e32 v4, v19
	s_lshl_b64 s[4:5], s[22:23], 3
	v_lshlrev_b64 v[6:7], 3, v[4:5]
	v_lshl_add_u64 v[6:7], s[4:5], 0, v[6:7]
	v_lshlrev_b32_e32 v2, 3, v0
	v_mov_b32_e32 v3, v5
	v_lshl_add_u64 v[4:5], s[2:3], 0, v[6:7]
	v_lshl_add_u64 v[4:5], v[4:5], 0, v[2:3]
	s_mov_b64 s[2:3], 0
	s_mov_b64 s[4:5], 0x1000
	v_mov_b32_e32 v1, v0
.LBB227_120:                            ; =>This Inner Loop Header: Depth=1
	ds_read_b64 v[6:7], v2
	v_add_u32_e32 v1, 0x200, v1
	v_cmp_ge_u32_e32 vcc, v1, v18
	v_add_u32_e32 v2, 0x1000, v2
	s_or_b64 s[2:3], vcc, s[2:3]
	s_waitcnt lgkmcnt(0)
	global_store_dwordx2 v[4:5], v[6:7], off
	v_lshl_add_u64 v[4:5], v[4:5], 0, s[4:5]
	s_andn2_b64 exec, exec, s[2:3]
	s_cbranch_execnz .LBB227_120
.LBB227_121:
	s_or_b64 exec, exec, s[0:1]
	v_cmp_eq_u32_e32 vcc, 0, v0
	s_and_b64 s[0:1], vcc, s[24:25]
	s_and_saveexec_b64 s[2:3], s[0:1]
	s_cbranch_execz .LBB227_81
.LBB227_122:
	v_mov_b32_e32 v1, 0
	v_mov_b32_e32 v0, v18
	v_lshl_add_u64 v[2:3], s[22:23], 0, v[0:1]
	v_mov_b32_e32 v0, v19
	v_lshl_add_u64 v[2:3], v[2:3], 0, v[0:1]
	global_store_dwordx2 v1, v[2:3], s[20:21]
	s_endpgm
.LBB227_123:
	s_or_b64 exec, exec, s[6:7]
	s_and_saveexec_b64 s[6:7], s[18:19]
	s_cbranch_execnz .LBB227_38
	s_branch .LBB227_39
	.section	.rodata,"a",@progbits
	.p2align	6, 0x0
	.amdhsa_kernel _ZN7rocprim17ROCPRIM_400000_NS6detail17trampoline_kernelINS0_14default_configENS1_25partition_config_selectorILNS1_17partition_subalgoE8ElNS0_10empty_typeEbEEZZNS1_14partition_implILS5_8ELb0ES3_jPKlPS6_PKS6_NS0_5tupleIJPlS6_EEENSE_IJSB_SB_EEENS0_18inequality_wrapperIN6hipcub16HIPCUB_304000_NS8EqualityEEESF_JS6_EEE10hipError_tPvRmT3_T4_T5_T6_T7_T9_mT8_P12ihipStream_tbDpT10_ENKUlT_T0_E_clISt17integral_constantIbLb0EES16_EEDaS11_S12_EUlS11_E_NS1_11comp_targetILNS1_3genE5ELNS1_11target_archE942ELNS1_3gpuE9ELNS1_3repE0EEENS1_30default_config_static_selectorELNS0_4arch9wavefront6targetE1EEEvT1_
		.amdhsa_group_segment_fixed_size 28680
		.amdhsa_private_segment_fixed_size 0
		.amdhsa_kernarg_size 112
		.amdhsa_user_sgpr_count 2
		.amdhsa_user_sgpr_dispatch_ptr 0
		.amdhsa_user_sgpr_queue_ptr 0
		.amdhsa_user_sgpr_kernarg_segment_ptr 1
		.amdhsa_user_sgpr_dispatch_id 0
		.amdhsa_user_sgpr_kernarg_preload_length 0
		.amdhsa_user_sgpr_kernarg_preload_offset 0
		.amdhsa_user_sgpr_private_segment_size 0
		.amdhsa_uses_dynamic_stack 0
		.amdhsa_enable_private_segment 0
		.amdhsa_system_sgpr_workgroup_id_x 1
		.amdhsa_system_sgpr_workgroup_id_y 0
		.amdhsa_system_sgpr_workgroup_id_z 0
		.amdhsa_system_sgpr_workgroup_info 0
		.amdhsa_system_vgpr_workitem_id 0
		.amdhsa_next_free_vgpr 53
		.amdhsa_next_free_sgpr 40
		.amdhsa_accum_offset 56
		.amdhsa_reserve_vcc 1
		.amdhsa_float_round_mode_32 0
		.amdhsa_float_round_mode_16_64 0
		.amdhsa_float_denorm_mode_32 3
		.amdhsa_float_denorm_mode_16_64 3
		.amdhsa_dx10_clamp 1
		.amdhsa_ieee_mode 1
		.amdhsa_fp16_overflow 0
		.amdhsa_tg_split 0
		.amdhsa_exception_fp_ieee_invalid_op 0
		.amdhsa_exception_fp_denorm_src 0
		.amdhsa_exception_fp_ieee_div_zero 0
		.amdhsa_exception_fp_ieee_overflow 0
		.amdhsa_exception_fp_ieee_underflow 0
		.amdhsa_exception_fp_ieee_inexact 0
		.amdhsa_exception_int_div_zero 0
	.end_amdhsa_kernel
	.section	.text._ZN7rocprim17ROCPRIM_400000_NS6detail17trampoline_kernelINS0_14default_configENS1_25partition_config_selectorILNS1_17partition_subalgoE8ElNS0_10empty_typeEbEEZZNS1_14partition_implILS5_8ELb0ES3_jPKlPS6_PKS6_NS0_5tupleIJPlS6_EEENSE_IJSB_SB_EEENS0_18inequality_wrapperIN6hipcub16HIPCUB_304000_NS8EqualityEEESF_JS6_EEE10hipError_tPvRmT3_T4_T5_T6_T7_T9_mT8_P12ihipStream_tbDpT10_ENKUlT_T0_E_clISt17integral_constantIbLb0EES16_EEDaS11_S12_EUlS11_E_NS1_11comp_targetILNS1_3genE5ELNS1_11target_archE942ELNS1_3gpuE9ELNS1_3repE0EEENS1_30default_config_static_selectorELNS0_4arch9wavefront6targetE1EEEvT1_,"axG",@progbits,_ZN7rocprim17ROCPRIM_400000_NS6detail17trampoline_kernelINS0_14default_configENS1_25partition_config_selectorILNS1_17partition_subalgoE8ElNS0_10empty_typeEbEEZZNS1_14partition_implILS5_8ELb0ES3_jPKlPS6_PKS6_NS0_5tupleIJPlS6_EEENSE_IJSB_SB_EEENS0_18inequality_wrapperIN6hipcub16HIPCUB_304000_NS8EqualityEEESF_JS6_EEE10hipError_tPvRmT3_T4_T5_T6_T7_T9_mT8_P12ihipStream_tbDpT10_ENKUlT_T0_E_clISt17integral_constantIbLb0EES16_EEDaS11_S12_EUlS11_E_NS1_11comp_targetILNS1_3genE5ELNS1_11target_archE942ELNS1_3gpuE9ELNS1_3repE0EEENS1_30default_config_static_selectorELNS0_4arch9wavefront6targetE1EEEvT1_,comdat
.Lfunc_end227:
	.size	_ZN7rocprim17ROCPRIM_400000_NS6detail17trampoline_kernelINS0_14default_configENS1_25partition_config_selectorILNS1_17partition_subalgoE8ElNS0_10empty_typeEbEEZZNS1_14partition_implILS5_8ELb0ES3_jPKlPS6_PKS6_NS0_5tupleIJPlS6_EEENSE_IJSB_SB_EEENS0_18inequality_wrapperIN6hipcub16HIPCUB_304000_NS8EqualityEEESF_JS6_EEE10hipError_tPvRmT3_T4_T5_T6_T7_T9_mT8_P12ihipStream_tbDpT10_ENKUlT_T0_E_clISt17integral_constantIbLb0EES16_EEDaS11_S12_EUlS11_E_NS1_11comp_targetILNS1_3genE5ELNS1_11target_archE942ELNS1_3gpuE9ELNS1_3repE0EEENS1_30default_config_static_selectorELNS0_4arch9wavefront6targetE1EEEvT1_, .Lfunc_end227-_ZN7rocprim17ROCPRIM_400000_NS6detail17trampoline_kernelINS0_14default_configENS1_25partition_config_selectorILNS1_17partition_subalgoE8ElNS0_10empty_typeEbEEZZNS1_14partition_implILS5_8ELb0ES3_jPKlPS6_PKS6_NS0_5tupleIJPlS6_EEENSE_IJSB_SB_EEENS0_18inequality_wrapperIN6hipcub16HIPCUB_304000_NS8EqualityEEESF_JS6_EEE10hipError_tPvRmT3_T4_T5_T6_T7_T9_mT8_P12ihipStream_tbDpT10_ENKUlT_T0_E_clISt17integral_constantIbLb0EES16_EEDaS11_S12_EUlS11_E_NS1_11comp_targetILNS1_3genE5ELNS1_11target_archE942ELNS1_3gpuE9ELNS1_3repE0EEENS1_30default_config_static_selectorELNS0_4arch9wavefront6targetE1EEEvT1_
                                        ; -- End function
	.section	.AMDGPU.csdata,"",@progbits
; Kernel info:
; codeLenInByte = 5408
; NumSgprs: 46
; NumVgprs: 53
; NumAgprs: 0
; TotalNumVgprs: 53
; ScratchSize: 0
; MemoryBound: 0
; FloatMode: 240
; IeeeMode: 1
; LDSByteSize: 28680 bytes/workgroup (compile time only)
; SGPRBlocks: 5
; VGPRBlocks: 6
; NumSGPRsForWavesPerEU: 46
; NumVGPRsForWavesPerEU: 53
; AccumOffset: 56
; Occupancy: 4
; WaveLimiterHint : 1
; COMPUTE_PGM_RSRC2:SCRATCH_EN: 0
; COMPUTE_PGM_RSRC2:USER_SGPR: 2
; COMPUTE_PGM_RSRC2:TRAP_HANDLER: 0
; COMPUTE_PGM_RSRC2:TGID_X_EN: 1
; COMPUTE_PGM_RSRC2:TGID_Y_EN: 0
; COMPUTE_PGM_RSRC2:TGID_Z_EN: 0
; COMPUTE_PGM_RSRC2:TIDIG_COMP_CNT: 0
; COMPUTE_PGM_RSRC3_GFX90A:ACCUM_OFFSET: 13
; COMPUTE_PGM_RSRC3_GFX90A:TG_SPLIT: 0
	.section	.text._ZN7rocprim17ROCPRIM_400000_NS6detail17trampoline_kernelINS0_14default_configENS1_25partition_config_selectorILNS1_17partition_subalgoE8ElNS0_10empty_typeEbEEZZNS1_14partition_implILS5_8ELb0ES3_jPKlPS6_PKS6_NS0_5tupleIJPlS6_EEENSE_IJSB_SB_EEENS0_18inequality_wrapperIN6hipcub16HIPCUB_304000_NS8EqualityEEESF_JS6_EEE10hipError_tPvRmT3_T4_T5_T6_T7_T9_mT8_P12ihipStream_tbDpT10_ENKUlT_T0_E_clISt17integral_constantIbLb0EES16_EEDaS11_S12_EUlS11_E_NS1_11comp_targetILNS1_3genE4ELNS1_11target_archE910ELNS1_3gpuE8ELNS1_3repE0EEENS1_30default_config_static_selectorELNS0_4arch9wavefront6targetE1EEEvT1_,"axG",@progbits,_ZN7rocprim17ROCPRIM_400000_NS6detail17trampoline_kernelINS0_14default_configENS1_25partition_config_selectorILNS1_17partition_subalgoE8ElNS0_10empty_typeEbEEZZNS1_14partition_implILS5_8ELb0ES3_jPKlPS6_PKS6_NS0_5tupleIJPlS6_EEENSE_IJSB_SB_EEENS0_18inequality_wrapperIN6hipcub16HIPCUB_304000_NS8EqualityEEESF_JS6_EEE10hipError_tPvRmT3_T4_T5_T6_T7_T9_mT8_P12ihipStream_tbDpT10_ENKUlT_T0_E_clISt17integral_constantIbLb0EES16_EEDaS11_S12_EUlS11_E_NS1_11comp_targetILNS1_3genE4ELNS1_11target_archE910ELNS1_3gpuE8ELNS1_3repE0EEENS1_30default_config_static_selectorELNS0_4arch9wavefront6targetE1EEEvT1_,comdat
	.protected	_ZN7rocprim17ROCPRIM_400000_NS6detail17trampoline_kernelINS0_14default_configENS1_25partition_config_selectorILNS1_17partition_subalgoE8ElNS0_10empty_typeEbEEZZNS1_14partition_implILS5_8ELb0ES3_jPKlPS6_PKS6_NS0_5tupleIJPlS6_EEENSE_IJSB_SB_EEENS0_18inequality_wrapperIN6hipcub16HIPCUB_304000_NS8EqualityEEESF_JS6_EEE10hipError_tPvRmT3_T4_T5_T6_T7_T9_mT8_P12ihipStream_tbDpT10_ENKUlT_T0_E_clISt17integral_constantIbLb0EES16_EEDaS11_S12_EUlS11_E_NS1_11comp_targetILNS1_3genE4ELNS1_11target_archE910ELNS1_3gpuE8ELNS1_3repE0EEENS1_30default_config_static_selectorELNS0_4arch9wavefront6targetE1EEEvT1_ ; -- Begin function _ZN7rocprim17ROCPRIM_400000_NS6detail17trampoline_kernelINS0_14default_configENS1_25partition_config_selectorILNS1_17partition_subalgoE8ElNS0_10empty_typeEbEEZZNS1_14partition_implILS5_8ELb0ES3_jPKlPS6_PKS6_NS0_5tupleIJPlS6_EEENSE_IJSB_SB_EEENS0_18inequality_wrapperIN6hipcub16HIPCUB_304000_NS8EqualityEEESF_JS6_EEE10hipError_tPvRmT3_T4_T5_T6_T7_T9_mT8_P12ihipStream_tbDpT10_ENKUlT_T0_E_clISt17integral_constantIbLb0EES16_EEDaS11_S12_EUlS11_E_NS1_11comp_targetILNS1_3genE4ELNS1_11target_archE910ELNS1_3gpuE8ELNS1_3repE0EEENS1_30default_config_static_selectorELNS0_4arch9wavefront6targetE1EEEvT1_
	.globl	_ZN7rocprim17ROCPRIM_400000_NS6detail17trampoline_kernelINS0_14default_configENS1_25partition_config_selectorILNS1_17partition_subalgoE8ElNS0_10empty_typeEbEEZZNS1_14partition_implILS5_8ELb0ES3_jPKlPS6_PKS6_NS0_5tupleIJPlS6_EEENSE_IJSB_SB_EEENS0_18inequality_wrapperIN6hipcub16HIPCUB_304000_NS8EqualityEEESF_JS6_EEE10hipError_tPvRmT3_T4_T5_T6_T7_T9_mT8_P12ihipStream_tbDpT10_ENKUlT_T0_E_clISt17integral_constantIbLb0EES16_EEDaS11_S12_EUlS11_E_NS1_11comp_targetILNS1_3genE4ELNS1_11target_archE910ELNS1_3gpuE8ELNS1_3repE0EEENS1_30default_config_static_selectorELNS0_4arch9wavefront6targetE1EEEvT1_
	.p2align	8
	.type	_ZN7rocprim17ROCPRIM_400000_NS6detail17trampoline_kernelINS0_14default_configENS1_25partition_config_selectorILNS1_17partition_subalgoE8ElNS0_10empty_typeEbEEZZNS1_14partition_implILS5_8ELb0ES3_jPKlPS6_PKS6_NS0_5tupleIJPlS6_EEENSE_IJSB_SB_EEENS0_18inequality_wrapperIN6hipcub16HIPCUB_304000_NS8EqualityEEESF_JS6_EEE10hipError_tPvRmT3_T4_T5_T6_T7_T9_mT8_P12ihipStream_tbDpT10_ENKUlT_T0_E_clISt17integral_constantIbLb0EES16_EEDaS11_S12_EUlS11_E_NS1_11comp_targetILNS1_3genE4ELNS1_11target_archE910ELNS1_3gpuE8ELNS1_3repE0EEENS1_30default_config_static_selectorELNS0_4arch9wavefront6targetE1EEEvT1_,@function
_ZN7rocprim17ROCPRIM_400000_NS6detail17trampoline_kernelINS0_14default_configENS1_25partition_config_selectorILNS1_17partition_subalgoE8ElNS0_10empty_typeEbEEZZNS1_14partition_implILS5_8ELb0ES3_jPKlPS6_PKS6_NS0_5tupleIJPlS6_EEENSE_IJSB_SB_EEENS0_18inequality_wrapperIN6hipcub16HIPCUB_304000_NS8EqualityEEESF_JS6_EEE10hipError_tPvRmT3_T4_T5_T6_T7_T9_mT8_P12ihipStream_tbDpT10_ENKUlT_T0_E_clISt17integral_constantIbLb0EES16_EEDaS11_S12_EUlS11_E_NS1_11comp_targetILNS1_3genE4ELNS1_11target_archE910ELNS1_3gpuE8ELNS1_3repE0EEENS1_30default_config_static_selectorELNS0_4arch9wavefront6targetE1EEEvT1_: ; @_ZN7rocprim17ROCPRIM_400000_NS6detail17trampoline_kernelINS0_14default_configENS1_25partition_config_selectorILNS1_17partition_subalgoE8ElNS0_10empty_typeEbEEZZNS1_14partition_implILS5_8ELb0ES3_jPKlPS6_PKS6_NS0_5tupleIJPlS6_EEENSE_IJSB_SB_EEENS0_18inequality_wrapperIN6hipcub16HIPCUB_304000_NS8EqualityEEESF_JS6_EEE10hipError_tPvRmT3_T4_T5_T6_T7_T9_mT8_P12ihipStream_tbDpT10_ENKUlT_T0_E_clISt17integral_constantIbLb0EES16_EEDaS11_S12_EUlS11_E_NS1_11comp_targetILNS1_3genE4ELNS1_11target_archE910ELNS1_3gpuE8ELNS1_3repE0EEENS1_30default_config_static_selectorELNS0_4arch9wavefront6targetE1EEEvT1_
; %bb.0:
	.section	.rodata,"a",@progbits
	.p2align	6, 0x0
	.amdhsa_kernel _ZN7rocprim17ROCPRIM_400000_NS6detail17trampoline_kernelINS0_14default_configENS1_25partition_config_selectorILNS1_17partition_subalgoE8ElNS0_10empty_typeEbEEZZNS1_14partition_implILS5_8ELb0ES3_jPKlPS6_PKS6_NS0_5tupleIJPlS6_EEENSE_IJSB_SB_EEENS0_18inequality_wrapperIN6hipcub16HIPCUB_304000_NS8EqualityEEESF_JS6_EEE10hipError_tPvRmT3_T4_T5_T6_T7_T9_mT8_P12ihipStream_tbDpT10_ENKUlT_T0_E_clISt17integral_constantIbLb0EES16_EEDaS11_S12_EUlS11_E_NS1_11comp_targetILNS1_3genE4ELNS1_11target_archE910ELNS1_3gpuE8ELNS1_3repE0EEENS1_30default_config_static_selectorELNS0_4arch9wavefront6targetE1EEEvT1_
		.amdhsa_group_segment_fixed_size 0
		.amdhsa_private_segment_fixed_size 0
		.amdhsa_kernarg_size 112
		.amdhsa_user_sgpr_count 2
		.amdhsa_user_sgpr_dispatch_ptr 0
		.amdhsa_user_sgpr_queue_ptr 0
		.amdhsa_user_sgpr_kernarg_segment_ptr 1
		.amdhsa_user_sgpr_dispatch_id 0
		.amdhsa_user_sgpr_kernarg_preload_length 0
		.amdhsa_user_sgpr_kernarg_preload_offset 0
		.amdhsa_user_sgpr_private_segment_size 0
		.amdhsa_uses_dynamic_stack 0
		.amdhsa_enable_private_segment 0
		.amdhsa_system_sgpr_workgroup_id_x 1
		.amdhsa_system_sgpr_workgroup_id_y 0
		.amdhsa_system_sgpr_workgroup_id_z 0
		.amdhsa_system_sgpr_workgroup_info 0
		.amdhsa_system_vgpr_workitem_id 0
		.amdhsa_next_free_vgpr 1
		.amdhsa_next_free_sgpr 0
		.amdhsa_accum_offset 4
		.amdhsa_reserve_vcc 0
		.amdhsa_float_round_mode_32 0
		.amdhsa_float_round_mode_16_64 0
		.amdhsa_float_denorm_mode_32 3
		.amdhsa_float_denorm_mode_16_64 3
		.amdhsa_dx10_clamp 1
		.amdhsa_ieee_mode 1
		.amdhsa_fp16_overflow 0
		.amdhsa_tg_split 0
		.amdhsa_exception_fp_ieee_invalid_op 0
		.amdhsa_exception_fp_denorm_src 0
		.amdhsa_exception_fp_ieee_div_zero 0
		.amdhsa_exception_fp_ieee_overflow 0
		.amdhsa_exception_fp_ieee_underflow 0
		.amdhsa_exception_fp_ieee_inexact 0
		.amdhsa_exception_int_div_zero 0
	.end_amdhsa_kernel
	.section	.text._ZN7rocprim17ROCPRIM_400000_NS6detail17trampoline_kernelINS0_14default_configENS1_25partition_config_selectorILNS1_17partition_subalgoE8ElNS0_10empty_typeEbEEZZNS1_14partition_implILS5_8ELb0ES3_jPKlPS6_PKS6_NS0_5tupleIJPlS6_EEENSE_IJSB_SB_EEENS0_18inequality_wrapperIN6hipcub16HIPCUB_304000_NS8EqualityEEESF_JS6_EEE10hipError_tPvRmT3_T4_T5_T6_T7_T9_mT8_P12ihipStream_tbDpT10_ENKUlT_T0_E_clISt17integral_constantIbLb0EES16_EEDaS11_S12_EUlS11_E_NS1_11comp_targetILNS1_3genE4ELNS1_11target_archE910ELNS1_3gpuE8ELNS1_3repE0EEENS1_30default_config_static_selectorELNS0_4arch9wavefront6targetE1EEEvT1_,"axG",@progbits,_ZN7rocprim17ROCPRIM_400000_NS6detail17trampoline_kernelINS0_14default_configENS1_25partition_config_selectorILNS1_17partition_subalgoE8ElNS0_10empty_typeEbEEZZNS1_14partition_implILS5_8ELb0ES3_jPKlPS6_PKS6_NS0_5tupleIJPlS6_EEENSE_IJSB_SB_EEENS0_18inequality_wrapperIN6hipcub16HIPCUB_304000_NS8EqualityEEESF_JS6_EEE10hipError_tPvRmT3_T4_T5_T6_T7_T9_mT8_P12ihipStream_tbDpT10_ENKUlT_T0_E_clISt17integral_constantIbLb0EES16_EEDaS11_S12_EUlS11_E_NS1_11comp_targetILNS1_3genE4ELNS1_11target_archE910ELNS1_3gpuE8ELNS1_3repE0EEENS1_30default_config_static_selectorELNS0_4arch9wavefront6targetE1EEEvT1_,comdat
.Lfunc_end228:
	.size	_ZN7rocprim17ROCPRIM_400000_NS6detail17trampoline_kernelINS0_14default_configENS1_25partition_config_selectorILNS1_17partition_subalgoE8ElNS0_10empty_typeEbEEZZNS1_14partition_implILS5_8ELb0ES3_jPKlPS6_PKS6_NS0_5tupleIJPlS6_EEENSE_IJSB_SB_EEENS0_18inequality_wrapperIN6hipcub16HIPCUB_304000_NS8EqualityEEESF_JS6_EEE10hipError_tPvRmT3_T4_T5_T6_T7_T9_mT8_P12ihipStream_tbDpT10_ENKUlT_T0_E_clISt17integral_constantIbLb0EES16_EEDaS11_S12_EUlS11_E_NS1_11comp_targetILNS1_3genE4ELNS1_11target_archE910ELNS1_3gpuE8ELNS1_3repE0EEENS1_30default_config_static_selectorELNS0_4arch9wavefront6targetE1EEEvT1_, .Lfunc_end228-_ZN7rocprim17ROCPRIM_400000_NS6detail17trampoline_kernelINS0_14default_configENS1_25partition_config_selectorILNS1_17partition_subalgoE8ElNS0_10empty_typeEbEEZZNS1_14partition_implILS5_8ELb0ES3_jPKlPS6_PKS6_NS0_5tupleIJPlS6_EEENSE_IJSB_SB_EEENS0_18inequality_wrapperIN6hipcub16HIPCUB_304000_NS8EqualityEEESF_JS6_EEE10hipError_tPvRmT3_T4_T5_T6_T7_T9_mT8_P12ihipStream_tbDpT10_ENKUlT_T0_E_clISt17integral_constantIbLb0EES16_EEDaS11_S12_EUlS11_E_NS1_11comp_targetILNS1_3genE4ELNS1_11target_archE910ELNS1_3gpuE8ELNS1_3repE0EEENS1_30default_config_static_selectorELNS0_4arch9wavefront6targetE1EEEvT1_
                                        ; -- End function
	.section	.AMDGPU.csdata,"",@progbits
; Kernel info:
; codeLenInByte = 0
; NumSgprs: 6
; NumVgprs: 0
; NumAgprs: 0
; TotalNumVgprs: 0
; ScratchSize: 0
; MemoryBound: 0
; FloatMode: 240
; IeeeMode: 1
; LDSByteSize: 0 bytes/workgroup (compile time only)
; SGPRBlocks: 0
; VGPRBlocks: 0
; NumSGPRsForWavesPerEU: 6
; NumVGPRsForWavesPerEU: 1
; AccumOffset: 4
; Occupancy: 8
; WaveLimiterHint : 0
; COMPUTE_PGM_RSRC2:SCRATCH_EN: 0
; COMPUTE_PGM_RSRC2:USER_SGPR: 2
; COMPUTE_PGM_RSRC2:TRAP_HANDLER: 0
; COMPUTE_PGM_RSRC2:TGID_X_EN: 1
; COMPUTE_PGM_RSRC2:TGID_Y_EN: 0
; COMPUTE_PGM_RSRC2:TGID_Z_EN: 0
; COMPUTE_PGM_RSRC2:TIDIG_COMP_CNT: 0
; COMPUTE_PGM_RSRC3_GFX90A:ACCUM_OFFSET: 0
; COMPUTE_PGM_RSRC3_GFX90A:TG_SPLIT: 0
	.section	.text._ZN7rocprim17ROCPRIM_400000_NS6detail17trampoline_kernelINS0_14default_configENS1_25partition_config_selectorILNS1_17partition_subalgoE8ElNS0_10empty_typeEbEEZZNS1_14partition_implILS5_8ELb0ES3_jPKlPS6_PKS6_NS0_5tupleIJPlS6_EEENSE_IJSB_SB_EEENS0_18inequality_wrapperIN6hipcub16HIPCUB_304000_NS8EqualityEEESF_JS6_EEE10hipError_tPvRmT3_T4_T5_T6_T7_T9_mT8_P12ihipStream_tbDpT10_ENKUlT_T0_E_clISt17integral_constantIbLb0EES16_EEDaS11_S12_EUlS11_E_NS1_11comp_targetILNS1_3genE3ELNS1_11target_archE908ELNS1_3gpuE7ELNS1_3repE0EEENS1_30default_config_static_selectorELNS0_4arch9wavefront6targetE1EEEvT1_,"axG",@progbits,_ZN7rocprim17ROCPRIM_400000_NS6detail17trampoline_kernelINS0_14default_configENS1_25partition_config_selectorILNS1_17partition_subalgoE8ElNS0_10empty_typeEbEEZZNS1_14partition_implILS5_8ELb0ES3_jPKlPS6_PKS6_NS0_5tupleIJPlS6_EEENSE_IJSB_SB_EEENS0_18inequality_wrapperIN6hipcub16HIPCUB_304000_NS8EqualityEEESF_JS6_EEE10hipError_tPvRmT3_T4_T5_T6_T7_T9_mT8_P12ihipStream_tbDpT10_ENKUlT_T0_E_clISt17integral_constantIbLb0EES16_EEDaS11_S12_EUlS11_E_NS1_11comp_targetILNS1_3genE3ELNS1_11target_archE908ELNS1_3gpuE7ELNS1_3repE0EEENS1_30default_config_static_selectorELNS0_4arch9wavefront6targetE1EEEvT1_,comdat
	.protected	_ZN7rocprim17ROCPRIM_400000_NS6detail17trampoline_kernelINS0_14default_configENS1_25partition_config_selectorILNS1_17partition_subalgoE8ElNS0_10empty_typeEbEEZZNS1_14partition_implILS5_8ELb0ES3_jPKlPS6_PKS6_NS0_5tupleIJPlS6_EEENSE_IJSB_SB_EEENS0_18inequality_wrapperIN6hipcub16HIPCUB_304000_NS8EqualityEEESF_JS6_EEE10hipError_tPvRmT3_T4_T5_T6_T7_T9_mT8_P12ihipStream_tbDpT10_ENKUlT_T0_E_clISt17integral_constantIbLb0EES16_EEDaS11_S12_EUlS11_E_NS1_11comp_targetILNS1_3genE3ELNS1_11target_archE908ELNS1_3gpuE7ELNS1_3repE0EEENS1_30default_config_static_selectorELNS0_4arch9wavefront6targetE1EEEvT1_ ; -- Begin function _ZN7rocprim17ROCPRIM_400000_NS6detail17trampoline_kernelINS0_14default_configENS1_25partition_config_selectorILNS1_17partition_subalgoE8ElNS0_10empty_typeEbEEZZNS1_14partition_implILS5_8ELb0ES3_jPKlPS6_PKS6_NS0_5tupleIJPlS6_EEENSE_IJSB_SB_EEENS0_18inequality_wrapperIN6hipcub16HIPCUB_304000_NS8EqualityEEESF_JS6_EEE10hipError_tPvRmT3_T4_T5_T6_T7_T9_mT8_P12ihipStream_tbDpT10_ENKUlT_T0_E_clISt17integral_constantIbLb0EES16_EEDaS11_S12_EUlS11_E_NS1_11comp_targetILNS1_3genE3ELNS1_11target_archE908ELNS1_3gpuE7ELNS1_3repE0EEENS1_30default_config_static_selectorELNS0_4arch9wavefront6targetE1EEEvT1_
	.globl	_ZN7rocprim17ROCPRIM_400000_NS6detail17trampoline_kernelINS0_14default_configENS1_25partition_config_selectorILNS1_17partition_subalgoE8ElNS0_10empty_typeEbEEZZNS1_14partition_implILS5_8ELb0ES3_jPKlPS6_PKS6_NS0_5tupleIJPlS6_EEENSE_IJSB_SB_EEENS0_18inequality_wrapperIN6hipcub16HIPCUB_304000_NS8EqualityEEESF_JS6_EEE10hipError_tPvRmT3_T4_T5_T6_T7_T9_mT8_P12ihipStream_tbDpT10_ENKUlT_T0_E_clISt17integral_constantIbLb0EES16_EEDaS11_S12_EUlS11_E_NS1_11comp_targetILNS1_3genE3ELNS1_11target_archE908ELNS1_3gpuE7ELNS1_3repE0EEENS1_30default_config_static_selectorELNS0_4arch9wavefront6targetE1EEEvT1_
	.p2align	8
	.type	_ZN7rocprim17ROCPRIM_400000_NS6detail17trampoline_kernelINS0_14default_configENS1_25partition_config_selectorILNS1_17partition_subalgoE8ElNS0_10empty_typeEbEEZZNS1_14partition_implILS5_8ELb0ES3_jPKlPS6_PKS6_NS0_5tupleIJPlS6_EEENSE_IJSB_SB_EEENS0_18inequality_wrapperIN6hipcub16HIPCUB_304000_NS8EqualityEEESF_JS6_EEE10hipError_tPvRmT3_T4_T5_T6_T7_T9_mT8_P12ihipStream_tbDpT10_ENKUlT_T0_E_clISt17integral_constantIbLb0EES16_EEDaS11_S12_EUlS11_E_NS1_11comp_targetILNS1_3genE3ELNS1_11target_archE908ELNS1_3gpuE7ELNS1_3repE0EEENS1_30default_config_static_selectorELNS0_4arch9wavefront6targetE1EEEvT1_,@function
_ZN7rocprim17ROCPRIM_400000_NS6detail17trampoline_kernelINS0_14default_configENS1_25partition_config_selectorILNS1_17partition_subalgoE8ElNS0_10empty_typeEbEEZZNS1_14partition_implILS5_8ELb0ES3_jPKlPS6_PKS6_NS0_5tupleIJPlS6_EEENSE_IJSB_SB_EEENS0_18inequality_wrapperIN6hipcub16HIPCUB_304000_NS8EqualityEEESF_JS6_EEE10hipError_tPvRmT3_T4_T5_T6_T7_T9_mT8_P12ihipStream_tbDpT10_ENKUlT_T0_E_clISt17integral_constantIbLb0EES16_EEDaS11_S12_EUlS11_E_NS1_11comp_targetILNS1_3genE3ELNS1_11target_archE908ELNS1_3gpuE7ELNS1_3repE0EEENS1_30default_config_static_selectorELNS0_4arch9wavefront6targetE1EEEvT1_: ; @_ZN7rocprim17ROCPRIM_400000_NS6detail17trampoline_kernelINS0_14default_configENS1_25partition_config_selectorILNS1_17partition_subalgoE8ElNS0_10empty_typeEbEEZZNS1_14partition_implILS5_8ELb0ES3_jPKlPS6_PKS6_NS0_5tupleIJPlS6_EEENSE_IJSB_SB_EEENS0_18inequality_wrapperIN6hipcub16HIPCUB_304000_NS8EqualityEEESF_JS6_EEE10hipError_tPvRmT3_T4_T5_T6_T7_T9_mT8_P12ihipStream_tbDpT10_ENKUlT_T0_E_clISt17integral_constantIbLb0EES16_EEDaS11_S12_EUlS11_E_NS1_11comp_targetILNS1_3genE3ELNS1_11target_archE908ELNS1_3gpuE7ELNS1_3repE0EEENS1_30default_config_static_selectorELNS0_4arch9wavefront6targetE1EEEvT1_
; %bb.0:
	.section	.rodata,"a",@progbits
	.p2align	6, 0x0
	.amdhsa_kernel _ZN7rocprim17ROCPRIM_400000_NS6detail17trampoline_kernelINS0_14default_configENS1_25partition_config_selectorILNS1_17partition_subalgoE8ElNS0_10empty_typeEbEEZZNS1_14partition_implILS5_8ELb0ES3_jPKlPS6_PKS6_NS0_5tupleIJPlS6_EEENSE_IJSB_SB_EEENS0_18inequality_wrapperIN6hipcub16HIPCUB_304000_NS8EqualityEEESF_JS6_EEE10hipError_tPvRmT3_T4_T5_T6_T7_T9_mT8_P12ihipStream_tbDpT10_ENKUlT_T0_E_clISt17integral_constantIbLb0EES16_EEDaS11_S12_EUlS11_E_NS1_11comp_targetILNS1_3genE3ELNS1_11target_archE908ELNS1_3gpuE7ELNS1_3repE0EEENS1_30default_config_static_selectorELNS0_4arch9wavefront6targetE1EEEvT1_
		.amdhsa_group_segment_fixed_size 0
		.amdhsa_private_segment_fixed_size 0
		.amdhsa_kernarg_size 112
		.amdhsa_user_sgpr_count 2
		.amdhsa_user_sgpr_dispatch_ptr 0
		.amdhsa_user_sgpr_queue_ptr 0
		.amdhsa_user_sgpr_kernarg_segment_ptr 1
		.amdhsa_user_sgpr_dispatch_id 0
		.amdhsa_user_sgpr_kernarg_preload_length 0
		.amdhsa_user_sgpr_kernarg_preload_offset 0
		.amdhsa_user_sgpr_private_segment_size 0
		.amdhsa_uses_dynamic_stack 0
		.amdhsa_enable_private_segment 0
		.amdhsa_system_sgpr_workgroup_id_x 1
		.amdhsa_system_sgpr_workgroup_id_y 0
		.amdhsa_system_sgpr_workgroup_id_z 0
		.amdhsa_system_sgpr_workgroup_info 0
		.amdhsa_system_vgpr_workitem_id 0
		.amdhsa_next_free_vgpr 1
		.amdhsa_next_free_sgpr 0
		.amdhsa_accum_offset 4
		.amdhsa_reserve_vcc 0
		.amdhsa_float_round_mode_32 0
		.amdhsa_float_round_mode_16_64 0
		.amdhsa_float_denorm_mode_32 3
		.amdhsa_float_denorm_mode_16_64 3
		.amdhsa_dx10_clamp 1
		.amdhsa_ieee_mode 1
		.amdhsa_fp16_overflow 0
		.amdhsa_tg_split 0
		.amdhsa_exception_fp_ieee_invalid_op 0
		.amdhsa_exception_fp_denorm_src 0
		.amdhsa_exception_fp_ieee_div_zero 0
		.amdhsa_exception_fp_ieee_overflow 0
		.amdhsa_exception_fp_ieee_underflow 0
		.amdhsa_exception_fp_ieee_inexact 0
		.amdhsa_exception_int_div_zero 0
	.end_amdhsa_kernel
	.section	.text._ZN7rocprim17ROCPRIM_400000_NS6detail17trampoline_kernelINS0_14default_configENS1_25partition_config_selectorILNS1_17partition_subalgoE8ElNS0_10empty_typeEbEEZZNS1_14partition_implILS5_8ELb0ES3_jPKlPS6_PKS6_NS0_5tupleIJPlS6_EEENSE_IJSB_SB_EEENS0_18inequality_wrapperIN6hipcub16HIPCUB_304000_NS8EqualityEEESF_JS6_EEE10hipError_tPvRmT3_T4_T5_T6_T7_T9_mT8_P12ihipStream_tbDpT10_ENKUlT_T0_E_clISt17integral_constantIbLb0EES16_EEDaS11_S12_EUlS11_E_NS1_11comp_targetILNS1_3genE3ELNS1_11target_archE908ELNS1_3gpuE7ELNS1_3repE0EEENS1_30default_config_static_selectorELNS0_4arch9wavefront6targetE1EEEvT1_,"axG",@progbits,_ZN7rocprim17ROCPRIM_400000_NS6detail17trampoline_kernelINS0_14default_configENS1_25partition_config_selectorILNS1_17partition_subalgoE8ElNS0_10empty_typeEbEEZZNS1_14partition_implILS5_8ELb0ES3_jPKlPS6_PKS6_NS0_5tupleIJPlS6_EEENSE_IJSB_SB_EEENS0_18inequality_wrapperIN6hipcub16HIPCUB_304000_NS8EqualityEEESF_JS6_EEE10hipError_tPvRmT3_T4_T5_T6_T7_T9_mT8_P12ihipStream_tbDpT10_ENKUlT_T0_E_clISt17integral_constantIbLb0EES16_EEDaS11_S12_EUlS11_E_NS1_11comp_targetILNS1_3genE3ELNS1_11target_archE908ELNS1_3gpuE7ELNS1_3repE0EEENS1_30default_config_static_selectorELNS0_4arch9wavefront6targetE1EEEvT1_,comdat
.Lfunc_end229:
	.size	_ZN7rocprim17ROCPRIM_400000_NS6detail17trampoline_kernelINS0_14default_configENS1_25partition_config_selectorILNS1_17partition_subalgoE8ElNS0_10empty_typeEbEEZZNS1_14partition_implILS5_8ELb0ES3_jPKlPS6_PKS6_NS0_5tupleIJPlS6_EEENSE_IJSB_SB_EEENS0_18inequality_wrapperIN6hipcub16HIPCUB_304000_NS8EqualityEEESF_JS6_EEE10hipError_tPvRmT3_T4_T5_T6_T7_T9_mT8_P12ihipStream_tbDpT10_ENKUlT_T0_E_clISt17integral_constantIbLb0EES16_EEDaS11_S12_EUlS11_E_NS1_11comp_targetILNS1_3genE3ELNS1_11target_archE908ELNS1_3gpuE7ELNS1_3repE0EEENS1_30default_config_static_selectorELNS0_4arch9wavefront6targetE1EEEvT1_, .Lfunc_end229-_ZN7rocprim17ROCPRIM_400000_NS6detail17trampoline_kernelINS0_14default_configENS1_25partition_config_selectorILNS1_17partition_subalgoE8ElNS0_10empty_typeEbEEZZNS1_14partition_implILS5_8ELb0ES3_jPKlPS6_PKS6_NS0_5tupleIJPlS6_EEENSE_IJSB_SB_EEENS0_18inequality_wrapperIN6hipcub16HIPCUB_304000_NS8EqualityEEESF_JS6_EEE10hipError_tPvRmT3_T4_T5_T6_T7_T9_mT8_P12ihipStream_tbDpT10_ENKUlT_T0_E_clISt17integral_constantIbLb0EES16_EEDaS11_S12_EUlS11_E_NS1_11comp_targetILNS1_3genE3ELNS1_11target_archE908ELNS1_3gpuE7ELNS1_3repE0EEENS1_30default_config_static_selectorELNS0_4arch9wavefront6targetE1EEEvT1_
                                        ; -- End function
	.section	.AMDGPU.csdata,"",@progbits
; Kernel info:
; codeLenInByte = 0
; NumSgprs: 6
; NumVgprs: 0
; NumAgprs: 0
; TotalNumVgprs: 0
; ScratchSize: 0
; MemoryBound: 0
; FloatMode: 240
; IeeeMode: 1
; LDSByteSize: 0 bytes/workgroup (compile time only)
; SGPRBlocks: 0
; VGPRBlocks: 0
; NumSGPRsForWavesPerEU: 6
; NumVGPRsForWavesPerEU: 1
; AccumOffset: 4
; Occupancy: 8
; WaveLimiterHint : 0
; COMPUTE_PGM_RSRC2:SCRATCH_EN: 0
; COMPUTE_PGM_RSRC2:USER_SGPR: 2
; COMPUTE_PGM_RSRC2:TRAP_HANDLER: 0
; COMPUTE_PGM_RSRC2:TGID_X_EN: 1
; COMPUTE_PGM_RSRC2:TGID_Y_EN: 0
; COMPUTE_PGM_RSRC2:TGID_Z_EN: 0
; COMPUTE_PGM_RSRC2:TIDIG_COMP_CNT: 0
; COMPUTE_PGM_RSRC3_GFX90A:ACCUM_OFFSET: 0
; COMPUTE_PGM_RSRC3_GFX90A:TG_SPLIT: 0
	.section	.text._ZN7rocprim17ROCPRIM_400000_NS6detail17trampoline_kernelINS0_14default_configENS1_25partition_config_selectorILNS1_17partition_subalgoE8ElNS0_10empty_typeEbEEZZNS1_14partition_implILS5_8ELb0ES3_jPKlPS6_PKS6_NS0_5tupleIJPlS6_EEENSE_IJSB_SB_EEENS0_18inequality_wrapperIN6hipcub16HIPCUB_304000_NS8EqualityEEESF_JS6_EEE10hipError_tPvRmT3_T4_T5_T6_T7_T9_mT8_P12ihipStream_tbDpT10_ENKUlT_T0_E_clISt17integral_constantIbLb0EES16_EEDaS11_S12_EUlS11_E_NS1_11comp_targetILNS1_3genE2ELNS1_11target_archE906ELNS1_3gpuE6ELNS1_3repE0EEENS1_30default_config_static_selectorELNS0_4arch9wavefront6targetE1EEEvT1_,"axG",@progbits,_ZN7rocprim17ROCPRIM_400000_NS6detail17trampoline_kernelINS0_14default_configENS1_25partition_config_selectorILNS1_17partition_subalgoE8ElNS0_10empty_typeEbEEZZNS1_14partition_implILS5_8ELb0ES3_jPKlPS6_PKS6_NS0_5tupleIJPlS6_EEENSE_IJSB_SB_EEENS0_18inequality_wrapperIN6hipcub16HIPCUB_304000_NS8EqualityEEESF_JS6_EEE10hipError_tPvRmT3_T4_T5_T6_T7_T9_mT8_P12ihipStream_tbDpT10_ENKUlT_T0_E_clISt17integral_constantIbLb0EES16_EEDaS11_S12_EUlS11_E_NS1_11comp_targetILNS1_3genE2ELNS1_11target_archE906ELNS1_3gpuE6ELNS1_3repE0EEENS1_30default_config_static_selectorELNS0_4arch9wavefront6targetE1EEEvT1_,comdat
	.protected	_ZN7rocprim17ROCPRIM_400000_NS6detail17trampoline_kernelINS0_14default_configENS1_25partition_config_selectorILNS1_17partition_subalgoE8ElNS0_10empty_typeEbEEZZNS1_14partition_implILS5_8ELb0ES3_jPKlPS6_PKS6_NS0_5tupleIJPlS6_EEENSE_IJSB_SB_EEENS0_18inequality_wrapperIN6hipcub16HIPCUB_304000_NS8EqualityEEESF_JS6_EEE10hipError_tPvRmT3_T4_T5_T6_T7_T9_mT8_P12ihipStream_tbDpT10_ENKUlT_T0_E_clISt17integral_constantIbLb0EES16_EEDaS11_S12_EUlS11_E_NS1_11comp_targetILNS1_3genE2ELNS1_11target_archE906ELNS1_3gpuE6ELNS1_3repE0EEENS1_30default_config_static_selectorELNS0_4arch9wavefront6targetE1EEEvT1_ ; -- Begin function _ZN7rocprim17ROCPRIM_400000_NS6detail17trampoline_kernelINS0_14default_configENS1_25partition_config_selectorILNS1_17partition_subalgoE8ElNS0_10empty_typeEbEEZZNS1_14partition_implILS5_8ELb0ES3_jPKlPS6_PKS6_NS0_5tupleIJPlS6_EEENSE_IJSB_SB_EEENS0_18inequality_wrapperIN6hipcub16HIPCUB_304000_NS8EqualityEEESF_JS6_EEE10hipError_tPvRmT3_T4_T5_T6_T7_T9_mT8_P12ihipStream_tbDpT10_ENKUlT_T0_E_clISt17integral_constantIbLb0EES16_EEDaS11_S12_EUlS11_E_NS1_11comp_targetILNS1_3genE2ELNS1_11target_archE906ELNS1_3gpuE6ELNS1_3repE0EEENS1_30default_config_static_selectorELNS0_4arch9wavefront6targetE1EEEvT1_
	.globl	_ZN7rocprim17ROCPRIM_400000_NS6detail17trampoline_kernelINS0_14default_configENS1_25partition_config_selectorILNS1_17partition_subalgoE8ElNS0_10empty_typeEbEEZZNS1_14partition_implILS5_8ELb0ES3_jPKlPS6_PKS6_NS0_5tupleIJPlS6_EEENSE_IJSB_SB_EEENS0_18inequality_wrapperIN6hipcub16HIPCUB_304000_NS8EqualityEEESF_JS6_EEE10hipError_tPvRmT3_T4_T5_T6_T7_T9_mT8_P12ihipStream_tbDpT10_ENKUlT_T0_E_clISt17integral_constantIbLb0EES16_EEDaS11_S12_EUlS11_E_NS1_11comp_targetILNS1_3genE2ELNS1_11target_archE906ELNS1_3gpuE6ELNS1_3repE0EEENS1_30default_config_static_selectorELNS0_4arch9wavefront6targetE1EEEvT1_
	.p2align	8
	.type	_ZN7rocprim17ROCPRIM_400000_NS6detail17trampoline_kernelINS0_14default_configENS1_25partition_config_selectorILNS1_17partition_subalgoE8ElNS0_10empty_typeEbEEZZNS1_14partition_implILS5_8ELb0ES3_jPKlPS6_PKS6_NS0_5tupleIJPlS6_EEENSE_IJSB_SB_EEENS0_18inequality_wrapperIN6hipcub16HIPCUB_304000_NS8EqualityEEESF_JS6_EEE10hipError_tPvRmT3_T4_T5_T6_T7_T9_mT8_P12ihipStream_tbDpT10_ENKUlT_T0_E_clISt17integral_constantIbLb0EES16_EEDaS11_S12_EUlS11_E_NS1_11comp_targetILNS1_3genE2ELNS1_11target_archE906ELNS1_3gpuE6ELNS1_3repE0EEENS1_30default_config_static_selectorELNS0_4arch9wavefront6targetE1EEEvT1_,@function
_ZN7rocprim17ROCPRIM_400000_NS6detail17trampoline_kernelINS0_14default_configENS1_25partition_config_selectorILNS1_17partition_subalgoE8ElNS0_10empty_typeEbEEZZNS1_14partition_implILS5_8ELb0ES3_jPKlPS6_PKS6_NS0_5tupleIJPlS6_EEENSE_IJSB_SB_EEENS0_18inequality_wrapperIN6hipcub16HIPCUB_304000_NS8EqualityEEESF_JS6_EEE10hipError_tPvRmT3_T4_T5_T6_T7_T9_mT8_P12ihipStream_tbDpT10_ENKUlT_T0_E_clISt17integral_constantIbLb0EES16_EEDaS11_S12_EUlS11_E_NS1_11comp_targetILNS1_3genE2ELNS1_11target_archE906ELNS1_3gpuE6ELNS1_3repE0EEENS1_30default_config_static_selectorELNS0_4arch9wavefront6targetE1EEEvT1_: ; @_ZN7rocprim17ROCPRIM_400000_NS6detail17trampoline_kernelINS0_14default_configENS1_25partition_config_selectorILNS1_17partition_subalgoE8ElNS0_10empty_typeEbEEZZNS1_14partition_implILS5_8ELb0ES3_jPKlPS6_PKS6_NS0_5tupleIJPlS6_EEENSE_IJSB_SB_EEENS0_18inequality_wrapperIN6hipcub16HIPCUB_304000_NS8EqualityEEESF_JS6_EEE10hipError_tPvRmT3_T4_T5_T6_T7_T9_mT8_P12ihipStream_tbDpT10_ENKUlT_T0_E_clISt17integral_constantIbLb0EES16_EEDaS11_S12_EUlS11_E_NS1_11comp_targetILNS1_3genE2ELNS1_11target_archE906ELNS1_3gpuE6ELNS1_3repE0EEENS1_30default_config_static_selectorELNS0_4arch9wavefront6targetE1EEEvT1_
; %bb.0:
	.section	.rodata,"a",@progbits
	.p2align	6, 0x0
	.amdhsa_kernel _ZN7rocprim17ROCPRIM_400000_NS6detail17trampoline_kernelINS0_14default_configENS1_25partition_config_selectorILNS1_17partition_subalgoE8ElNS0_10empty_typeEbEEZZNS1_14partition_implILS5_8ELb0ES3_jPKlPS6_PKS6_NS0_5tupleIJPlS6_EEENSE_IJSB_SB_EEENS0_18inequality_wrapperIN6hipcub16HIPCUB_304000_NS8EqualityEEESF_JS6_EEE10hipError_tPvRmT3_T4_T5_T6_T7_T9_mT8_P12ihipStream_tbDpT10_ENKUlT_T0_E_clISt17integral_constantIbLb0EES16_EEDaS11_S12_EUlS11_E_NS1_11comp_targetILNS1_3genE2ELNS1_11target_archE906ELNS1_3gpuE6ELNS1_3repE0EEENS1_30default_config_static_selectorELNS0_4arch9wavefront6targetE1EEEvT1_
		.amdhsa_group_segment_fixed_size 0
		.amdhsa_private_segment_fixed_size 0
		.amdhsa_kernarg_size 112
		.amdhsa_user_sgpr_count 2
		.amdhsa_user_sgpr_dispatch_ptr 0
		.amdhsa_user_sgpr_queue_ptr 0
		.amdhsa_user_sgpr_kernarg_segment_ptr 1
		.amdhsa_user_sgpr_dispatch_id 0
		.amdhsa_user_sgpr_kernarg_preload_length 0
		.amdhsa_user_sgpr_kernarg_preload_offset 0
		.amdhsa_user_sgpr_private_segment_size 0
		.amdhsa_uses_dynamic_stack 0
		.amdhsa_enable_private_segment 0
		.amdhsa_system_sgpr_workgroup_id_x 1
		.amdhsa_system_sgpr_workgroup_id_y 0
		.amdhsa_system_sgpr_workgroup_id_z 0
		.amdhsa_system_sgpr_workgroup_info 0
		.amdhsa_system_vgpr_workitem_id 0
		.amdhsa_next_free_vgpr 1
		.amdhsa_next_free_sgpr 0
		.amdhsa_accum_offset 4
		.amdhsa_reserve_vcc 0
		.amdhsa_float_round_mode_32 0
		.amdhsa_float_round_mode_16_64 0
		.amdhsa_float_denorm_mode_32 3
		.amdhsa_float_denorm_mode_16_64 3
		.amdhsa_dx10_clamp 1
		.amdhsa_ieee_mode 1
		.amdhsa_fp16_overflow 0
		.amdhsa_tg_split 0
		.amdhsa_exception_fp_ieee_invalid_op 0
		.amdhsa_exception_fp_denorm_src 0
		.amdhsa_exception_fp_ieee_div_zero 0
		.amdhsa_exception_fp_ieee_overflow 0
		.amdhsa_exception_fp_ieee_underflow 0
		.amdhsa_exception_fp_ieee_inexact 0
		.amdhsa_exception_int_div_zero 0
	.end_amdhsa_kernel
	.section	.text._ZN7rocprim17ROCPRIM_400000_NS6detail17trampoline_kernelINS0_14default_configENS1_25partition_config_selectorILNS1_17partition_subalgoE8ElNS0_10empty_typeEbEEZZNS1_14partition_implILS5_8ELb0ES3_jPKlPS6_PKS6_NS0_5tupleIJPlS6_EEENSE_IJSB_SB_EEENS0_18inequality_wrapperIN6hipcub16HIPCUB_304000_NS8EqualityEEESF_JS6_EEE10hipError_tPvRmT3_T4_T5_T6_T7_T9_mT8_P12ihipStream_tbDpT10_ENKUlT_T0_E_clISt17integral_constantIbLb0EES16_EEDaS11_S12_EUlS11_E_NS1_11comp_targetILNS1_3genE2ELNS1_11target_archE906ELNS1_3gpuE6ELNS1_3repE0EEENS1_30default_config_static_selectorELNS0_4arch9wavefront6targetE1EEEvT1_,"axG",@progbits,_ZN7rocprim17ROCPRIM_400000_NS6detail17trampoline_kernelINS0_14default_configENS1_25partition_config_selectorILNS1_17partition_subalgoE8ElNS0_10empty_typeEbEEZZNS1_14partition_implILS5_8ELb0ES3_jPKlPS6_PKS6_NS0_5tupleIJPlS6_EEENSE_IJSB_SB_EEENS0_18inequality_wrapperIN6hipcub16HIPCUB_304000_NS8EqualityEEESF_JS6_EEE10hipError_tPvRmT3_T4_T5_T6_T7_T9_mT8_P12ihipStream_tbDpT10_ENKUlT_T0_E_clISt17integral_constantIbLb0EES16_EEDaS11_S12_EUlS11_E_NS1_11comp_targetILNS1_3genE2ELNS1_11target_archE906ELNS1_3gpuE6ELNS1_3repE0EEENS1_30default_config_static_selectorELNS0_4arch9wavefront6targetE1EEEvT1_,comdat
.Lfunc_end230:
	.size	_ZN7rocprim17ROCPRIM_400000_NS6detail17trampoline_kernelINS0_14default_configENS1_25partition_config_selectorILNS1_17partition_subalgoE8ElNS0_10empty_typeEbEEZZNS1_14partition_implILS5_8ELb0ES3_jPKlPS6_PKS6_NS0_5tupleIJPlS6_EEENSE_IJSB_SB_EEENS0_18inequality_wrapperIN6hipcub16HIPCUB_304000_NS8EqualityEEESF_JS6_EEE10hipError_tPvRmT3_T4_T5_T6_T7_T9_mT8_P12ihipStream_tbDpT10_ENKUlT_T0_E_clISt17integral_constantIbLb0EES16_EEDaS11_S12_EUlS11_E_NS1_11comp_targetILNS1_3genE2ELNS1_11target_archE906ELNS1_3gpuE6ELNS1_3repE0EEENS1_30default_config_static_selectorELNS0_4arch9wavefront6targetE1EEEvT1_, .Lfunc_end230-_ZN7rocprim17ROCPRIM_400000_NS6detail17trampoline_kernelINS0_14default_configENS1_25partition_config_selectorILNS1_17partition_subalgoE8ElNS0_10empty_typeEbEEZZNS1_14partition_implILS5_8ELb0ES3_jPKlPS6_PKS6_NS0_5tupleIJPlS6_EEENSE_IJSB_SB_EEENS0_18inequality_wrapperIN6hipcub16HIPCUB_304000_NS8EqualityEEESF_JS6_EEE10hipError_tPvRmT3_T4_T5_T6_T7_T9_mT8_P12ihipStream_tbDpT10_ENKUlT_T0_E_clISt17integral_constantIbLb0EES16_EEDaS11_S12_EUlS11_E_NS1_11comp_targetILNS1_3genE2ELNS1_11target_archE906ELNS1_3gpuE6ELNS1_3repE0EEENS1_30default_config_static_selectorELNS0_4arch9wavefront6targetE1EEEvT1_
                                        ; -- End function
	.section	.AMDGPU.csdata,"",@progbits
; Kernel info:
; codeLenInByte = 0
; NumSgprs: 6
; NumVgprs: 0
; NumAgprs: 0
; TotalNumVgprs: 0
; ScratchSize: 0
; MemoryBound: 0
; FloatMode: 240
; IeeeMode: 1
; LDSByteSize: 0 bytes/workgroup (compile time only)
; SGPRBlocks: 0
; VGPRBlocks: 0
; NumSGPRsForWavesPerEU: 6
; NumVGPRsForWavesPerEU: 1
; AccumOffset: 4
; Occupancy: 8
; WaveLimiterHint : 0
; COMPUTE_PGM_RSRC2:SCRATCH_EN: 0
; COMPUTE_PGM_RSRC2:USER_SGPR: 2
; COMPUTE_PGM_RSRC2:TRAP_HANDLER: 0
; COMPUTE_PGM_RSRC2:TGID_X_EN: 1
; COMPUTE_PGM_RSRC2:TGID_Y_EN: 0
; COMPUTE_PGM_RSRC2:TGID_Z_EN: 0
; COMPUTE_PGM_RSRC2:TIDIG_COMP_CNT: 0
; COMPUTE_PGM_RSRC3_GFX90A:ACCUM_OFFSET: 0
; COMPUTE_PGM_RSRC3_GFX90A:TG_SPLIT: 0
	.section	.text._ZN7rocprim17ROCPRIM_400000_NS6detail17trampoline_kernelINS0_14default_configENS1_25partition_config_selectorILNS1_17partition_subalgoE8ElNS0_10empty_typeEbEEZZNS1_14partition_implILS5_8ELb0ES3_jPKlPS6_PKS6_NS0_5tupleIJPlS6_EEENSE_IJSB_SB_EEENS0_18inequality_wrapperIN6hipcub16HIPCUB_304000_NS8EqualityEEESF_JS6_EEE10hipError_tPvRmT3_T4_T5_T6_T7_T9_mT8_P12ihipStream_tbDpT10_ENKUlT_T0_E_clISt17integral_constantIbLb0EES16_EEDaS11_S12_EUlS11_E_NS1_11comp_targetILNS1_3genE10ELNS1_11target_archE1200ELNS1_3gpuE4ELNS1_3repE0EEENS1_30default_config_static_selectorELNS0_4arch9wavefront6targetE1EEEvT1_,"axG",@progbits,_ZN7rocprim17ROCPRIM_400000_NS6detail17trampoline_kernelINS0_14default_configENS1_25partition_config_selectorILNS1_17partition_subalgoE8ElNS0_10empty_typeEbEEZZNS1_14partition_implILS5_8ELb0ES3_jPKlPS6_PKS6_NS0_5tupleIJPlS6_EEENSE_IJSB_SB_EEENS0_18inequality_wrapperIN6hipcub16HIPCUB_304000_NS8EqualityEEESF_JS6_EEE10hipError_tPvRmT3_T4_T5_T6_T7_T9_mT8_P12ihipStream_tbDpT10_ENKUlT_T0_E_clISt17integral_constantIbLb0EES16_EEDaS11_S12_EUlS11_E_NS1_11comp_targetILNS1_3genE10ELNS1_11target_archE1200ELNS1_3gpuE4ELNS1_3repE0EEENS1_30default_config_static_selectorELNS0_4arch9wavefront6targetE1EEEvT1_,comdat
	.protected	_ZN7rocprim17ROCPRIM_400000_NS6detail17trampoline_kernelINS0_14default_configENS1_25partition_config_selectorILNS1_17partition_subalgoE8ElNS0_10empty_typeEbEEZZNS1_14partition_implILS5_8ELb0ES3_jPKlPS6_PKS6_NS0_5tupleIJPlS6_EEENSE_IJSB_SB_EEENS0_18inequality_wrapperIN6hipcub16HIPCUB_304000_NS8EqualityEEESF_JS6_EEE10hipError_tPvRmT3_T4_T5_T6_T7_T9_mT8_P12ihipStream_tbDpT10_ENKUlT_T0_E_clISt17integral_constantIbLb0EES16_EEDaS11_S12_EUlS11_E_NS1_11comp_targetILNS1_3genE10ELNS1_11target_archE1200ELNS1_3gpuE4ELNS1_3repE0EEENS1_30default_config_static_selectorELNS0_4arch9wavefront6targetE1EEEvT1_ ; -- Begin function _ZN7rocprim17ROCPRIM_400000_NS6detail17trampoline_kernelINS0_14default_configENS1_25partition_config_selectorILNS1_17partition_subalgoE8ElNS0_10empty_typeEbEEZZNS1_14partition_implILS5_8ELb0ES3_jPKlPS6_PKS6_NS0_5tupleIJPlS6_EEENSE_IJSB_SB_EEENS0_18inequality_wrapperIN6hipcub16HIPCUB_304000_NS8EqualityEEESF_JS6_EEE10hipError_tPvRmT3_T4_T5_T6_T7_T9_mT8_P12ihipStream_tbDpT10_ENKUlT_T0_E_clISt17integral_constantIbLb0EES16_EEDaS11_S12_EUlS11_E_NS1_11comp_targetILNS1_3genE10ELNS1_11target_archE1200ELNS1_3gpuE4ELNS1_3repE0EEENS1_30default_config_static_selectorELNS0_4arch9wavefront6targetE1EEEvT1_
	.globl	_ZN7rocprim17ROCPRIM_400000_NS6detail17trampoline_kernelINS0_14default_configENS1_25partition_config_selectorILNS1_17partition_subalgoE8ElNS0_10empty_typeEbEEZZNS1_14partition_implILS5_8ELb0ES3_jPKlPS6_PKS6_NS0_5tupleIJPlS6_EEENSE_IJSB_SB_EEENS0_18inequality_wrapperIN6hipcub16HIPCUB_304000_NS8EqualityEEESF_JS6_EEE10hipError_tPvRmT3_T4_T5_T6_T7_T9_mT8_P12ihipStream_tbDpT10_ENKUlT_T0_E_clISt17integral_constantIbLb0EES16_EEDaS11_S12_EUlS11_E_NS1_11comp_targetILNS1_3genE10ELNS1_11target_archE1200ELNS1_3gpuE4ELNS1_3repE0EEENS1_30default_config_static_selectorELNS0_4arch9wavefront6targetE1EEEvT1_
	.p2align	8
	.type	_ZN7rocprim17ROCPRIM_400000_NS6detail17trampoline_kernelINS0_14default_configENS1_25partition_config_selectorILNS1_17partition_subalgoE8ElNS0_10empty_typeEbEEZZNS1_14partition_implILS5_8ELb0ES3_jPKlPS6_PKS6_NS0_5tupleIJPlS6_EEENSE_IJSB_SB_EEENS0_18inequality_wrapperIN6hipcub16HIPCUB_304000_NS8EqualityEEESF_JS6_EEE10hipError_tPvRmT3_T4_T5_T6_T7_T9_mT8_P12ihipStream_tbDpT10_ENKUlT_T0_E_clISt17integral_constantIbLb0EES16_EEDaS11_S12_EUlS11_E_NS1_11comp_targetILNS1_3genE10ELNS1_11target_archE1200ELNS1_3gpuE4ELNS1_3repE0EEENS1_30default_config_static_selectorELNS0_4arch9wavefront6targetE1EEEvT1_,@function
_ZN7rocprim17ROCPRIM_400000_NS6detail17trampoline_kernelINS0_14default_configENS1_25partition_config_selectorILNS1_17partition_subalgoE8ElNS0_10empty_typeEbEEZZNS1_14partition_implILS5_8ELb0ES3_jPKlPS6_PKS6_NS0_5tupleIJPlS6_EEENSE_IJSB_SB_EEENS0_18inequality_wrapperIN6hipcub16HIPCUB_304000_NS8EqualityEEESF_JS6_EEE10hipError_tPvRmT3_T4_T5_T6_T7_T9_mT8_P12ihipStream_tbDpT10_ENKUlT_T0_E_clISt17integral_constantIbLb0EES16_EEDaS11_S12_EUlS11_E_NS1_11comp_targetILNS1_3genE10ELNS1_11target_archE1200ELNS1_3gpuE4ELNS1_3repE0EEENS1_30default_config_static_selectorELNS0_4arch9wavefront6targetE1EEEvT1_: ; @_ZN7rocprim17ROCPRIM_400000_NS6detail17trampoline_kernelINS0_14default_configENS1_25partition_config_selectorILNS1_17partition_subalgoE8ElNS0_10empty_typeEbEEZZNS1_14partition_implILS5_8ELb0ES3_jPKlPS6_PKS6_NS0_5tupleIJPlS6_EEENSE_IJSB_SB_EEENS0_18inequality_wrapperIN6hipcub16HIPCUB_304000_NS8EqualityEEESF_JS6_EEE10hipError_tPvRmT3_T4_T5_T6_T7_T9_mT8_P12ihipStream_tbDpT10_ENKUlT_T0_E_clISt17integral_constantIbLb0EES16_EEDaS11_S12_EUlS11_E_NS1_11comp_targetILNS1_3genE10ELNS1_11target_archE1200ELNS1_3gpuE4ELNS1_3repE0EEENS1_30default_config_static_selectorELNS0_4arch9wavefront6targetE1EEEvT1_
; %bb.0:
	.section	.rodata,"a",@progbits
	.p2align	6, 0x0
	.amdhsa_kernel _ZN7rocprim17ROCPRIM_400000_NS6detail17trampoline_kernelINS0_14default_configENS1_25partition_config_selectorILNS1_17partition_subalgoE8ElNS0_10empty_typeEbEEZZNS1_14partition_implILS5_8ELb0ES3_jPKlPS6_PKS6_NS0_5tupleIJPlS6_EEENSE_IJSB_SB_EEENS0_18inequality_wrapperIN6hipcub16HIPCUB_304000_NS8EqualityEEESF_JS6_EEE10hipError_tPvRmT3_T4_T5_T6_T7_T9_mT8_P12ihipStream_tbDpT10_ENKUlT_T0_E_clISt17integral_constantIbLb0EES16_EEDaS11_S12_EUlS11_E_NS1_11comp_targetILNS1_3genE10ELNS1_11target_archE1200ELNS1_3gpuE4ELNS1_3repE0EEENS1_30default_config_static_selectorELNS0_4arch9wavefront6targetE1EEEvT1_
		.amdhsa_group_segment_fixed_size 0
		.amdhsa_private_segment_fixed_size 0
		.amdhsa_kernarg_size 112
		.amdhsa_user_sgpr_count 2
		.amdhsa_user_sgpr_dispatch_ptr 0
		.amdhsa_user_sgpr_queue_ptr 0
		.amdhsa_user_sgpr_kernarg_segment_ptr 1
		.amdhsa_user_sgpr_dispatch_id 0
		.amdhsa_user_sgpr_kernarg_preload_length 0
		.amdhsa_user_sgpr_kernarg_preload_offset 0
		.amdhsa_user_sgpr_private_segment_size 0
		.amdhsa_uses_dynamic_stack 0
		.amdhsa_enable_private_segment 0
		.amdhsa_system_sgpr_workgroup_id_x 1
		.amdhsa_system_sgpr_workgroup_id_y 0
		.amdhsa_system_sgpr_workgroup_id_z 0
		.amdhsa_system_sgpr_workgroup_info 0
		.amdhsa_system_vgpr_workitem_id 0
		.amdhsa_next_free_vgpr 1
		.amdhsa_next_free_sgpr 0
		.amdhsa_accum_offset 4
		.amdhsa_reserve_vcc 0
		.amdhsa_float_round_mode_32 0
		.amdhsa_float_round_mode_16_64 0
		.amdhsa_float_denorm_mode_32 3
		.amdhsa_float_denorm_mode_16_64 3
		.amdhsa_dx10_clamp 1
		.amdhsa_ieee_mode 1
		.amdhsa_fp16_overflow 0
		.amdhsa_tg_split 0
		.amdhsa_exception_fp_ieee_invalid_op 0
		.amdhsa_exception_fp_denorm_src 0
		.amdhsa_exception_fp_ieee_div_zero 0
		.amdhsa_exception_fp_ieee_overflow 0
		.amdhsa_exception_fp_ieee_underflow 0
		.amdhsa_exception_fp_ieee_inexact 0
		.amdhsa_exception_int_div_zero 0
	.end_amdhsa_kernel
	.section	.text._ZN7rocprim17ROCPRIM_400000_NS6detail17trampoline_kernelINS0_14default_configENS1_25partition_config_selectorILNS1_17partition_subalgoE8ElNS0_10empty_typeEbEEZZNS1_14partition_implILS5_8ELb0ES3_jPKlPS6_PKS6_NS0_5tupleIJPlS6_EEENSE_IJSB_SB_EEENS0_18inequality_wrapperIN6hipcub16HIPCUB_304000_NS8EqualityEEESF_JS6_EEE10hipError_tPvRmT3_T4_T5_T6_T7_T9_mT8_P12ihipStream_tbDpT10_ENKUlT_T0_E_clISt17integral_constantIbLb0EES16_EEDaS11_S12_EUlS11_E_NS1_11comp_targetILNS1_3genE10ELNS1_11target_archE1200ELNS1_3gpuE4ELNS1_3repE0EEENS1_30default_config_static_selectorELNS0_4arch9wavefront6targetE1EEEvT1_,"axG",@progbits,_ZN7rocprim17ROCPRIM_400000_NS6detail17trampoline_kernelINS0_14default_configENS1_25partition_config_selectorILNS1_17partition_subalgoE8ElNS0_10empty_typeEbEEZZNS1_14partition_implILS5_8ELb0ES3_jPKlPS6_PKS6_NS0_5tupleIJPlS6_EEENSE_IJSB_SB_EEENS0_18inequality_wrapperIN6hipcub16HIPCUB_304000_NS8EqualityEEESF_JS6_EEE10hipError_tPvRmT3_T4_T5_T6_T7_T9_mT8_P12ihipStream_tbDpT10_ENKUlT_T0_E_clISt17integral_constantIbLb0EES16_EEDaS11_S12_EUlS11_E_NS1_11comp_targetILNS1_3genE10ELNS1_11target_archE1200ELNS1_3gpuE4ELNS1_3repE0EEENS1_30default_config_static_selectorELNS0_4arch9wavefront6targetE1EEEvT1_,comdat
.Lfunc_end231:
	.size	_ZN7rocprim17ROCPRIM_400000_NS6detail17trampoline_kernelINS0_14default_configENS1_25partition_config_selectorILNS1_17partition_subalgoE8ElNS0_10empty_typeEbEEZZNS1_14partition_implILS5_8ELb0ES3_jPKlPS6_PKS6_NS0_5tupleIJPlS6_EEENSE_IJSB_SB_EEENS0_18inequality_wrapperIN6hipcub16HIPCUB_304000_NS8EqualityEEESF_JS6_EEE10hipError_tPvRmT3_T4_T5_T6_T7_T9_mT8_P12ihipStream_tbDpT10_ENKUlT_T0_E_clISt17integral_constantIbLb0EES16_EEDaS11_S12_EUlS11_E_NS1_11comp_targetILNS1_3genE10ELNS1_11target_archE1200ELNS1_3gpuE4ELNS1_3repE0EEENS1_30default_config_static_selectorELNS0_4arch9wavefront6targetE1EEEvT1_, .Lfunc_end231-_ZN7rocprim17ROCPRIM_400000_NS6detail17trampoline_kernelINS0_14default_configENS1_25partition_config_selectorILNS1_17partition_subalgoE8ElNS0_10empty_typeEbEEZZNS1_14partition_implILS5_8ELb0ES3_jPKlPS6_PKS6_NS0_5tupleIJPlS6_EEENSE_IJSB_SB_EEENS0_18inequality_wrapperIN6hipcub16HIPCUB_304000_NS8EqualityEEESF_JS6_EEE10hipError_tPvRmT3_T4_T5_T6_T7_T9_mT8_P12ihipStream_tbDpT10_ENKUlT_T0_E_clISt17integral_constantIbLb0EES16_EEDaS11_S12_EUlS11_E_NS1_11comp_targetILNS1_3genE10ELNS1_11target_archE1200ELNS1_3gpuE4ELNS1_3repE0EEENS1_30default_config_static_selectorELNS0_4arch9wavefront6targetE1EEEvT1_
                                        ; -- End function
	.section	.AMDGPU.csdata,"",@progbits
; Kernel info:
; codeLenInByte = 0
; NumSgprs: 6
; NumVgprs: 0
; NumAgprs: 0
; TotalNumVgprs: 0
; ScratchSize: 0
; MemoryBound: 0
; FloatMode: 240
; IeeeMode: 1
; LDSByteSize: 0 bytes/workgroup (compile time only)
; SGPRBlocks: 0
; VGPRBlocks: 0
; NumSGPRsForWavesPerEU: 6
; NumVGPRsForWavesPerEU: 1
; AccumOffset: 4
; Occupancy: 8
; WaveLimiterHint : 0
; COMPUTE_PGM_RSRC2:SCRATCH_EN: 0
; COMPUTE_PGM_RSRC2:USER_SGPR: 2
; COMPUTE_PGM_RSRC2:TRAP_HANDLER: 0
; COMPUTE_PGM_RSRC2:TGID_X_EN: 1
; COMPUTE_PGM_RSRC2:TGID_Y_EN: 0
; COMPUTE_PGM_RSRC2:TGID_Z_EN: 0
; COMPUTE_PGM_RSRC2:TIDIG_COMP_CNT: 0
; COMPUTE_PGM_RSRC3_GFX90A:ACCUM_OFFSET: 0
; COMPUTE_PGM_RSRC3_GFX90A:TG_SPLIT: 0
	.section	.text._ZN7rocprim17ROCPRIM_400000_NS6detail17trampoline_kernelINS0_14default_configENS1_25partition_config_selectorILNS1_17partition_subalgoE8ElNS0_10empty_typeEbEEZZNS1_14partition_implILS5_8ELb0ES3_jPKlPS6_PKS6_NS0_5tupleIJPlS6_EEENSE_IJSB_SB_EEENS0_18inequality_wrapperIN6hipcub16HIPCUB_304000_NS8EqualityEEESF_JS6_EEE10hipError_tPvRmT3_T4_T5_T6_T7_T9_mT8_P12ihipStream_tbDpT10_ENKUlT_T0_E_clISt17integral_constantIbLb0EES16_EEDaS11_S12_EUlS11_E_NS1_11comp_targetILNS1_3genE9ELNS1_11target_archE1100ELNS1_3gpuE3ELNS1_3repE0EEENS1_30default_config_static_selectorELNS0_4arch9wavefront6targetE1EEEvT1_,"axG",@progbits,_ZN7rocprim17ROCPRIM_400000_NS6detail17trampoline_kernelINS0_14default_configENS1_25partition_config_selectorILNS1_17partition_subalgoE8ElNS0_10empty_typeEbEEZZNS1_14partition_implILS5_8ELb0ES3_jPKlPS6_PKS6_NS0_5tupleIJPlS6_EEENSE_IJSB_SB_EEENS0_18inequality_wrapperIN6hipcub16HIPCUB_304000_NS8EqualityEEESF_JS6_EEE10hipError_tPvRmT3_T4_T5_T6_T7_T9_mT8_P12ihipStream_tbDpT10_ENKUlT_T0_E_clISt17integral_constantIbLb0EES16_EEDaS11_S12_EUlS11_E_NS1_11comp_targetILNS1_3genE9ELNS1_11target_archE1100ELNS1_3gpuE3ELNS1_3repE0EEENS1_30default_config_static_selectorELNS0_4arch9wavefront6targetE1EEEvT1_,comdat
	.protected	_ZN7rocprim17ROCPRIM_400000_NS6detail17trampoline_kernelINS0_14default_configENS1_25partition_config_selectorILNS1_17partition_subalgoE8ElNS0_10empty_typeEbEEZZNS1_14partition_implILS5_8ELb0ES3_jPKlPS6_PKS6_NS0_5tupleIJPlS6_EEENSE_IJSB_SB_EEENS0_18inequality_wrapperIN6hipcub16HIPCUB_304000_NS8EqualityEEESF_JS6_EEE10hipError_tPvRmT3_T4_T5_T6_T7_T9_mT8_P12ihipStream_tbDpT10_ENKUlT_T0_E_clISt17integral_constantIbLb0EES16_EEDaS11_S12_EUlS11_E_NS1_11comp_targetILNS1_3genE9ELNS1_11target_archE1100ELNS1_3gpuE3ELNS1_3repE0EEENS1_30default_config_static_selectorELNS0_4arch9wavefront6targetE1EEEvT1_ ; -- Begin function _ZN7rocprim17ROCPRIM_400000_NS6detail17trampoline_kernelINS0_14default_configENS1_25partition_config_selectorILNS1_17partition_subalgoE8ElNS0_10empty_typeEbEEZZNS1_14partition_implILS5_8ELb0ES3_jPKlPS6_PKS6_NS0_5tupleIJPlS6_EEENSE_IJSB_SB_EEENS0_18inequality_wrapperIN6hipcub16HIPCUB_304000_NS8EqualityEEESF_JS6_EEE10hipError_tPvRmT3_T4_T5_T6_T7_T9_mT8_P12ihipStream_tbDpT10_ENKUlT_T0_E_clISt17integral_constantIbLb0EES16_EEDaS11_S12_EUlS11_E_NS1_11comp_targetILNS1_3genE9ELNS1_11target_archE1100ELNS1_3gpuE3ELNS1_3repE0EEENS1_30default_config_static_selectorELNS0_4arch9wavefront6targetE1EEEvT1_
	.globl	_ZN7rocprim17ROCPRIM_400000_NS6detail17trampoline_kernelINS0_14default_configENS1_25partition_config_selectorILNS1_17partition_subalgoE8ElNS0_10empty_typeEbEEZZNS1_14partition_implILS5_8ELb0ES3_jPKlPS6_PKS6_NS0_5tupleIJPlS6_EEENSE_IJSB_SB_EEENS0_18inequality_wrapperIN6hipcub16HIPCUB_304000_NS8EqualityEEESF_JS6_EEE10hipError_tPvRmT3_T4_T5_T6_T7_T9_mT8_P12ihipStream_tbDpT10_ENKUlT_T0_E_clISt17integral_constantIbLb0EES16_EEDaS11_S12_EUlS11_E_NS1_11comp_targetILNS1_3genE9ELNS1_11target_archE1100ELNS1_3gpuE3ELNS1_3repE0EEENS1_30default_config_static_selectorELNS0_4arch9wavefront6targetE1EEEvT1_
	.p2align	8
	.type	_ZN7rocprim17ROCPRIM_400000_NS6detail17trampoline_kernelINS0_14default_configENS1_25partition_config_selectorILNS1_17partition_subalgoE8ElNS0_10empty_typeEbEEZZNS1_14partition_implILS5_8ELb0ES3_jPKlPS6_PKS6_NS0_5tupleIJPlS6_EEENSE_IJSB_SB_EEENS0_18inequality_wrapperIN6hipcub16HIPCUB_304000_NS8EqualityEEESF_JS6_EEE10hipError_tPvRmT3_T4_T5_T6_T7_T9_mT8_P12ihipStream_tbDpT10_ENKUlT_T0_E_clISt17integral_constantIbLb0EES16_EEDaS11_S12_EUlS11_E_NS1_11comp_targetILNS1_3genE9ELNS1_11target_archE1100ELNS1_3gpuE3ELNS1_3repE0EEENS1_30default_config_static_selectorELNS0_4arch9wavefront6targetE1EEEvT1_,@function
_ZN7rocprim17ROCPRIM_400000_NS6detail17trampoline_kernelINS0_14default_configENS1_25partition_config_selectorILNS1_17partition_subalgoE8ElNS0_10empty_typeEbEEZZNS1_14partition_implILS5_8ELb0ES3_jPKlPS6_PKS6_NS0_5tupleIJPlS6_EEENSE_IJSB_SB_EEENS0_18inequality_wrapperIN6hipcub16HIPCUB_304000_NS8EqualityEEESF_JS6_EEE10hipError_tPvRmT3_T4_T5_T6_T7_T9_mT8_P12ihipStream_tbDpT10_ENKUlT_T0_E_clISt17integral_constantIbLb0EES16_EEDaS11_S12_EUlS11_E_NS1_11comp_targetILNS1_3genE9ELNS1_11target_archE1100ELNS1_3gpuE3ELNS1_3repE0EEENS1_30default_config_static_selectorELNS0_4arch9wavefront6targetE1EEEvT1_: ; @_ZN7rocprim17ROCPRIM_400000_NS6detail17trampoline_kernelINS0_14default_configENS1_25partition_config_selectorILNS1_17partition_subalgoE8ElNS0_10empty_typeEbEEZZNS1_14partition_implILS5_8ELb0ES3_jPKlPS6_PKS6_NS0_5tupleIJPlS6_EEENSE_IJSB_SB_EEENS0_18inequality_wrapperIN6hipcub16HIPCUB_304000_NS8EqualityEEESF_JS6_EEE10hipError_tPvRmT3_T4_T5_T6_T7_T9_mT8_P12ihipStream_tbDpT10_ENKUlT_T0_E_clISt17integral_constantIbLb0EES16_EEDaS11_S12_EUlS11_E_NS1_11comp_targetILNS1_3genE9ELNS1_11target_archE1100ELNS1_3gpuE3ELNS1_3repE0EEENS1_30default_config_static_selectorELNS0_4arch9wavefront6targetE1EEEvT1_
; %bb.0:
	.section	.rodata,"a",@progbits
	.p2align	6, 0x0
	.amdhsa_kernel _ZN7rocprim17ROCPRIM_400000_NS6detail17trampoline_kernelINS0_14default_configENS1_25partition_config_selectorILNS1_17partition_subalgoE8ElNS0_10empty_typeEbEEZZNS1_14partition_implILS5_8ELb0ES3_jPKlPS6_PKS6_NS0_5tupleIJPlS6_EEENSE_IJSB_SB_EEENS0_18inequality_wrapperIN6hipcub16HIPCUB_304000_NS8EqualityEEESF_JS6_EEE10hipError_tPvRmT3_T4_T5_T6_T7_T9_mT8_P12ihipStream_tbDpT10_ENKUlT_T0_E_clISt17integral_constantIbLb0EES16_EEDaS11_S12_EUlS11_E_NS1_11comp_targetILNS1_3genE9ELNS1_11target_archE1100ELNS1_3gpuE3ELNS1_3repE0EEENS1_30default_config_static_selectorELNS0_4arch9wavefront6targetE1EEEvT1_
		.amdhsa_group_segment_fixed_size 0
		.amdhsa_private_segment_fixed_size 0
		.amdhsa_kernarg_size 112
		.amdhsa_user_sgpr_count 2
		.amdhsa_user_sgpr_dispatch_ptr 0
		.amdhsa_user_sgpr_queue_ptr 0
		.amdhsa_user_sgpr_kernarg_segment_ptr 1
		.amdhsa_user_sgpr_dispatch_id 0
		.amdhsa_user_sgpr_kernarg_preload_length 0
		.amdhsa_user_sgpr_kernarg_preload_offset 0
		.amdhsa_user_sgpr_private_segment_size 0
		.amdhsa_uses_dynamic_stack 0
		.amdhsa_enable_private_segment 0
		.amdhsa_system_sgpr_workgroup_id_x 1
		.amdhsa_system_sgpr_workgroup_id_y 0
		.amdhsa_system_sgpr_workgroup_id_z 0
		.amdhsa_system_sgpr_workgroup_info 0
		.amdhsa_system_vgpr_workitem_id 0
		.amdhsa_next_free_vgpr 1
		.amdhsa_next_free_sgpr 0
		.amdhsa_accum_offset 4
		.amdhsa_reserve_vcc 0
		.amdhsa_float_round_mode_32 0
		.amdhsa_float_round_mode_16_64 0
		.amdhsa_float_denorm_mode_32 3
		.amdhsa_float_denorm_mode_16_64 3
		.amdhsa_dx10_clamp 1
		.amdhsa_ieee_mode 1
		.amdhsa_fp16_overflow 0
		.amdhsa_tg_split 0
		.amdhsa_exception_fp_ieee_invalid_op 0
		.amdhsa_exception_fp_denorm_src 0
		.amdhsa_exception_fp_ieee_div_zero 0
		.amdhsa_exception_fp_ieee_overflow 0
		.amdhsa_exception_fp_ieee_underflow 0
		.amdhsa_exception_fp_ieee_inexact 0
		.amdhsa_exception_int_div_zero 0
	.end_amdhsa_kernel
	.section	.text._ZN7rocprim17ROCPRIM_400000_NS6detail17trampoline_kernelINS0_14default_configENS1_25partition_config_selectorILNS1_17partition_subalgoE8ElNS0_10empty_typeEbEEZZNS1_14partition_implILS5_8ELb0ES3_jPKlPS6_PKS6_NS0_5tupleIJPlS6_EEENSE_IJSB_SB_EEENS0_18inequality_wrapperIN6hipcub16HIPCUB_304000_NS8EqualityEEESF_JS6_EEE10hipError_tPvRmT3_T4_T5_T6_T7_T9_mT8_P12ihipStream_tbDpT10_ENKUlT_T0_E_clISt17integral_constantIbLb0EES16_EEDaS11_S12_EUlS11_E_NS1_11comp_targetILNS1_3genE9ELNS1_11target_archE1100ELNS1_3gpuE3ELNS1_3repE0EEENS1_30default_config_static_selectorELNS0_4arch9wavefront6targetE1EEEvT1_,"axG",@progbits,_ZN7rocprim17ROCPRIM_400000_NS6detail17trampoline_kernelINS0_14default_configENS1_25partition_config_selectorILNS1_17partition_subalgoE8ElNS0_10empty_typeEbEEZZNS1_14partition_implILS5_8ELb0ES3_jPKlPS6_PKS6_NS0_5tupleIJPlS6_EEENSE_IJSB_SB_EEENS0_18inequality_wrapperIN6hipcub16HIPCUB_304000_NS8EqualityEEESF_JS6_EEE10hipError_tPvRmT3_T4_T5_T6_T7_T9_mT8_P12ihipStream_tbDpT10_ENKUlT_T0_E_clISt17integral_constantIbLb0EES16_EEDaS11_S12_EUlS11_E_NS1_11comp_targetILNS1_3genE9ELNS1_11target_archE1100ELNS1_3gpuE3ELNS1_3repE0EEENS1_30default_config_static_selectorELNS0_4arch9wavefront6targetE1EEEvT1_,comdat
.Lfunc_end232:
	.size	_ZN7rocprim17ROCPRIM_400000_NS6detail17trampoline_kernelINS0_14default_configENS1_25partition_config_selectorILNS1_17partition_subalgoE8ElNS0_10empty_typeEbEEZZNS1_14partition_implILS5_8ELb0ES3_jPKlPS6_PKS6_NS0_5tupleIJPlS6_EEENSE_IJSB_SB_EEENS0_18inequality_wrapperIN6hipcub16HIPCUB_304000_NS8EqualityEEESF_JS6_EEE10hipError_tPvRmT3_T4_T5_T6_T7_T9_mT8_P12ihipStream_tbDpT10_ENKUlT_T0_E_clISt17integral_constantIbLb0EES16_EEDaS11_S12_EUlS11_E_NS1_11comp_targetILNS1_3genE9ELNS1_11target_archE1100ELNS1_3gpuE3ELNS1_3repE0EEENS1_30default_config_static_selectorELNS0_4arch9wavefront6targetE1EEEvT1_, .Lfunc_end232-_ZN7rocprim17ROCPRIM_400000_NS6detail17trampoline_kernelINS0_14default_configENS1_25partition_config_selectorILNS1_17partition_subalgoE8ElNS0_10empty_typeEbEEZZNS1_14partition_implILS5_8ELb0ES3_jPKlPS6_PKS6_NS0_5tupleIJPlS6_EEENSE_IJSB_SB_EEENS0_18inequality_wrapperIN6hipcub16HIPCUB_304000_NS8EqualityEEESF_JS6_EEE10hipError_tPvRmT3_T4_T5_T6_T7_T9_mT8_P12ihipStream_tbDpT10_ENKUlT_T0_E_clISt17integral_constantIbLb0EES16_EEDaS11_S12_EUlS11_E_NS1_11comp_targetILNS1_3genE9ELNS1_11target_archE1100ELNS1_3gpuE3ELNS1_3repE0EEENS1_30default_config_static_selectorELNS0_4arch9wavefront6targetE1EEEvT1_
                                        ; -- End function
	.section	.AMDGPU.csdata,"",@progbits
; Kernel info:
; codeLenInByte = 0
; NumSgprs: 6
; NumVgprs: 0
; NumAgprs: 0
; TotalNumVgprs: 0
; ScratchSize: 0
; MemoryBound: 0
; FloatMode: 240
; IeeeMode: 1
; LDSByteSize: 0 bytes/workgroup (compile time only)
; SGPRBlocks: 0
; VGPRBlocks: 0
; NumSGPRsForWavesPerEU: 6
; NumVGPRsForWavesPerEU: 1
; AccumOffset: 4
; Occupancy: 8
; WaveLimiterHint : 0
; COMPUTE_PGM_RSRC2:SCRATCH_EN: 0
; COMPUTE_PGM_RSRC2:USER_SGPR: 2
; COMPUTE_PGM_RSRC2:TRAP_HANDLER: 0
; COMPUTE_PGM_RSRC2:TGID_X_EN: 1
; COMPUTE_PGM_RSRC2:TGID_Y_EN: 0
; COMPUTE_PGM_RSRC2:TGID_Z_EN: 0
; COMPUTE_PGM_RSRC2:TIDIG_COMP_CNT: 0
; COMPUTE_PGM_RSRC3_GFX90A:ACCUM_OFFSET: 0
; COMPUTE_PGM_RSRC3_GFX90A:TG_SPLIT: 0
	.section	.text._ZN7rocprim17ROCPRIM_400000_NS6detail17trampoline_kernelINS0_14default_configENS1_25partition_config_selectorILNS1_17partition_subalgoE8ElNS0_10empty_typeEbEEZZNS1_14partition_implILS5_8ELb0ES3_jPKlPS6_PKS6_NS0_5tupleIJPlS6_EEENSE_IJSB_SB_EEENS0_18inequality_wrapperIN6hipcub16HIPCUB_304000_NS8EqualityEEESF_JS6_EEE10hipError_tPvRmT3_T4_T5_T6_T7_T9_mT8_P12ihipStream_tbDpT10_ENKUlT_T0_E_clISt17integral_constantIbLb0EES16_EEDaS11_S12_EUlS11_E_NS1_11comp_targetILNS1_3genE8ELNS1_11target_archE1030ELNS1_3gpuE2ELNS1_3repE0EEENS1_30default_config_static_selectorELNS0_4arch9wavefront6targetE1EEEvT1_,"axG",@progbits,_ZN7rocprim17ROCPRIM_400000_NS6detail17trampoline_kernelINS0_14default_configENS1_25partition_config_selectorILNS1_17partition_subalgoE8ElNS0_10empty_typeEbEEZZNS1_14partition_implILS5_8ELb0ES3_jPKlPS6_PKS6_NS0_5tupleIJPlS6_EEENSE_IJSB_SB_EEENS0_18inequality_wrapperIN6hipcub16HIPCUB_304000_NS8EqualityEEESF_JS6_EEE10hipError_tPvRmT3_T4_T5_T6_T7_T9_mT8_P12ihipStream_tbDpT10_ENKUlT_T0_E_clISt17integral_constantIbLb0EES16_EEDaS11_S12_EUlS11_E_NS1_11comp_targetILNS1_3genE8ELNS1_11target_archE1030ELNS1_3gpuE2ELNS1_3repE0EEENS1_30default_config_static_selectorELNS0_4arch9wavefront6targetE1EEEvT1_,comdat
	.protected	_ZN7rocprim17ROCPRIM_400000_NS6detail17trampoline_kernelINS0_14default_configENS1_25partition_config_selectorILNS1_17partition_subalgoE8ElNS0_10empty_typeEbEEZZNS1_14partition_implILS5_8ELb0ES3_jPKlPS6_PKS6_NS0_5tupleIJPlS6_EEENSE_IJSB_SB_EEENS0_18inequality_wrapperIN6hipcub16HIPCUB_304000_NS8EqualityEEESF_JS6_EEE10hipError_tPvRmT3_T4_T5_T6_T7_T9_mT8_P12ihipStream_tbDpT10_ENKUlT_T0_E_clISt17integral_constantIbLb0EES16_EEDaS11_S12_EUlS11_E_NS1_11comp_targetILNS1_3genE8ELNS1_11target_archE1030ELNS1_3gpuE2ELNS1_3repE0EEENS1_30default_config_static_selectorELNS0_4arch9wavefront6targetE1EEEvT1_ ; -- Begin function _ZN7rocprim17ROCPRIM_400000_NS6detail17trampoline_kernelINS0_14default_configENS1_25partition_config_selectorILNS1_17partition_subalgoE8ElNS0_10empty_typeEbEEZZNS1_14partition_implILS5_8ELb0ES3_jPKlPS6_PKS6_NS0_5tupleIJPlS6_EEENSE_IJSB_SB_EEENS0_18inequality_wrapperIN6hipcub16HIPCUB_304000_NS8EqualityEEESF_JS6_EEE10hipError_tPvRmT3_T4_T5_T6_T7_T9_mT8_P12ihipStream_tbDpT10_ENKUlT_T0_E_clISt17integral_constantIbLb0EES16_EEDaS11_S12_EUlS11_E_NS1_11comp_targetILNS1_3genE8ELNS1_11target_archE1030ELNS1_3gpuE2ELNS1_3repE0EEENS1_30default_config_static_selectorELNS0_4arch9wavefront6targetE1EEEvT1_
	.globl	_ZN7rocprim17ROCPRIM_400000_NS6detail17trampoline_kernelINS0_14default_configENS1_25partition_config_selectorILNS1_17partition_subalgoE8ElNS0_10empty_typeEbEEZZNS1_14partition_implILS5_8ELb0ES3_jPKlPS6_PKS6_NS0_5tupleIJPlS6_EEENSE_IJSB_SB_EEENS0_18inequality_wrapperIN6hipcub16HIPCUB_304000_NS8EqualityEEESF_JS6_EEE10hipError_tPvRmT3_T4_T5_T6_T7_T9_mT8_P12ihipStream_tbDpT10_ENKUlT_T0_E_clISt17integral_constantIbLb0EES16_EEDaS11_S12_EUlS11_E_NS1_11comp_targetILNS1_3genE8ELNS1_11target_archE1030ELNS1_3gpuE2ELNS1_3repE0EEENS1_30default_config_static_selectorELNS0_4arch9wavefront6targetE1EEEvT1_
	.p2align	8
	.type	_ZN7rocprim17ROCPRIM_400000_NS6detail17trampoline_kernelINS0_14default_configENS1_25partition_config_selectorILNS1_17partition_subalgoE8ElNS0_10empty_typeEbEEZZNS1_14partition_implILS5_8ELb0ES3_jPKlPS6_PKS6_NS0_5tupleIJPlS6_EEENSE_IJSB_SB_EEENS0_18inequality_wrapperIN6hipcub16HIPCUB_304000_NS8EqualityEEESF_JS6_EEE10hipError_tPvRmT3_T4_T5_T6_T7_T9_mT8_P12ihipStream_tbDpT10_ENKUlT_T0_E_clISt17integral_constantIbLb0EES16_EEDaS11_S12_EUlS11_E_NS1_11comp_targetILNS1_3genE8ELNS1_11target_archE1030ELNS1_3gpuE2ELNS1_3repE0EEENS1_30default_config_static_selectorELNS0_4arch9wavefront6targetE1EEEvT1_,@function
_ZN7rocprim17ROCPRIM_400000_NS6detail17trampoline_kernelINS0_14default_configENS1_25partition_config_selectorILNS1_17partition_subalgoE8ElNS0_10empty_typeEbEEZZNS1_14partition_implILS5_8ELb0ES3_jPKlPS6_PKS6_NS0_5tupleIJPlS6_EEENSE_IJSB_SB_EEENS0_18inequality_wrapperIN6hipcub16HIPCUB_304000_NS8EqualityEEESF_JS6_EEE10hipError_tPvRmT3_T4_T5_T6_T7_T9_mT8_P12ihipStream_tbDpT10_ENKUlT_T0_E_clISt17integral_constantIbLb0EES16_EEDaS11_S12_EUlS11_E_NS1_11comp_targetILNS1_3genE8ELNS1_11target_archE1030ELNS1_3gpuE2ELNS1_3repE0EEENS1_30default_config_static_selectorELNS0_4arch9wavefront6targetE1EEEvT1_: ; @_ZN7rocprim17ROCPRIM_400000_NS6detail17trampoline_kernelINS0_14default_configENS1_25partition_config_selectorILNS1_17partition_subalgoE8ElNS0_10empty_typeEbEEZZNS1_14partition_implILS5_8ELb0ES3_jPKlPS6_PKS6_NS0_5tupleIJPlS6_EEENSE_IJSB_SB_EEENS0_18inequality_wrapperIN6hipcub16HIPCUB_304000_NS8EqualityEEESF_JS6_EEE10hipError_tPvRmT3_T4_T5_T6_T7_T9_mT8_P12ihipStream_tbDpT10_ENKUlT_T0_E_clISt17integral_constantIbLb0EES16_EEDaS11_S12_EUlS11_E_NS1_11comp_targetILNS1_3genE8ELNS1_11target_archE1030ELNS1_3gpuE2ELNS1_3repE0EEENS1_30default_config_static_selectorELNS0_4arch9wavefront6targetE1EEEvT1_
; %bb.0:
	.section	.rodata,"a",@progbits
	.p2align	6, 0x0
	.amdhsa_kernel _ZN7rocprim17ROCPRIM_400000_NS6detail17trampoline_kernelINS0_14default_configENS1_25partition_config_selectorILNS1_17partition_subalgoE8ElNS0_10empty_typeEbEEZZNS1_14partition_implILS5_8ELb0ES3_jPKlPS6_PKS6_NS0_5tupleIJPlS6_EEENSE_IJSB_SB_EEENS0_18inequality_wrapperIN6hipcub16HIPCUB_304000_NS8EqualityEEESF_JS6_EEE10hipError_tPvRmT3_T4_T5_T6_T7_T9_mT8_P12ihipStream_tbDpT10_ENKUlT_T0_E_clISt17integral_constantIbLb0EES16_EEDaS11_S12_EUlS11_E_NS1_11comp_targetILNS1_3genE8ELNS1_11target_archE1030ELNS1_3gpuE2ELNS1_3repE0EEENS1_30default_config_static_selectorELNS0_4arch9wavefront6targetE1EEEvT1_
		.amdhsa_group_segment_fixed_size 0
		.amdhsa_private_segment_fixed_size 0
		.amdhsa_kernarg_size 112
		.amdhsa_user_sgpr_count 2
		.amdhsa_user_sgpr_dispatch_ptr 0
		.amdhsa_user_sgpr_queue_ptr 0
		.amdhsa_user_sgpr_kernarg_segment_ptr 1
		.amdhsa_user_sgpr_dispatch_id 0
		.amdhsa_user_sgpr_kernarg_preload_length 0
		.amdhsa_user_sgpr_kernarg_preload_offset 0
		.amdhsa_user_sgpr_private_segment_size 0
		.amdhsa_uses_dynamic_stack 0
		.amdhsa_enable_private_segment 0
		.amdhsa_system_sgpr_workgroup_id_x 1
		.amdhsa_system_sgpr_workgroup_id_y 0
		.amdhsa_system_sgpr_workgroup_id_z 0
		.amdhsa_system_sgpr_workgroup_info 0
		.amdhsa_system_vgpr_workitem_id 0
		.amdhsa_next_free_vgpr 1
		.amdhsa_next_free_sgpr 0
		.amdhsa_accum_offset 4
		.amdhsa_reserve_vcc 0
		.amdhsa_float_round_mode_32 0
		.amdhsa_float_round_mode_16_64 0
		.amdhsa_float_denorm_mode_32 3
		.amdhsa_float_denorm_mode_16_64 3
		.amdhsa_dx10_clamp 1
		.amdhsa_ieee_mode 1
		.amdhsa_fp16_overflow 0
		.amdhsa_tg_split 0
		.amdhsa_exception_fp_ieee_invalid_op 0
		.amdhsa_exception_fp_denorm_src 0
		.amdhsa_exception_fp_ieee_div_zero 0
		.amdhsa_exception_fp_ieee_overflow 0
		.amdhsa_exception_fp_ieee_underflow 0
		.amdhsa_exception_fp_ieee_inexact 0
		.amdhsa_exception_int_div_zero 0
	.end_amdhsa_kernel
	.section	.text._ZN7rocprim17ROCPRIM_400000_NS6detail17trampoline_kernelINS0_14default_configENS1_25partition_config_selectorILNS1_17partition_subalgoE8ElNS0_10empty_typeEbEEZZNS1_14partition_implILS5_8ELb0ES3_jPKlPS6_PKS6_NS0_5tupleIJPlS6_EEENSE_IJSB_SB_EEENS0_18inequality_wrapperIN6hipcub16HIPCUB_304000_NS8EqualityEEESF_JS6_EEE10hipError_tPvRmT3_T4_T5_T6_T7_T9_mT8_P12ihipStream_tbDpT10_ENKUlT_T0_E_clISt17integral_constantIbLb0EES16_EEDaS11_S12_EUlS11_E_NS1_11comp_targetILNS1_3genE8ELNS1_11target_archE1030ELNS1_3gpuE2ELNS1_3repE0EEENS1_30default_config_static_selectorELNS0_4arch9wavefront6targetE1EEEvT1_,"axG",@progbits,_ZN7rocprim17ROCPRIM_400000_NS6detail17trampoline_kernelINS0_14default_configENS1_25partition_config_selectorILNS1_17partition_subalgoE8ElNS0_10empty_typeEbEEZZNS1_14partition_implILS5_8ELb0ES3_jPKlPS6_PKS6_NS0_5tupleIJPlS6_EEENSE_IJSB_SB_EEENS0_18inequality_wrapperIN6hipcub16HIPCUB_304000_NS8EqualityEEESF_JS6_EEE10hipError_tPvRmT3_T4_T5_T6_T7_T9_mT8_P12ihipStream_tbDpT10_ENKUlT_T0_E_clISt17integral_constantIbLb0EES16_EEDaS11_S12_EUlS11_E_NS1_11comp_targetILNS1_3genE8ELNS1_11target_archE1030ELNS1_3gpuE2ELNS1_3repE0EEENS1_30default_config_static_selectorELNS0_4arch9wavefront6targetE1EEEvT1_,comdat
.Lfunc_end233:
	.size	_ZN7rocprim17ROCPRIM_400000_NS6detail17trampoline_kernelINS0_14default_configENS1_25partition_config_selectorILNS1_17partition_subalgoE8ElNS0_10empty_typeEbEEZZNS1_14partition_implILS5_8ELb0ES3_jPKlPS6_PKS6_NS0_5tupleIJPlS6_EEENSE_IJSB_SB_EEENS0_18inequality_wrapperIN6hipcub16HIPCUB_304000_NS8EqualityEEESF_JS6_EEE10hipError_tPvRmT3_T4_T5_T6_T7_T9_mT8_P12ihipStream_tbDpT10_ENKUlT_T0_E_clISt17integral_constantIbLb0EES16_EEDaS11_S12_EUlS11_E_NS1_11comp_targetILNS1_3genE8ELNS1_11target_archE1030ELNS1_3gpuE2ELNS1_3repE0EEENS1_30default_config_static_selectorELNS0_4arch9wavefront6targetE1EEEvT1_, .Lfunc_end233-_ZN7rocprim17ROCPRIM_400000_NS6detail17trampoline_kernelINS0_14default_configENS1_25partition_config_selectorILNS1_17partition_subalgoE8ElNS0_10empty_typeEbEEZZNS1_14partition_implILS5_8ELb0ES3_jPKlPS6_PKS6_NS0_5tupleIJPlS6_EEENSE_IJSB_SB_EEENS0_18inequality_wrapperIN6hipcub16HIPCUB_304000_NS8EqualityEEESF_JS6_EEE10hipError_tPvRmT3_T4_T5_T6_T7_T9_mT8_P12ihipStream_tbDpT10_ENKUlT_T0_E_clISt17integral_constantIbLb0EES16_EEDaS11_S12_EUlS11_E_NS1_11comp_targetILNS1_3genE8ELNS1_11target_archE1030ELNS1_3gpuE2ELNS1_3repE0EEENS1_30default_config_static_selectorELNS0_4arch9wavefront6targetE1EEEvT1_
                                        ; -- End function
	.section	.AMDGPU.csdata,"",@progbits
; Kernel info:
; codeLenInByte = 0
; NumSgprs: 6
; NumVgprs: 0
; NumAgprs: 0
; TotalNumVgprs: 0
; ScratchSize: 0
; MemoryBound: 0
; FloatMode: 240
; IeeeMode: 1
; LDSByteSize: 0 bytes/workgroup (compile time only)
; SGPRBlocks: 0
; VGPRBlocks: 0
; NumSGPRsForWavesPerEU: 6
; NumVGPRsForWavesPerEU: 1
; AccumOffset: 4
; Occupancy: 8
; WaveLimiterHint : 0
; COMPUTE_PGM_RSRC2:SCRATCH_EN: 0
; COMPUTE_PGM_RSRC2:USER_SGPR: 2
; COMPUTE_PGM_RSRC2:TRAP_HANDLER: 0
; COMPUTE_PGM_RSRC2:TGID_X_EN: 1
; COMPUTE_PGM_RSRC2:TGID_Y_EN: 0
; COMPUTE_PGM_RSRC2:TGID_Z_EN: 0
; COMPUTE_PGM_RSRC2:TIDIG_COMP_CNT: 0
; COMPUTE_PGM_RSRC3_GFX90A:ACCUM_OFFSET: 0
; COMPUTE_PGM_RSRC3_GFX90A:TG_SPLIT: 0
	.section	.text._ZN7rocprim17ROCPRIM_400000_NS6detail17trampoline_kernelINS0_14default_configENS1_25partition_config_selectorILNS1_17partition_subalgoE8ElNS0_10empty_typeEbEEZZNS1_14partition_implILS5_8ELb0ES3_jPKlPS6_PKS6_NS0_5tupleIJPlS6_EEENSE_IJSB_SB_EEENS0_18inequality_wrapperIN6hipcub16HIPCUB_304000_NS8EqualityEEESF_JS6_EEE10hipError_tPvRmT3_T4_T5_T6_T7_T9_mT8_P12ihipStream_tbDpT10_ENKUlT_T0_E_clISt17integral_constantIbLb1EES16_EEDaS11_S12_EUlS11_E_NS1_11comp_targetILNS1_3genE0ELNS1_11target_archE4294967295ELNS1_3gpuE0ELNS1_3repE0EEENS1_30default_config_static_selectorELNS0_4arch9wavefront6targetE1EEEvT1_,"axG",@progbits,_ZN7rocprim17ROCPRIM_400000_NS6detail17trampoline_kernelINS0_14default_configENS1_25partition_config_selectorILNS1_17partition_subalgoE8ElNS0_10empty_typeEbEEZZNS1_14partition_implILS5_8ELb0ES3_jPKlPS6_PKS6_NS0_5tupleIJPlS6_EEENSE_IJSB_SB_EEENS0_18inequality_wrapperIN6hipcub16HIPCUB_304000_NS8EqualityEEESF_JS6_EEE10hipError_tPvRmT3_T4_T5_T6_T7_T9_mT8_P12ihipStream_tbDpT10_ENKUlT_T0_E_clISt17integral_constantIbLb1EES16_EEDaS11_S12_EUlS11_E_NS1_11comp_targetILNS1_3genE0ELNS1_11target_archE4294967295ELNS1_3gpuE0ELNS1_3repE0EEENS1_30default_config_static_selectorELNS0_4arch9wavefront6targetE1EEEvT1_,comdat
	.protected	_ZN7rocprim17ROCPRIM_400000_NS6detail17trampoline_kernelINS0_14default_configENS1_25partition_config_selectorILNS1_17partition_subalgoE8ElNS0_10empty_typeEbEEZZNS1_14partition_implILS5_8ELb0ES3_jPKlPS6_PKS6_NS0_5tupleIJPlS6_EEENSE_IJSB_SB_EEENS0_18inequality_wrapperIN6hipcub16HIPCUB_304000_NS8EqualityEEESF_JS6_EEE10hipError_tPvRmT3_T4_T5_T6_T7_T9_mT8_P12ihipStream_tbDpT10_ENKUlT_T0_E_clISt17integral_constantIbLb1EES16_EEDaS11_S12_EUlS11_E_NS1_11comp_targetILNS1_3genE0ELNS1_11target_archE4294967295ELNS1_3gpuE0ELNS1_3repE0EEENS1_30default_config_static_selectorELNS0_4arch9wavefront6targetE1EEEvT1_ ; -- Begin function _ZN7rocprim17ROCPRIM_400000_NS6detail17trampoline_kernelINS0_14default_configENS1_25partition_config_selectorILNS1_17partition_subalgoE8ElNS0_10empty_typeEbEEZZNS1_14partition_implILS5_8ELb0ES3_jPKlPS6_PKS6_NS0_5tupleIJPlS6_EEENSE_IJSB_SB_EEENS0_18inequality_wrapperIN6hipcub16HIPCUB_304000_NS8EqualityEEESF_JS6_EEE10hipError_tPvRmT3_T4_T5_T6_T7_T9_mT8_P12ihipStream_tbDpT10_ENKUlT_T0_E_clISt17integral_constantIbLb1EES16_EEDaS11_S12_EUlS11_E_NS1_11comp_targetILNS1_3genE0ELNS1_11target_archE4294967295ELNS1_3gpuE0ELNS1_3repE0EEENS1_30default_config_static_selectorELNS0_4arch9wavefront6targetE1EEEvT1_
	.globl	_ZN7rocprim17ROCPRIM_400000_NS6detail17trampoline_kernelINS0_14default_configENS1_25partition_config_selectorILNS1_17partition_subalgoE8ElNS0_10empty_typeEbEEZZNS1_14partition_implILS5_8ELb0ES3_jPKlPS6_PKS6_NS0_5tupleIJPlS6_EEENSE_IJSB_SB_EEENS0_18inequality_wrapperIN6hipcub16HIPCUB_304000_NS8EqualityEEESF_JS6_EEE10hipError_tPvRmT3_T4_T5_T6_T7_T9_mT8_P12ihipStream_tbDpT10_ENKUlT_T0_E_clISt17integral_constantIbLb1EES16_EEDaS11_S12_EUlS11_E_NS1_11comp_targetILNS1_3genE0ELNS1_11target_archE4294967295ELNS1_3gpuE0ELNS1_3repE0EEENS1_30default_config_static_selectorELNS0_4arch9wavefront6targetE1EEEvT1_
	.p2align	8
	.type	_ZN7rocprim17ROCPRIM_400000_NS6detail17trampoline_kernelINS0_14default_configENS1_25partition_config_selectorILNS1_17partition_subalgoE8ElNS0_10empty_typeEbEEZZNS1_14partition_implILS5_8ELb0ES3_jPKlPS6_PKS6_NS0_5tupleIJPlS6_EEENSE_IJSB_SB_EEENS0_18inequality_wrapperIN6hipcub16HIPCUB_304000_NS8EqualityEEESF_JS6_EEE10hipError_tPvRmT3_T4_T5_T6_T7_T9_mT8_P12ihipStream_tbDpT10_ENKUlT_T0_E_clISt17integral_constantIbLb1EES16_EEDaS11_S12_EUlS11_E_NS1_11comp_targetILNS1_3genE0ELNS1_11target_archE4294967295ELNS1_3gpuE0ELNS1_3repE0EEENS1_30default_config_static_selectorELNS0_4arch9wavefront6targetE1EEEvT1_,@function
_ZN7rocprim17ROCPRIM_400000_NS6detail17trampoline_kernelINS0_14default_configENS1_25partition_config_selectorILNS1_17partition_subalgoE8ElNS0_10empty_typeEbEEZZNS1_14partition_implILS5_8ELb0ES3_jPKlPS6_PKS6_NS0_5tupleIJPlS6_EEENSE_IJSB_SB_EEENS0_18inequality_wrapperIN6hipcub16HIPCUB_304000_NS8EqualityEEESF_JS6_EEE10hipError_tPvRmT3_T4_T5_T6_T7_T9_mT8_P12ihipStream_tbDpT10_ENKUlT_T0_E_clISt17integral_constantIbLb1EES16_EEDaS11_S12_EUlS11_E_NS1_11comp_targetILNS1_3genE0ELNS1_11target_archE4294967295ELNS1_3gpuE0ELNS1_3repE0EEENS1_30default_config_static_selectorELNS0_4arch9wavefront6targetE1EEEvT1_: ; @_ZN7rocprim17ROCPRIM_400000_NS6detail17trampoline_kernelINS0_14default_configENS1_25partition_config_selectorILNS1_17partition_subalgoE8ElNS0_10empty_typeEbEEZZNS1_14partition_implILS5_8ELb0ES3_jPKlPS6_PKS6_NS0_5tupleIJPlS6_EEENSE_IJSB_SB_EEENS0_18inequality_wrapperIN6hipcub16HIPCUB_304000_NS8EqualityEEESF_JS6_EEE10hipError_tPvRmT3_T4_T5_T6_T7_T9_mT8_P12ihipStream_tbDpT10_ENKUlT_T0_E_clISt17integral_constantIbLb1EES16_EEDaS11_S12_EUlS11_E_NS1_11comp_targetILNS1_3genE0ELNS1_11target_archE4294967295ELNS1_3gpuE0ELNS1_3repE0EEENS1_30default_config_static_selectorELNS0_4arch9wavefront6targetE1EEEvT1_
; %bb.0:
	.section	.rodata,"a",@progbits
	.p2align	6, 0x0
	.amdhsa_kernel _ZN7rocprim17ROCPRIM_400000_NS6detail17trampoline_kernelINS0_14default_configENS1_25partition_config_selectorILNS1_17partition_subalgoE8ElNS0_10empty_typeEbEEZZNS1_14partition_implILS5_8ELb0ES3_jPKlPS6_PKS6_NS0_5tupleIJPlS6_EEENSE_IJSB_SB_EEENS0_18inequality_wrapperIN6hipcub16HIPCUB_304000_NS8EqualityEEESF_JS6_EEE10hipError_tPvRmT3_T4_T5_T6_T7_T9_mT8_P12ihipStream_tbDpT10_ENKUlT_T0_E_clISt17integral_constantIbLb1EES16_EEDaS11_S12_EUlS11_E_NS1_11comp_targetILNS1_3genE0ELNS1_11target_archE4294967295ELNS1_3gpuE0ELNS1_3repE0EEENS1_30default_config_static_selectorELNS0_4arch9wavefront6targetE1EEEvT1_
		.amdhsa_group_segment_fixed_size 0
		.amdhsa_private_segment_fixed_size 0
		.amdhsa_kernarg_size 128
		.amdhsa_user_sgpr_count 2
		.amdhsa_user_sgpr_dispatch_ptr 0
		.amdhsa_user_sgpr_queue_ptr 0
		.amdhsa_user_sgpr_kernarg_segment_ptr 1
		.amdhsa_user_sgpr_dispatch_id 0
		.amdhsa_user_sgpr_kernarg_preload_length 0
		.amdhsa_user_sgpr_kernarg_preload_offset 0
		.amdhsa_user_sgpr_private_segment_size 0
		.amdhsa_uses_dynamic_stack 0
		.amdhsa_enable_private_segment 0
		.amdhsa_system_sgpr_workgroup_id_x 1
		.amdhsa_system_sgpr_workgroup_id_y 0
		.amdhsa_system_sgpr_workgroup_id_z 0
		.amdhsa_system_sgpr_workgroup_info 0
		.amdhsa_system_vgpr_workitem_id 0
		.amdhsa_next_free_vgpr 1
		.amdhsa_next_free_sgpr 0
		.amdhsa_accum_offset 4
		.amdhsa_reserve_vcc 0
		.amdhsa_float_round_mode_32 0
		.amdhsa_float_round_mode_16_64 0
		.amdhsa_float_denorm_mode_32 3
		.amdhsa_float_denorm_mode_16_64 3
		.amdhsa_dx10_clamp 1
		.amdhsa_ieee_mode 1
		.amdhsa_fp16_overflow 0
		.amdhsa_tg_split 0
		.amdhsa_exception_fp_ieee_invalid_op 0
		.amdhsa_exception_fp_denorm_src 0
		.amdhsa_exception_fp_ieee_div_zero 0
		.amdhsa_exception_fp_ieee_overflow 0
		.amdhsa_exception_fp_ieee_underflow 0
		.amdhsa_exception_fp_ieee_inexact 0
		.amdhsa_exception_int_div_zero 0
	.end_amdhsa_kernel
	.section	.text._ZN7rocprim17ROCPRIM_400000_NS6detail17trampoline_kernelINS0_14default_configENS1_25partition_config_selectorILNS1_17partition_subalgoE8ElNS0_10empty_typeEbEEZZNS1_14partition_implILS5_8ELb0ES3_jPKlPS6_PKS6_NS0_5tupleIJPlS6_EEENSE_IJSB_SB_EEENS0_18inequality_wrapperIN6hipcub16HIPCUB_304000_NS8EqualityEEESF_JS6_EEE10hipError_tPvRmT3_T4_T5_T6_T7_T9_mT8_P12ihipStream_tbDpT10_ENKUlT_T0_E_clISt17integral_constantIbLb1EES16_EEDaS11_S12_EUlS11_E_NS1_11comp_targetILNS1_3genE0ELNS1_11target_archE4294967295ELNS1_3gpuE0ELNS1_3repE0EEENS1_30default_config_static_selectorELNS0_4arch9wavefront6targetE1EEEvT1_,"axG",@progbits,_ZN7rocprim17ROCPRIM_400000_NS6detail17trampoline_kernelINS0_14default_configENS1_25partition_config_selectorILNS1_17partition_subalgoE8ElNS0_10empty_typeEbEEZZNS1_14partition_implILS5_8ELb0ES3_jPKlPS6_PKS6_NS0_5tupleIJPlS6_EEENSE_IJSB_SB_EEENS0_18inequality_wrapperIN6hipcub16HIPCUB_304000_NS8EqualityEEESF_JS6_EEE10hipError_tPvRmT3_T4_T5_T6_T7_T9_mT8_P12ihipStream_tbDpT10_ENKUlT_T0_E_clISt17integral_constantIbLb1EES16_EEDaS11_S12_EUlS11_E_NS1_11comp_targetILNS1_3genE0ELNS1_11target_archE4294967295ELNS1_3gpuE0ELNS1_3repE0EEENS1_30default_config_static_selectorELNS0_4arch9wavefront6targetE1EEEvT1_,comdat
.Lfunc_end234:
	.size	_ZN7rocprim17ROCPRIM_400000_NS6detail17trampoline_kernelINS0_14default_configENS1_25partition_config_selectorILNS1_17partition_subalgoE8ElNS0_10empty_typeEbEEZZNS1_14partition_implILS5_8ELb0ES3_jPKlPS6_PKS6_NS0_5tupleIJPlS6_EEENSE_IJSB_SB_EEENS0_18inequality_wrapperIN6hipcub16HIPCUB_304000_NS8EqualityEEESF_JS6_EEE10hipError_tPvRmT3_T4_T5_T6_T7_T9_mT8_P12ihipStream_tbDpT10_ENKUlT_T0_E_clISt17integral_constantIbLb1EES16_EEDaS11_S12_EUlS11_E_NS1_11comp_targetILNS1_3genE0ELNS1_11target_archE4294967295ELNS1_3gpuE0ELNS1_3repE0EEENS1_30default_config_static_selectorELNS0_4arch9wavefront6targetE1EEEvT1_, .Lfunc_end234-_ZN7rocprim17ROCPRIM_400000_NS6detail17trampoline_kernelINS0_14default_configENS1_25partition_config_selectorILNS1_17partition_subalgoE8ElNS0_10empty_typeEbEEZZNS1_14partition_implILS5_8ELb0ES3_jPKlPS6_PKS6_NS0_5tupleIJPlS6_EEENSE_IJSB_SB_EEENS0_18inequality_wrapperIN6hipcub16HIPCUB_304000_NS8EqualityEEESF_JS6_EEE10hipError_tPvRmT3_T4_T5_T6_T7_T9_mT8_P12ihipStream_tbDpT10_ENKUlT_T0_E_clISt17integral_constantIbLb1EES16_EEDaS11_S12_EUlS11_E_NS1_11comp_targetILNS1_3genE0ELNS1_11target_archE4294967295ELNS1_3gpuE0ELNS1_3repE0EEENS1_30default_config_static_selectorELNS0_4arch9wavefront6targetE1EEEvT1_
                                        ; -- End function
	.section	.AMDGPU.csdata,"",@progbits
; Kernel info:
; codeLenInByte = 0
; NumSgprs: 6
; NumVgprs: 0
; NumAgprs: 0
; TotalNumVgprs: 0
; ScratchSize: 0
; MemoryBound: 0
; FloatMode: 240
; IeeeMode: 1
; LDSByteSize: 0 bytes/workgroup (compile time only)
; SGPRBlocks: 0
; VGPRBlocks: 0
; NumSGPRsForWavesPerEU: 6
; NumVGPRsForWavesPerEU: 1
; AccumOffset: 4
; Occupancy: 8
; WaveLimiterHint : 0
; COMPUTE_PGM_RSRC2:SCRATCH_EN: 0
; COMPUTE_PGM_RSRC2:USER_SGPR: 2
; COMPUTE_PGM_RSRC2:TRAP_HANDLER: 0
; COMPUTE_PGM_RSRC2:TGID_X_EN: 1
; COMPUTE_PGM_RSRC2:TGID_Y_EN: 0
; COMPUTE_PGM_RSRC2:TGID_Z_EN: 0
; COMPUTE_PGM_RSRC2:TIDIG_COMP_CNT: 0
; COMPUTE_PGM_RSRC3_GFX90A:ACCUM_OFFSET: 0
; COMPUTE_PGM_RSRC3_GFX90A:TG_SPLIT: 0
	.section	.text._ZN7rocprim17ROCPRIM_400000_NS6detail17trampoline_kernelINS0_14default_configENS1_25partition_config_selectorILNS1_17partition_subalgoE8ElNS0_10empty_typeEbEEZZNS1_14partition_implILS5_8ELb0ES3_jPKlPS6_PKS6_NS0_5tupleIJPlS6_EEENSE_IJSB_SB_EEENS0_18inequality_wrapperIN6hipcub16HIPCUB_304000_NS8EqualityEEESF_JS6_EEE10hipError_tPvRmT3_T4_T5_T6_T7_T9_mT8_P12ihipStream_tbDpT10_ENKUlT_T0_E_clISt17integral_constantIbLb1EES16_EEDaS11_S12_EUlS11_E_NS1_11comp_targetILNS1_3genE5ELNS1_11target_archE942ELNS1_3gpuE9ELNS1_3repE0EEENS1_30default_config_static_selectorELNS0_4arch9wavefront6targetE1EEEvT1_,"axG",@progbits,_ZN7rocprim17ROCPRIM_400000_NS6detail17trampoline_kernelINS0_14default_configENS1_25partition_config_selectorILNS1_17partition_subalgoE8ElNS0_10empty_typeEbEEZZNS1_14partition_implILS5_8ELb0ES3_jPKlPS6_PKS6_NS0_5tupleIJPlS6_EEENSE_IJSB_SB_EEENS0_18inequality_wrapperIN6hipcub16HIPCUB_304000_NS8EqualityEEESF_JS6_EEE10hipError_tPvRmT3_T4_T5_T6_T7_T9_mT8_P12ihipStream_tbDpT10_ENKUlT_T0_E_clISt17integral_constantIbLb1EES16_EEDaS11_S12_EUlS11_E_NS1_11comp_targetILNS1_3genE5ELNS1_11target_archE942ELNS1_3gpuE9ELNS1_3repE0EEENS1_30default_config_static_selectorELNS0_4arch9wavefront6targetE1EEEvT1_,comdat
	.protected	_ZN7rocprim17ROCPRIM_400000_NS6detail17trampoline_kernelINS0_14default_configENS1_25partition_config_selectorILNS1_17partition_subalgoE8ElNS0_10empty_typeEbEEZZNS1_14partition_implILS5_8ELb0ES3_jPKlPS6_PKS6_NS0_5tupleIJPlS6_EEENSE_IJSB_SB_EEENS0_18inequality_wrapperIN6hipcub16HIPCUB_304000_NS8EqualityEEESF_JS6_EEE10hipError_tPvRmT3_T4_T5_T6_T7_T9_mT8_P12ihipStream_tbDpT10_ENKUlT_T0_E_clISt17integral_constantIbLb1EES16_EEDaS11_S12_EUlS11_E_NS1_11comp_targetILNS1_3genE5ELNS1_11target_archE942ELNS1_3gpuE9ELNS1_3repE0EEENS1_30default_config_static_selectorELNS0_4arch9wavefront6targetE1EEEvT1_ ; -- Begin function _ZN7rocprim17ROCPRIM_400000_NS6detail17trampoline_kernelINS0_14default_configENS1_25partition_config_selectorILNS1_17partition_subalgoE8ElNS0_10empty_typeEbEEZZNS1_14partition_implILS5_8ELb0ES3_jPKlPS6_PKS6_NS0_5tupleIJPlS6_EEENSE_IJSB_SB_EEENS0_18inequality_wrapperIN6hipcub16HIPCUB_304000_NS8EqualityEEESF_JS6_EEE10hipError_tPvRmT3_T4_T5_T6_T7_T9_mT8_P12ihipStream_tbDpT10_ENKUlT_T0_E_clISt17integral_constantIbLb1EES16_EEDaS11_S12_EUlS11_E_NS1_11comp_targetILNS1_3genE5ELNS1_11target_archE942ELNS1_3gpuE9ELNS1_3repE0EEENS1_30default_config_static_selectorELNS0_4arch9wavefront6targetE1EEEvT1_
	.globl	_ZN7rocprim17ROCPRIM_400000_NS6detail17trampoline_kernelINS0_14default_configENS1_25partition_config_selectorILNS1_17partition_subalgoE8ElNS0_10empty_typeEbEEZZNS1_14partition_implILS5_8ELb0ES3_jPKlPS6_PKS6_NS0_5tupleIJPlS6_EEENSE_IJSB_SB_EEENS0_18inequality_wrapperIN6hipcub16HIPCUB_304000_NS8EqualityEEESF_JS6_EEE10hipError_tPvRmT3_T4_T5_T6_T7_T9_mT8_P12ihipStream_tbDpT10_ENKUlT_T0_E_clISt17integral_constantIbLb1EES16_EEDaS11_S12_EUlS11_E_NS1_11comp_targetILNS1_3genE5ELNS1_11target_archE942ELNS1_3gpuE9ELNS1_3repE0EEENS1_30default_config_static_selectorELNS0_4arch9wavefront6targetE1EEEvT1_
	.p2align	8
	.type	_ZN7rocprim17ROCPRIM_400000_NS6detail17trampoline_kernelINS0_14default_configENS1_25partition_config_selectorILNS1_17partition_subalgoE8ElNS0_10empty_typeEbEEZZNS1_14partition_implILS5_8ELb0ES3_jPKlPS6_PKS6_NS0_5tupleIJPlS6_EEENSE_IJSB_SB_EEENS0_18inequality_wrapperIN6hipcub16HIPCUB_304000_NS8EqualityEEESF_JS6_EEE10hipError_tPvRmT3_T4_T5_T6_T7_T9_mT8_P12ihipStream_tbDpT10_ENKUlT_T0_E_clISt17integral_constantIbLb1EES16_EEDaS11_S12_EUlS11_E_NS1_11comp_targetILNS1_3genE5ELNS1_11target_archE942ELNS1_3gpuE9ELNS1_3repE0EEENS1_30default_config_static_selectorELNS0_4arch9wavefront6targetE1EEEvT1_,@function
_ZN7rocprim17ROCPRIM_400000_NS6detail17trampoline_kernelINS0_14default_configENS1_25partition_config_selectorILNS1_17partition_subalgoE8ElNS0_10empty_typeEbEEZZNS1_14partition_implILS5_8ELb0ES3_jPKlPS6_PKS6_NS0_5tupleIJPlS6_EEENSE_IJSB_SB_EEENS0_18inequality_wrapperIN6hipcub16HIPCUB_304000_NS8EqualityEEESF_JS6_EEE10hipError_tPvRmT3_T4_T5_T6_T7_T9_mT8_P12ihipStream_tbDpT10_ENKUlT_T0_E_clISt17integral_constantIbLb1EES16_EEDaS11_S12_EUlS11_E_NS1_11comp_targetILNS1_3genE5ELNS1_11target_archE942ELNS1_3gpuE9ELNS1_3repE0EEENS1_30default_config_static_selectorELNS0_4arch9wavefront6targetE1EEEvT1_: ; @_ZN7rocprim17ROCPRIM_400000_NS6detail17trampoline_kernelINS0_14default_configENS1_25partition_config_selectorILNS1_17partition_subalgoE8ElNS0_10empty_typeEbEEZZNS1_14partition_implILS5_8ELb0ES3_jPKlPS6_PKS6_NS0_5tupleIJPlS6_EEENSE_IJSB_SB_EEENS0_18inequality_wrapperIN6hipcub16HIPCUB_304000_NS8EqualityEEESF_JS6_EEE10hipError_tPvRmT3_T4_T5_T6_T7_T9_mT8_P12ihipStream_tbDpT10_ENKUlT_T0_E_clISt17integral_constantIbLb1EES16_EEDaS11_S12_EUlS11_E_NS1_11comp_targetILNS1_3genE5ELNS1_11target_archE942ELNS1_3gpuE9ELNS1_3repE0EEENS1_30default_config_static_selectorELNS0_4arch9wavefront6targetE1EEEvT1_
; %bb.0:
	s_load_dwordx2 s[24:25], s[0:1], 0x28
	s_load_dwordx4 s[20:23], s[0:1], 0x40
	s_load_dwordx2 s[8:9], s[0:1], 0x50
	s_load_dwordx2 s[30:31], s[0:1], 0x60
	v_cmp_ne_u32_e64 s[2:3], 0, v0
	v_cmp_eq_u32_e64 s[18:19], 0, v0
	s_and_saveexec_b64 s[4:5], s[18:19]
	s_cbranch_execz .LBB235_4
; %bb.1:
	s_mov_b64 s[10:11], exec
	v_mbcnt_lo_u32_b32 v1, s10, 0
	v_mbcnt_hi_u32_b32 v1, s11, v1
	v_cmp_eq_u32_e32 vcc, 0, v1
                                        ; implicit-def: $vgpr2
	s_and_saveexec_b64 s[6:7], vcc
	s_cbranch_execz .LBB235_3
; %bb.2:
	s_load_dwordx2 s[12:13], s[0:1], 0x70
	s_bcnt1_i32_b64 s10, s[10:11]
	v_mov_b32_e32 v2, 0
	v_mov_b32_e32 v3, s10
	s_waitcnt lgkmcnt(0)
	global_atomic_add v2, v2, v3, s[12:13] sc0
.LBB235_3:
	s_or_b64 exec, exec, s[6:7]
	s_waitcnt vmcnt(0)
	v_readfirstlane_b32 s6, v2
	v_mov_b32_e32 v2, 0
	s_nop 0
	v_add_u32_e32 v1, s6, v1
	ds_write_b32 v2, v1
.LBB235_4:
	s_or_b64 exec, exec, s[4:5]
	v_mov_b32_e32 v3, 0
	s_load_dwordx4 s[4:7], s[0:1], 0x8
	s_load_dword s10, s[0:1], 0x68
	s_waitcnt lgkmcnt(0)
	s_barrier
	ds_read_b32 v1, v3
	s_waitcnt lgkmcnt(0)
	s_barrier
	global_load_dwordx2 v[4:5], v3, s[22:23]
	s_lshl_b64 s[12:13], s[6:7], 3
	v_mov_b32_e32 v7, s9
	s_mul_i32 s9, s10, 0xe00
	s_add_u32 s4, s4, s12
	s_addc_u32 s5, s5, s13
	s_add_i32 s12, s9, s6
	s_add_i32 s10, s10, -1
	s_sub_i32 s36, s8, s12
	v_mov_b32_e32 v6, s8
	s_add_u32 s8, s6, s9
	s_addc_u32 s9, s7, 0
	v_readfirstlane_b32 s33, v1
	s_cmp_eq_u32 s33, s10
	s_movk_i32 s11, 0xe00
	v_cmp_ge_u64_e32 vcc, s[8:9], v[6:7]
	s_cselect_b64 s[26:27], -1, 0
	v_mul_lo_u32 v2, v1, s11
	s_and_b64 s[14:15], vcc, s[26:27]
	v_lshlrev_b64 v[6:7], 3, v[2:3]
	s_xor_b64 s[28:29], s[14:15], -1
	s_mov_b64 s[0:1], -1
	v_lshl_add_u64 v[18:19], s[4:5], 0, v[6:7]
	s_and_b64 vcc, exec, s[28:29]
	s_waitcnt vmcnt(0)
	v_readfirstlane_b32 s22, v4
	v_readfirstlane_b32 s23, v5
	s_cbranch_vccz .LBB235_6
; %bb.5:
	v_lshlrev_b32_e32 v2, 3, v0
	v_lshl_add_u64 v[4:5], v[18:19], 0, v[2:3]
	v_add_co_u32_e32 v8, vcc, 0x1000, v4
	v_readfirstlane_b32 s0, v18
	s_nop 0
	v_addc_co_u32_e32 v9, vcc, 0, v5, vcc
	v_add_co_u32_e32 v10, vcc, 0x2000, v4
	v_readfirstlane_b32 s1, v19
	s_nop 0
	v_addc_co_u32_e32 v11, vcc, 0, v5, vcc
	v_add_co_u32_e32 v12, vcc, 0x3000, v4
	s_nop 1
	v_addc_co_u32_e32 v13, vcc, 0, v5, vcc
	v_add_co_u32_e32 v14, vcc, 0x4000, v4
	global_load_dwordx2 v[6:7], v2, s[0:1]
	s_nop 0
	v_addc_co_u32_e32 v15, vcc, 0, v5, vcc
	global_load_dwordx2 v[16:17], v[8:9], off
	global_load_dwordx2 v[20:21], v[10:11], off
	;; [unrolled: 1-line block ×4, first 2 shown]
	v_add_co_u32_e32 v8, vcc, 0x5000, v4
	s_mov_b64 s[0:1], 0
	s_nop 0
	v_addc_co_u32_e32 v9, vcc, 0, v5, vcc
	v_add_co_u32_e32 v4, vcc, 0x6000, v4
	global_load_dwordx2 v[8:9], v[8:9], off
	s_nop 0
	v_addc_co_u32_e32 v5, vcc, 0, v5, vcc
	global_load_dwordx2 v[4:5], v[4:5], off
	s_waitcnt vmcnt(5)
	ds_write2st64_b64 v2, v[6:7], v[16:17] offset1:8
	s_waitcnt vmcnt(3)
	ds_write2st64_b64 v2, v[20:21], v[22:23] offset0:16 offset1:24
	s_waitcnt vmcnt(1)
	ds_write2st64_b64 v2, v[24:25], v[8:9] offset0:32 offset1:40
	s_waitcnt vmcnt(0)
	ds_write_b64 v2, v[4:5] offset:24576
	s_waitcnt lgkmcnt(0)
	s_barrier
.LBB235_6:
	s_andn2_b64 vcc, exec, s[0:1]
	s_addk_i32 s36, 0xe00
	s_cbranch_vccnz .LBB235_22
; %bb.7:
	v_cmp_gt_u32_e32 vcc, s36, v0
                                        ; implicit-def: $vgpr2_vgpr3_vgpr4_vgpr5_vgpr6_vgpr7_vgpr8_vgpr9_vgpr10_vgpr11_vgpr12_vgpr13_vgpr14_vgpr15_vgpr16_vgpr17
	s_and_saveexec_b64 s[0:1], vcc
	s_cbranch_execz .LBB235_9
; %bb.8:
	v_lshlrev_b32_e32 v1, 3, v0
	v_readfirstlane_b32 s4, v18
	v_readfirstlane_b32 s5, v19
	s_nop 4
	global_load_dwordx2 v[2:3], v1, s[4:5]
.LBB235_9:
	s_or_b64 exec, exec, s[0:1]
	v_or_b32_e32 v1, 0x200, v0
	v_cmp_gt_u32_e32 vcc, s36, v1
	s_and_saveexec_b64 s[0:1], vcc
	s_cbranch_execz .LBB235_11
; %bb.10:
	v_lshlrev_b32_e32 v1, 3, v1
	v_readfirstlane_b32 s4, v18
	v_readfirstlane_b32 s5, v19
	s_nop 4
	global_load_dwordx2 v[4:5], v1, s[4:5]
.LBB235_11:
	s_or_b64 exec, exec, s[0:1]
	v_or_b32_e32 v1, 0x400, v0
	v_cmp_gt_u32_e32 vcc, s36, v1
	s_and_saveexec_b64 s[0:1], vcc
	s_cbranch_execz .LBB235_13
; %bb.12:
	v_lshlrev_b32_e32 v1, 3, v1
	v_readfirstlane_b32 s4, v18
	v_readfirstlane_b32 s5, v19
	s_nop 4
	global_load_dwordx2 v[6:7], v1, s[4:5]
.LBB235_13:
	s_or_b64 exec, exec, s[0:1]
	v_or_b32_e32 v1, 0x600, v0
	v_cmp_gt_u32_e32 vcc, s36, v1
	s_and_saveexec_b64 s[0:1], vcc
	s_cbranch_execz .LBB235_15
; %bb.14:
	v_lshlrev_b32_e32 v1, 3, v1
	v_readfirstlane_b32 s4, v18
	v_readfirstlane_b32 s5, v19
	s_nop 4
	global_load_dwordx2 v[8:9], v1, s[4:5]
.LBB235_15:
	s_or_b64 exec, exec, s[0:1]
	v_or_b32_e32 v1, 0x800, v0
	v_cmp_gt_u32_e32 vcc, s36, v1
	s_and_saveexec_b64 s[0:1], vcc
	s_cbranch_execz .LBB235_17
; %bb.16:
	v_lshlrev_b32_e32 v1, 3, v1
	v_readfirstlane_b32 s4, v18
	v_readfirstlane_b32 s5, v19
	s_nop 4
	global_load_dwordx2 v[10:11], v1, s[4:5]
.LBB235_17:
	s_or_b64 exec, exec, s[0:1]
	v_or_b32_e32 v1, 0xa00, v0
	v_cmp_gt_u32_e32 vcc, s36, v1
	s_and_saveexec_b64 s[0:1], vcc
	s_cbranch_execz .LBB235_19
; %bb.18:
	v_lshlrev_b32_e32 v1, 3, v1
	v_readfirstlane_b32 s4, v18
	v_readfirstlane_b32 s5, v19
	s_nop 4
	global_load_dwordx2 v[12:13], v1, s[4:5]
.LBB235_19:
	s_or_b64 exec, exec, s[0:1]
	v_or_b32_e32 v1, 0xc00, v0
	v_cmp_gt_u32_e32 vcc, s36, v1
	s_and_saveexec_b64 s[0:1], vcc
	s_cbranch_execz .LBB235_21
; %bb.20:
	v_lshlrev_b32_e32 v1, 3, v1
	v_readfirstlane_b32 s4, v18
	v_readfirstlane_b32 s5, v19
	s_nop 4
	global_load_dwordx2 v[14:15], v1, s[4:5]
.LBB235_21:
	s_or_b64 exec, exec, s[0:1]
	v_lshlrev_b32_e32 v1, 3, v0
	s_waitcnt vmcnt(0)
	ds_write2st64_b64 v1, v[2:3], v[4:5] offset1:8
	ds_write2st64_b64 v1, v[6:7], v[8:9] offset0:16 offset1:24
	ds_write2st64_b64 v1, v[10:11], v[12:13] offset0:32 offset1:40
	ds_write_b64 v1, v[14:15] offset:24576
	s_waitcnt lgkmcnt(0)
	s_barrier
.LBB235_22:
	v_mul_u32_u24_e32 v20, 7, v0
	v_lshlrev_b32_e32 v1, 3, v20
	ds_read2_b64 v[10:13], v1 offset1:1
	ds_read2_b64 v[6:9], v1 offset0:2 offset1:3
	ds_read2_b64 v[2:5], v1 offset0:4 offset1:5
	ds_read_b64 v[14:15], v1 offset:48
	s_cmp_lg_u32 s33, 0
	s_cselect_b64 s[16:17], -1, 0
	s_cmp_lg_u64 s[6:7], 0
	s_cselect_b64 s[0:1], -1, 0
	s_or_b64 s[0:1], s[0:1], s[16:17]
	v_mad_u32_u24 v22, v0, 7, 1
	v_mad_u32_u24 v21, v0, 7, 2
	;; [unrolled: 1-line block ×6, first 2 shown]
	s_mov_b64 s[34:35], 0
	s_and_b64 vcc, exec, s[0:1]
	s_waitcnt lgkmcnt(0)
	s_barrier
	s_cbranch_vccz .LBB235_27
; %bb.23:
	global_load_dwordx2 v[16:17], v[18:19], off offset:-8
	v_lshlrev_b32_e32 v30, 3, v0
	s_and_b64 vcc, exec, s[28:29]
	ds_write_b64 v30, v[14:15]
	s_cbranch_vccz .LBB235_29
; %bb.24:
	s_waitcnt vmcnt(0)
	v_mov_b64_e32 v[18:19], v[16:17]
	s_waitcnt lgkmcnt(0)
	s_barrier
	s_and_saveexec_b64 s[0:1], s[2:3]
	s_cbranch_execz .LBB235_26
; %bb.25:
	v_add_u32_e32 v18, -8, v30
	ds_read_b64 v[18:19], v18
.LBB235_26:
	s_or_b64 exec, exec, s[0:1]
	v_cmp_ne_u64_e32 vcc, v[4:5], v[14:15]
	s_waitcnt lgkmcnt(0)
	v_cmp_ne_u64_e64 s[0:1], v[18:19], v[10:11]
	v_cndmask_b32_e64 v29, 0, 1, vcc
	v_cmp_ne_u64_e32 vcc, v[2:3], v[4:5]
	s_nop 1
	v_cndmask_b32_e64 v27, 0, 1, vcc
	v_cmp_ne_u64_e32 vcc, v[8:9], v[2:3]
	s_nop 1
	;; [unrolled: 3-line block ×3, first 2 shown]
	v_cndmask_b32_e64 v31, 0, 1, vcc
	v_cmp_ne_u64_e32 vcc, v[12:13], v[6:7]
	v_lshlrev_b16_e32 v18, 8, v31
	s_nop 0
	v_cndmask_b32_e64 v32, 0, 1, vcc
	v_cmp_ne_u64_e32 vcc, v[10:11], v[12:13]
	v_or_b32_sdwa v18, v32, v18 dst_sel:WORD_1 dst_unused:UNUSED_PAD src0_sel:DWORD src1_sel:DWORD
	s_nop 0
	v_cndmask_b32_e64 v33, 0, 1, vcc
	v_lshlrev_b16_e32 v19, 8, v33
	v_or_b32_e32 v18, v19, v18
	s_branch .LBB235_33
.LBB235_27:
                                        ; implicit-def: $sgpr0_sgpr1
                                        ; implicit-def: $vgpr29
                                        ; implicit-def: $vgpr27
                                        ; implicit-def: $vgpr28
                                        ; implicit-def: $vgpr18
	s_branch .LBB235_34
.LBB235_28:
                                        ; implicit-def: $vgpr16_vgpr17
	s_and_saveexec_b64 s[2:3], s[34:35]
	s_cbranch_execnz .LBB235_42
	s_branch .LBB235_43
.LBB235_29:
                                        ; implicit-def: $sgpr0_sgpr1
                                        ; implicit-def: $vgpr29
                                        ; implicit-def: $vgpr27
                                        ; implicit-def: $vgpr28
                                        ; implicit-def: $vgpr18
	s_cbranch_execz .LBB235_33
; %bb.30:
	s_waitcnt lgkmcnt(0)
	s_barrier
	s_and_saveexec_b64 s[0:1], s[2:3]
	s_cbranch_execz .LBB235_32
; %bb.31:
	s_waitcnt vmcnt(0)
	v_add_u32_e32 v16, -8, v30
	ds_read_b64 v[16:17], v16
.LBB235_32:
	s_or_b64 exec, exec, s[0:1]
	v_cmp_gt_u32_e32 vcc, s36, v24
	v_cmp_ne_u64_e64 s[0:1], v[4:5], v[14:15]
	s_and_b64 s[0:1], vcc, s[0:1]
	v_cmp_gt_u32_e32 vcc, s36, v26
	v_cndmask_b32_e64 v29, 0, 1, s[0:1]
	v_cmp_ne_u64_e64 s[0:1], v[2:3], v[4:5]
	s_and_b64 s[0:1], vcc, s[0:1]
	v_cmp_gt_u32_e32 vcc, s36, v23
	v_cndmask_b32_e64 v27, 0, 1, s[0:1]
	;; [unrolled: 4-line block ×6, first 2 shown]
	s_waitcnt vmcnt(0) lgkmcnt(0)
	v_cmp_ne_u64_e64 s[0:1], v[16:17], v[10:11]
	v_lshlrev_b16_e32 v16, 8, v18
	v_or_b32_sdwa v16, v19, v16 dst_sel:WORD_1 dst_unused:UNUSED_PAD src0_sel:DWORD src1_sel:DWORD
	v_lshlrev_b16_e32 v17, 8, v30
	s_and_b64 s[0:1], vcc, s[0:1]
	v_or_b32_e32 v18, v17, v16
.LBB235_33:
	s_mov_b64 s[34:35], -1
	s_cbranch_execnz .LBB235_28
.LBB235_34:
	s_movk_i32 s0, 0xffd0
	v_mad_i32_i24 v19, v0, s0, v1
	s_and_b64 vcc, exec, s[28:29]
	v_cmp_ne_u64_e64 s[0:1], v[4:5], v[14:15]
	v_cmp_ne_u64_e64 s[4:5], v[2:3], v[4:5]
	;; [unrolled: 1-line block ×6, first 2 shown]
	ds_write_b64 v19, v[14:15]
	s_cbranch_vccz .LBB235_38
; %bb.35:
	v_cndmask_b32_e64 v27, 0, 1, s[4:5]
	s_waitcnt vmcnt(0)
	v_cndmask_b32_e64 v16, 0, 1, s[8:9]
	v_cndmask_b32_e64 v28, 0, 1, s[6:7]
	;; [unrolled: 1-line block ×4, first 2 shown]
	v_lshlrev_b16_e32 v17, 8, v27
	v_lshlrev_b16_e32 v16, 8, v16
	v_or_b32_e32 v17, v28, v17
	v_or_b32_sdwa v16, v18, v16 dst_sel:WORD_1 dst_unused:UNUSED_PAD src0_sel:DWORD src1_sel:DWORD
	v_lshlrev_b16_e32 v18, 8, v30
	v_and_b32_e32 v17, 0xffff, v17
	v_cndmask_b32_e64 v29, 0, 1, s[0:1]
	v_or_b32_e32 v18, 1, v18
	v_lshl_or_b32 v17, v29, 16, v17
	v_or_b32_sdwa v16, v18, v16 dst_sel:DWORD dst_unused:UNUSED_PAD src0_sel:WORD_0 src1_sel:DWORD
	s_waitcnt lgkmcnt(0)
	s_barrier
	s_waitcnt lgkmcnt(0)
                                        ; implicit-def: $sgpr0_sgpr1
                                        ; implicit-def: $vgpr18
	s_and_saveexec_b64 s[4:5], s[2:3]
	s_xor_b64 s[4:5], exec, s[4:5]
	s_cbranch_execz .LBB235_37
; %bb.36:
	v_add_u32_e32 v17, -8, v19
	ds_read_b64 v[30:31], v17
	s_mov_b32 s0, 0x3020104
	v_perm_b32 v18, v16, v16, s0
	s_or_b64 s[34:35], s[34:35], exec
                                        ; implicit-def: $vgpr16_vgpr17
	s_waitcnt lgkmcnt(0)
	v_cmp_ne_u64_e32 vcc, v[30:31], v[10:11]
	s_and_b64 s[0:1], vcc, exec
.LBB235_37:
	s_or_b64 exec, exec, s[4:5]
	s_branch .LBB235_41
.LBB235_38:
                                        ; implicit-def: $sgpr0_sgpr1
                                        ; implicit-def: $vgpr29
                                        ; implicit-def: $vgpr27
                                        ; implicit-def: $vgpr28
                                        ; implicit-def: $vgpr18
                                        ; implicit-def: $vgpr16_vgpr17
	s_cbranch_execz .LBB235_41
; %bb.39:
	v_cmp_gt_u32_e64 s[4:5], s36, v26
	v_cmp_ne_u64_e64 s[6:7], v[2:3], v[4:5]
	s_and_b64 s[4:5], s[4:5], s[6:7]
	v_cndmask_b32_e64 v27, 0, 1, s[4:5]
	v_cmp_gt_u32_e64 s[4:5], s36, v23
	v_cmp_ne_u64_e64 s[6:7], v[8:9], v[2:3]
	s_and_b64 s[4:5], s[4:5], s[6:7]
	v_cndmask_b32_e64 v28, 0, 1, s[4:5]
	v_cmp_gt_u32_e64 s[4:5], s36, v25
	v_cmp_ne_u64_e64 s[6:7], v[6:7], v[8:9]
	s_and_b64 s[4:5], s[4:5], s[6:7]
	s_waitcnt vmcnt(0)
	v_cndmask_b32_e64 v16, 0, 1, s[4:5]
	v_cmp_gt_u32_e64 s[4:5], s36, v21
	v_cmp_ne_u64_e64 s[6:7], v[12:13], v[6:7]
	s_and_b64 s[4:5], s[4:5], s[6:7]
	v_cndmask_b32_e64 v18, 0, 1, s[4:5]
	v_cmp_gt_u32_e64 s[4:5], s36, v22
	v_cmp_ne_u64_e64 s[6:7], v[10:11], v[12:13]
	s_and_b64 s[4:5], s[4:5], s[6:7]
	v_cmp_gt_u32_e32 vcc, s36, v24
	v_cmp_ne_u64_e64 s[0:1], v[4:5], v[14:15]
	v_cndmask_b32_e64 v30, 0, 1, s[4:5]
	v_lshlrev_b16_e32 v17, 8, v27
	v_lshlrev_b16_e32 v16, 8, v16
	v_or_b32_e32 v17, v28, v17
	s_and_b64 s[0:1], vcc, s[0:1]
	v_or_b32_sdwa v16, v18, v16 dst_sel:WORD_1 dst_unused:UNUSED_PAD src0_sel:DWORD src1_sel:DWORD
	v_lshlrev_b16_e32 v18, 8, v30
	v_and_b32_e32 v17, 0xffff, v17
	v_cndmask_b32_e64 v29, 0, 1, s[0:1]
	v_or_b32_e32 v18, 1, v18
	v_lshl_or_b32 v17, v29, 16, v17
	v_or_b32_sdwa v16, v18, v16 dst_sel:DWORD dst_unused:UNUSED_PAD src0_sel:WORD_0 src1_sel:DWORD
	s_waitcnt lgkmcnt(0)
	s_barrier
	s_waitcnt lgkmcnt(0)
                                        ; implicit-def: $sgpr0_sgpr1
                                        ; implicit-def: $vgpr18
	s_and_saveexec_b64 s[4:5], s[2:3]
	s_cbranch_execz .LBB235_131
; %bb.40:
	v_add_u32_e32 v17, -8, v19
	ds_read_b64 v[30:31], v17
	s_mov_b32 s0, 0x3020104
	v_cmp_gt_u32_e32 vcc, s36, v20
	v_perm_b32 v18, v16, v16, s0
	s_or_b64 s[34:35], s[34:35], exec
	s_waitcnt lgkmcnt(0)
	v_cmp_ne_u64_e64 s[0:1], v[30:31], v[10:11]
	s_and_b64 s[0:1], vcc, s[0:1]
	s_and_b64 s[0:1], s[0:1], exec
                                        ; implicit-def: $vgpr16_vgpr17
	s_or_b64 exec, exec, s[4:5]
.LBB235_41:
	s_and_saveexec_b64 s[2:3], s[34:35]
	s_cbranch_execz .LBB235_43
.LBB235_42:
	s_waitcnt vmcnt(0)
	v_lshlrev_b16_e32 v17, 8, v27
	v_and_b32_e32 v19, 0xff, v29
	v_or_b32_sdwa v17, v28, v17 dst_sel:DWORD dst_unused:UNUSED_PAD src0_sel:BYTE_0 src1_sel:DWORD
	v_lshlrev_b32_e32 v19, 16, v19
	v_cndmask_b32_e64 v16, 0, 1, s[0:1]
	s_movk_i32 s0, 0xff
	v_or_b32_sdwa v17, v17, v19 dst_sel:DWORD dst_unused:UNUSED_PAD src0_sel:WORD_0 src1_sel:DWORD
	v_lshrrev_b32_e32 v19, 24, v18
	v_lshlrev_b16_e32 v19, 8, v19
	v_and_b32_sdwa v27, v18, s0 dst_sel:DWORD dst_unused:UNUSED_PAD src0_sel:WORD_1 src1_sel:DWORD
	v_or_b32_sdwa v19, v27, v19 dst_sel:WORD_1 dst_unused:UNUSED_PAD src0_sel:DWORD src1_sel:DWORD
	v_mov_b32_e32 v27, 8
	v_lshrrev_b32_sdwa v18, v27, v18 dst_sel:BYTE_1 dst_unused:UNUSED_PAD src0_sel:DWORD src1_sel:DWORD
	s_nop 0
	v_or_b32_e32 v16, v16, v18
	v_or_b32_sdwa v16, v16, v19 dst_sel:DWORD dst_unused:UNUSED_PAD src0_sel:WORD_0 src1_sel:DWORD
.LBB235_43:
	s_or_b64 exec, exec, s[2:3]
	s_andn2_b64 vcc, exec, s[14:15]
	s_cbranch_vccnz .LBB235_45
; %bb.44:
	s_waitcnt vmcnt(0)
	v_and_b32_e32 v18, 0xffff0000, v16
	v_cmp_gt_u32_e32 vcc, s36, v20
	s_mov_b32 s0, 0x40c0100
	s_nop 0
	v_cndmask_b32_e32 v18, v18, v16, vcc
	v_and_b32_e32 v18, 0xffff00ff, v18
	v_cmp_gt_u32_e32 vcc, s36, v22
	s_nop 1
	v_cndmask_b32_e32 v18, v18, v16, vcc
	v_lshrrev_b32_e32 v19, 24, v18
	v_perm_b32 v18, v19, v18, s0
	v_cmp_gt_u32_e32 vcc, s36, v21
	v_and_b32_e32 v19, 0xffffff00, v17
	s_nop 0
	v_cndmask_b32_e32 v18, v18, v16, vcc
	v_and_b32_e32 v18, 0xffffff, v18
	v_cmp_gt_u32_e32 vcc, s36, v25
	s_nop 1
	v_cndmask_b32_e32 v18, v18, v16, vcc
	v_cmp_gt_u32_e32 vcc, s36, v23
	s_nop 1
	v_cndmask_b32_e32 v19, v19, v17, vcc
	v_and_b32_e32 v19, 0xffff00ff, v19
	v_cndmask_b32_e32 v18, v18, v16, vcc
	v_cmp_gt_u32_e32 vcc, s36, v26
	s_nop 1
	v_cndmask_b32_e32 v19, v19, v17, vcc
	v_lshrrev_b32_e32 v20, 24, v19
	v_cndmask_b32_e32 v18, v18, v16, vcc
	v_perm_b32 v19, v20, v19, s0
	v_cmp_gt_u32_e32 vcc, s36, v24
	s_mov_b32 s0, 0x3020104
	s_nop 0
	v_cndmask_b32_e32 v16, v18, v16, vcc
	v_cndmask_b32_e32 v17, v19, v17, vcc
	v_mov_b32_e32 v18, 8
	v_lshrrev_b32_sdwa v18, v18, v17 dst_sel:BYTE_1 dst_unused:UNUSED_PAD src0_sel:DWORD src1_sel:DWORD
	v_perm_b32 v16, v16, v16, s0
	v_or_b32_sdwa v18, v17, v18 dst_sel:DWORD dst_unused:UNUSED_PAD src0_sel:BYTE_0 src1_sel:DWORD
	v_and_b32_e32 v18, 0xffff, v18
	v_bfe_u32 v17, v17, 16, 8
	v_lshl_or_b32 v17, v17, 16, v18
.LBB235_45:
	s_waitcnt vmcnt(0)
	v_and_b32_e32 v29, 0xff, v16
	v_bfe_u32 v31, v16, 8, 8
	v_bfe_u32 v33, v16, 16, 8
	v_alignbit_b32 v18, v17, v16, 24
	v_and_b32_e32 v35, 0xff, v18
	v_and_b32_e32 v36, 0xff, v17
	v_add3_u32 v19, v31, v29, v33
	v_bfe_u32 v37, v17, 8, 8
	v_bfe_u32 v18, v17, 16, 8
	v_add3_u32 v19, v19, v35, v36
	v_add3_u32 v40, v19, v37, v18
	v_mbcnt_lo_u32_b32 v18, -1, 0
	v_mbcnt_hi_u32_b32 v38, -1, v18
	v_and_b32_e32 v18, 15, v38
	v_cmp_eq_u32_e64 s[14:15], 0, v18
	v_cmp_lt_u32_e64 s[12:13], 1, v18
	v_cmp_lt_u32_e64 s[10:11], 3, v18
	;; [unrolled: 1-line block ×3, first 2 shown]
	v_and_b32_e32 v18, 16, v38
	v_cmp_eq_u32_e64 s[6:7], 0, v18
	v_or_b32_e32 v18, 63, v0
	v_cmp_lt_u32_e64 s[2:3], 31, v38
	v_lshrrev_b32_e32 v39, 6, v0
	v_cmp_eq_u32_e64 s[4:5], v18, v0
	s_and_b64 vcc, exec, s[16:17]
	s_waitcnt lgkmcnt(0)
	s_barrier
	s_cbranch_vccz .LBB235_76
; %bb.46:
	v_mov_b32_dpp v18, v40 row_shr:1 row_mask:0xf bank_mask:0xf
	v_cndmask_b32_e64 v18, v18, 0, s[14:15]
	v_add_u32_e32 v18, v18, v40
	s_nop 1
	v_mov_b32_dpp v19, v18 row_shr:2 row_mask:0xf bank_mask:0xf
	v_cndmask_b32_e64 v19, 0, v19, s[12:13]
	v_add_u32_e32 v18, v18, v19
	s_nop 1
	;; [unrolled: 4-line block ×4, first 2 shown]
	v_mov_b32_dpp v19, v18 row_bcast:15 row_mask:0xf bank_mask:0xf
	v_cndmask_b32_e64 v19, v19, 0, s[6:7]
	v_add_u32_e32 v18, v18, v19
	s_nop 1
	v_mov_b32_dpp v19, v18 row_bcast:31 row_mask:0xf bank_mask:0xf
	v_cndmask_b32_e64 v19, 0, v19, s[2:3]
	v_add_u32_e32 v18, v18, v19
	s_and_saveexec_b64 s[0:1], s[4:5]
	s_cbranch_execz .LBB235_48
; %bb.47:
	v_lshlrev_b32_e32 v19, 2, v39
	ds_write_b32 v19, v18
.LBB235_48:
	s_or_b64 exec, exec, s[0:1]
	v_cmp_gt_u32_e32 vcc, 8, v0
	s_waitcnt lgkmcnt(0)
	s_barrier
	s_and_saveexec_b64 s[0:1], vcc
	s_cbranch_execz .LBB235_50
; %bb.49:
	v_lshlrev_b32_e32 v19, 2, v0
	ds_read_b32 v20, v19
	v_and_b32_e32 v21, 7, v38
	v_cmp_ne_u32_e32 vcc, 0, v21
	s_waitcnt lgkmcnt(0)
	v_mov_b32_dpp v22, v20 row_shr:1 row_mask:0xf bank_mask:0xf
	v_cndmask_b32_e32 v22, 0, v22, vcc
	v_add_u32_e32 v20, v22, v20
	v_cmp_lt_u32_e32 vcc, 1, v21
	s_nop 0
	v_mov_b32_dpp v22, v20 row_shr:2 row_mask:0xf bank_mask:0xf
	v_cndmask_b32_e32 v22, 0, v22, vcc
	v_add_u32_e32 v20, v20, v22
	v_cmp_lt_u32_e32 vcc, 3, v21
	s_nop 0
	v_mov_b32_dpp v22, v20 row_shr:4 row_mask:0xf bank_mask:0xf
	v_cndmask_b32_e32 v21, 0, v22, vcc
	v_add_u32_e32 v20, v20, v21
	ds_write_b32 v19, v20
.LBB235_50:
	s_or_b64 exec, exec, s[0:1]
	v_cmp_gt_u32_e32 vcc, 64, v0
	v_cmp_lt_u32_e64 s[0:1], 63, v0
	s_waitcnt lgkmcnt(0)
	s_barrier
	s_waitcnt lgkmcnt(0)
                                        ; implicit-def: $vgpr28
	s_and_saveexec_b64 s[16:17], s[0:1]
	s_cbranch_execz .LBB235_52
; %bb.51:
	v_lshl_add_u32 v19, v39, 2, -4
	ds_read_b32 v28, v19
	s_waitcnt lgkmcnt(0)
	v_add_u32_e32 v18, v28, v18
.LBB235_52:
	s_or_b64 exec, exec, s[16:17]
	v_add_u32_e32 v19, -1, v38
	v_and_b32_e32 v20, 64, v38
	v_cmp_lt_i32_e64 s[0:1], v19, v20
	v_cmp_eq_u32_e64 s[16:17], 0, v38
	s_nop 0
	v_cndmask_b32_e64 v19, v19, v38, s[0:1]
	v_lshlrev_b32_e32 v19, 2, v19
	ds_bpermute_b32 v30, v19, v18
	s_and_saveexec_b64 s[0:1], vcc
	s_cbranch_execz .LBB235_75
; %bb.53:
	v_mov_b32_e32 v27, 0
	ds_read_b32 v18, v27 offset:28
	s_and_saveexec_b64 s[34:35], s[16:17]
	s_cbranch_execz .LBB235_55
; %bb.54:
	s_add_i32 s36, s33, 64
	s_mov_b32 s37, 0
	s_lshl_b64 s[36:37], s[36:37], 3
	s_add_u32 s36, s30, s36
	v_mov_b32_e32 v19, 1
	s_addc_u32 s37, s31, s37
	s_waitcnt lgkmcnt(0)
	global_store_dwordx2 v27, v[18:19], s[36:37] sc1
.LBB235_55:
	s_or_b64 exec, exec, s[34:35]
	v_xad_u32 v20, v38, -1, s33
	v_add_u32_e32 v26, 64, v20
	v_lshl_add_u64 v[22:23], v[26:27], 3, s[30:31]
	global_load_dwordx2 v[24:25], v[22:23], off sc1
	s_waitcnt vmcnt(0)
	v_cmp_eq_u16_sdwa s[36:37], v25, v27 src0_sel:BYTE_0 src1_sel:DWORD
	s_and_saveexec_b64 s[34:35], s[36:37]
	s_cbranch_execz .LBB235_61
; %bb.56:
	s_mov_b32 s38, 1
	s_mov_b64 s[36:37], 0
	v_mov_b32_e32 v19, 0
.LBB235_57:                             ; =>This Loop Header: Depth=1
                                        ;     Child Loop BB235_58 Depth 2
	s_max_u32 s39, s38, 1
.LBB235_58:                             ;   Parent Loop BB235_57 Depth=1
                                        ; =>  This Inner Loop Header: Depth=2
	s_add_i32 s39, s39, -1
	s_cmp_eq_u32 s39, 0
	s_sleep 1
	s_cbranch_scc0 .LBB235_58
; %bb.59:                               ;   in Loop: Header=BB235_57 Depth=1
	global_load_dwordx2 v[24:25], v[22:23], off sc1
	s_cmp_lt_u32 s38, 32
	s_cselect_b64 s[40:41], -1, 0
	s_cmp_lg_u64 s[40:41], 0
	s_addc_u32 s38, s38, 0
	s_waitcnt vmcnt(0)
	v_cmp_ne_u16_sdwa s[40:41], v25, v19 src0_sel:BYTE_0 src1_sel:DWORD
	s_or_b64 s[36:37], s[40:41], s[36:37]
	s_andn2_b64 exec, exec, s[36:37]
	s_cbranch_execnz .LBB235_57
; %bb.60:
	s_or_b64 exec, exec, s[36:37]
.LBB235_61:
	s_or_b64 exec, exec, s[34:35]
	v_and_b32_e32 v34, 63, v38
	v_mov_b32_e32 v32, 2
	v_cmp_ne_u32_e32 vcc, 63, v34
	v_cmp_eq_u16_sdwa s[34:35], v25, v32 src0_sel:BYTE_0 src1_sel:DWORD
	v_lshlrev_b64 v[22:23], v38, -1
	v_addc_co_u32_e32 v26, vcc, 0, v38, vcc
	v_and_b32_e32 v19, s35, v23
	v_lshlrev_b32_e32 v41, 2, v26
	v_or_b32_e32 v19, 0x80000000, v19
	ds_bpermute_b32 v26, v41, v24
	v_and_b32_e32 v21, s34, v22
	v_ffbl_b32_e32 v19, v19
	v_add_u32_e32 v19, 32, v19
	v_ffbl_b32_e32 v21, v21
	v_min_u32_e32 v19, v21, v19
	v_cmp_lt_u32_e32 vcc, v34, v19
	v_add_u32_e32 v43, 2, v34
	v_add_u32_e32 v45, 4, v34
	s_waitcnt lgkmcnt(0)
	v_cndmask_b32_e32 v21, 0, v26, vcc
	v_cmp_gt_u32_e32 vcc, 62, v34
	v_add_u32_e32 v21, v21, v24
	v_add_u32_e32 v47, 8, v34
	v_cndmask_b32_e64 v24, 0, 1, vcc
	v_lshlrev_b32_e32 v24, 1, v24
	v_add_lshl_u32 v42, v24, v38, 2
	ds_bpermute_b32 v24, v42, v21
	v_cmp_le_u32_e32 vcc, v43, v19
	v_add_u32_e32 v49, 16, v34
	v_add_u32_e32 v51, 32, v34
	s_waitcnt lgkmcnt(0)
	v_cndmask_b32_e32 v24, 0, v24, vcc
	v_cmp_gt_u32_e32 vcc, 60, v34
	v_add_u32_e32 v21, v21, v24
	s_nop 0
	v_cndmask_b32_e64 v24, 0, 1, vcc
	v_lshlrev_b32_e32 v24, 2, v24
	v_add_lshl_u32 v44, v24, v38, 2
	ds_bpermute_b32 v24, v44, v21
	v_cmp_le_u32_e32 vcc, v45, v19
	s_waitcnt lgkmcnt(0)
	s_nop 0
	v_cndmask_b32_e32 v24, 0, v24, vcc
	v_cmp_gt_u32_e32 vcc, 56, v34
	v_add_u32_e32 v21, v21, v24
	s_nop 0
	v_cndmask_b32_e64 v24, 0, 1, vcc
	v_lshlrev_b32_e32 v24, 3, v24
	v_add_lshl_u32 v46, v24, v38, 2
	ds_bpermute_b32 v24, v46, v21
	v_cmp_le_u32_e32 vcc, v47, v19
	s_waitcnt lgkmcnt(0)
	s_nop 0
	;; [unrolled: 11-line block ×4, first 2 shown]
	v_cndmask_b32_e32 v19, 0, v24, vcc
	v_add_u32_e32 v24, v21, v19
	v_mov_b32_e32 v21, 0
	s_branch .LBB235_63
.LBB235_62:                             ;   in Loop: Header=BB235_63 Depth=1
	s_or_b64 exec, exec, s[34:35]
	v_cmp_eq_u16_sdwa s[34:35], v25, v32 src0_sel:BYTE_0 src1_sel:DWORD
	ds_bpermute_b32 v52, v41, v24
	v_subrev_u32_e32 v20, 64, v20
	v_and_b32_e32 v26, s35, v23
	v_or_b32_e32 v26, 0x80000000, v26
	v_and_b32_e32 v27, s34, v22
	v_ffbl_b32_e32 v26, v26
	v_add_u32_e32 v26, 32, v26
	v_ffbl_b32_e32 v27, v27
	v_min_u32_e32 v26, v27, v26
	v_cmp_lt_u32_e32 vcc, v34, v26
	s_waitcnt lgkmcnt(0)
	s_nop 0
	v_cndmask_b32_e32 v27, 0, v52, vcc
	v_add_u32_e32 v24, v27, v24
	ds_bpermute_b32 v27, v42, v24
	v_cmp_le_u32_e32 vcc, v43, v26
	s_waitcnt lgkmcnt(0)
	s_nop 0
	v_cndmask_b32_e32 v27, 0, v27, vcc
	v_add_u32_e32 v24, v24, v27
	ds_bpermute_b32 v27, v44, v24
	v_cmp_le_u32_e32 vcc, v45, v26
	;; [unrolled: 6-line block ×5, first 2 shown]
	s_waitcnt lgkmcnt(0)
	s_nop 0
	v_cndmask_b32_e32 v26, 0, v27, vcc
	v_add3_u32 v24, v26, v19, v24
.LBB235_63:                             ; =>This Loop Header: Depth=1
                                        ;     Child Loop BB235_66 Depth 2
                                        ;       Child Loop BB235_67 Depth 3
	v_cmp_ne_u16_sdwa s[34:35], v25, v32 src0_sel:BYTE_0 src1_sel:DWORD
	s_nop 1
	v_cndmask_b32_e64 v19, 0, 1, s[34:35]
	;;#ASMSTART
	;;#ASMEND
	s_nop 0
	v_cmp_ne_u32_e32 vcc, 0, v19
	s_cmp_lg_u64 vcc, exec
	v_mov_b32_e32 v19, v24
	s_cbranch_scc1 .LBB235_70
; %bb.64:                               ;   in Loop: Header=BB235_63 Depth=1
	v_lshl_add_u64 v[26:27], v[20:21], 3, s[30:31]
	global_load_dwordx2 v[24:25], v[26:27], off sc1
	s_waitcnt vmcnt(0)
	v_cmp_eq_u16_sdwa s[36:37], v25, v21 src0_sel:BYTE_0 src1_sel:DWORD
	s_and_saveexec_b64 s[34:35], s[36:37]
	s_cbranch_execz .LBB235_62
; %bb.65:                               ;   in Loop: Header=BB235_63 Depth=1
	s_mov_b32 s38, 1
	s_mov_b64 s[36:37], 0
.LBB235_66:                             ;   Parent Loop BB235_63 Depth=1
                                        ; =>  This Loop Header: Depth=2
                                        ;       Child Loop BB235_67 Depth 3
	s_max_u32 s39, s38, 1
.LBB235_67:                             ;   Parent Loop BB235_63 Depth=1
                                        ;     Parent Loop BB235_66 Depth=2
                                        ; =>    This Inner Loop Header: Depth=3
	s_add_i32 s39, s39, -1
	s_cmp_eq_u32 s39, 0
	s_sleep 1
	s_cbranch_scc0 .LBB235_67
; %bb.68:                               ;   in Loop: Header=BB235_66 Depth=2
	global_load_dwordx2 v[24:25], v[26:27], off sc1
	s_cmp_lt_u32 s38, 32
	s_cselect_b64 s[40:41], -1, 0
	s_cmp_lg_u64 s[40:41], 0
	s_addc_u32 s38, s38, 0
	s_waitcnt vmcnt(0)
	v_cmp_ne_u16_sdwa s[40:41], v25, v21 src0_sel:BYTE_0 src1_sel:DWORD
	s_or_b64 s[36:37], s[40:41], s[36:37]
	s_andn2_b64 exec, exec, s[36:37]
	s_cbranch_execnz .LBB235_66
; %bb.69:                               ;   in Loop: Header=BB235_63 Depth=1
	s_or_b64 exec, exec, s[36:37]
	s_branch .LBB235_62
.LBB235_70:                             ;   in Loop: Header=BB235_63 Depth=1
                                        ; implicit-def: $vgpr24
                                        ; implicit-def: $vgpr25
	s_cbranch_execz .LBB235_63
; %bb.71:
	s_and_saveexec_b64 s[34:35], s[16:17]
	s_cbranch_execz .LBB235_73
; %bb.72:
	s_add_i32 s36, s33, 64
	s_mov_b32 s37, 0
	s_lshl_b64 s[36:37], s[36:37], 3
	s_add_u32 s36, s30, s36
	v_add_u32_e32 v20, v19, v18
	v_mov_b32_e32 v21, 2
	s_addc_u32 s37, s31, s37
	v_mov_b32_e32 v22, 0
	global_store_dwordx2 v22, v[20:21], s[36:37] sc1
	ds_write_b64 v22, v[18:19] offset:28672
.LBB235_73:
	s_or_b64 exec, exec, s[34:35]
	s_and_b64 exec, exec, s[18:19]
	s_cbranch_execz .LBB235_75
; %bb.74:
	v_mov_b32_e32 v18, 0
	ds_write_b32 v18, v19 offset:28
.LBB235_75:
	s_or_b64 exec, exec, s[0:1]
	v_mov_b32_e32 v18, 0
	s_waitcnt lgkmcnt(0)
	s_barrier
	ds_read_b32 v19, v18 offset:28
	v_cndmask_b32_e64 v20, v30, v28, s[16:17]
	v_cndmask_b32_e64 v20, v20, 0, s[18:19]
	s_waitcnt lgkmcnt(0)
	s_barrier
	v_add_u32_e32 v34, v19, v20
	v_add_u32_e32 v32, v34, v29
	;; [unrolled: 1-line block ×3, first 2 shown]
	ds_read_b64 v[18:19], v18 offset:28672
	v_add_u32_e32 v28, v30, v33
	v_add_u32_e32 v26, v28, v35
	;; [unrolled: 1-line block ×4, first 2 shown]
	v_lshrrev_b64 v[20:21], 24, v[16:17]
	s_branch .LBB235_86
.LBB235_76:
                                        ; implicit-def: $vgpr19
                                        ; implicit-def: $vgpr22
                                        ; implicit-def: $vgpr24
                                        ; implicit-def: $vgpr26
                                        ; implicit-def: $vgpr28
                                        ; implicit-def: $vgpr30
                                        ; implicit-def: $vgpr32
                                        ; implicit-def: $vgpr34
	v_lshrrev_b64 v[20:21], 24, v[16:17]
	s_cbranch_execz .LBB235_86
; %bb.77:
	s_waitcnt lgkmcnt(0)
	v_mov_b32_dpp v18, v40 row_shr:1 row_mask:0xf bank_mask:0xf
	v_cndmask_b32_e64 v18, v18, 0, s[14:15]
	v_add_u32_e32 v18, v18, v40
	s_nop 1
	v_mov_b32_dpp v19, v18 row_shr:2 row_mask:0xf bank_mask:0xf
	v_cndmask_b32_e64 v19, 0, v19, s[12:13]
	v_add_u32_e32 v18, v18, v19
	s_nop 1
	;; [unrolled: 4-line block ×4, first 2 shown]
	v_mov_b32_dpp v19, v18 row_bcast:15 row_mask:0xf bank_mask:0xf
	v_cndmask_b32_e64 v19, v19, 0, s[6:7]
	v_add_u32_e32 v18, v18, v19
	s_nop 1
	v_mov_b32_dpp v19, v18 row_bcast:31 row_mask:0xf bank_mask:0xf
	v_cndmask_b32_e64 v19, 0, v19, s[2:3]
	v_add_u32_e32 v18, v18, v19
	s_and_saveexec_b64 s[0:1], s[4:5]
	s_cbranch_execz .LBB235_79
; %bb.78:
	v_lshlrev_b32_e32 v19, 2, v39
	ds_write_b32 v19, v18
.LBB235_79:
	s_or_b64 exec, exec, s[0:1]
	v_cmp_gt_u32_e32 vcc, 8, v0
	s_waitcnt lgkmcnt(0)
	s_barrier
	s_and_saveexec_b64 s[0:1], vcc
	s_cbranch_execz .LBB235_81
; %bb.80:
	s_movk_i32 s2, 0xffcc
	v_mad_i32_i24 v1, v0, s2, v1
	ds_read_b32 v19, v1
	v_and_b32_e32 v21, 7, v38
	v_cmp_ne_u32_e32 vcc, 0, v21
	s_waitcnt lgkmcnt(0)
	v_mov_b32_dpp v22, v19 row_shr:1 row_mask:0xf bank_mask:0xf
	v_cndmask_b32_e32 v22, 0, v22, vcc
	v_add_u32_e32 v19, v22, v19
	v_cmp_lt_u32_e32 vcc, 1, v21
	s_nop 0
	v_mov_b32_dpp v22, v19 row_shr:2 row_mask:0xf bank_mask:0xf
	v_cndmask_b32_e32 v22, 0, v22, vcc
	v_add_u32_e32 v19, v19, v22
	v_cmp_lt_u32_e32 vcc, 3, v21
	s_nop 0
	v_mov_b32_dpp v22, v19 row_shr:4 row_mask:0xf bank_mask:0xf
	v_cndmask_b32_e32 v21, 0, v22, vcc
	v_add_u32_e32 v19, v19, v21
	ds_write_b32 v1, v19
.LBB235_81:
	s_or_b64 exec, exec, s[0:1]
	v_cmp_lt_u32_e32 vcc, 63, v0
	v_mov_b32_e32 v19, 0
	v_mov_b32_e32 v1, 0
	s_waitcnt lgkmcnt(0)
	s_barrier
	s_and_saveexec_b64 s[0:1], vcc
	s_cbranch_execz .LBB235_83
; %bb.82:
	v_lshl_add_u32 v1, v39, 2, -4
	ds_read_b32 v1, v1
.LBB235_83:
	s_or_b64 exec, exec, s[0:1]
	v_add_u32_e32 v21, -1, v38
	v_and_b32_e32 v22, 64, v38
	v_cmp_lt_i32_e32 vcc, v21, v22
	s_waitcnt lgkmcnt(0)
	v_add_u32_e32 v18, v1, v18
	v_cndmask_b32_e32 v21, v21, v38, vcc
	v_lshlrev_b32_e32 v21, 2, v21
	ds_bpermute_b32 v21, v21, v18
	ds_read_b32 v18, v19 offset:28
	s_and_saveexec_b64 s[0:1], s[18:19]
	s_cbranch_execz .LBB235_85
; %bb.84:
	v_mov_b32_e32 v22, 0
	v_mov_b32_e32 v19, 2
	s_waitcnt lgkmcnt(0)
	global_store_dwordx2 v22, v[18:19], s[30:31] offset:512 sc1
.LBB235_85:
	s_or_b64 exec, exec, s[0:1]
	v_cmp_eq_u32_e32 vcc, 0, v38
	v_mov_b32_e32 v19, 0
	s_waitcnt lgkmcnt(0)
	v_cndmask_b32_e32 v1, v21, v1, vcc
	v_cndmask_b32_e64 v34, v1, 0, s[18:19]
	v_add_u32_e32 v32, v34, v29
	v_add_u32_e32 v30, v32, v31
	v_add_u32_e32 v28, v30, v33
	v_add_u32_e32 v26, v28, v35
	v_add_u32_e32 v24, v26, v36
	v_add_u32_e32 v22, v24, v37
	s_barrier
.LBB235_86:
	s_movk_i32 s0, 0x201
	s_waitcnt lgkmcnt(0)
	v_cmp_gt_u32_e32 vcc, s0, v18
	v_lshrrev_b32_e32 v21, 8, v16
	v_lshrrev_b32_e32 v1, 8, v17
	s_mov_b64 s[0:1], -1
	s_cbranch_vccnz .LBB235_90
; %bb.87:
	s_and_b64 vcc, exec, s[0:1]
	s_cbranch_vccnz .LBB235_112
.LBB235_88:
	s_and_b64 s[0:1], s[18:19], s[26:27]
	s_and_saveexec_b64 s[2:3], s[0:1]
	s_cbranch_execnz .LBB235_130
.LBB235_89:
	s_endpgm
.LBB235_90:
	v_add_u32_e32 v23, v19, v18
	v_cmp_lt_u32_e32 vcc, v34, v23
	s_or_b64 s[2:3], s[28:29], vcc
	s_and_saveexec_b64 s[0:1], s[2:3]
	s_cbranch_execz .LBB235_93
; %bb.91:
	v_and_b32_e32 v25, 1, v16
	v_cmp_eq_u32_e32 vcc, 1, v25
	s_and_b64 exec, exec, vcc
	s_cbranch_execz .LBB235_93
; %bb.92:
	s_lshl_b64 s[2:3], s[22:23], 3
	s_add_u32 s2, s24, s2
	s_addc_u32 s3, s25, s3
	v_mov_b32_e32 v35, 0
	v_lshl_add_u64 v[36:37], v[34:35], 3, s[2:3]
	global_store_dwordx2 v[36:37], v[10:11], off
.LBB235_93:
	s_or_b64 exec, exec, s[0:1]
	v_cmp_lt_u32_e32 vcc, v32, v23
	s_or_b64 s[2:3], s[28:29], vcc
	s_and_saveexec_b64 s[0:1], s[2:3]
	s_cbranch_execz .LBB235_96
; %bb.94:
	v_and_b32_e32 v25, 1, v21
	v_cmp_eq_u32_e32 vcc, 1, v25
	s_and_b64 exec, exec, vcc
	s_cbranch_execz .LBB235_96
; %bb.95:
	s_lshl_b64 s[2:3], s[22:23], 3
	s_add_u32 s2, s24, s2
	s_addc_u32 s3, s25, s3
	v_mov_b32_e32 v33, 0
	v_lshl_add_u64 v[36:37], v[32:33], 3, s[2:3]
	global_store_dwordx2 v[36:37], v[12:13], off
.LBB235_96:
	s_or_b64 exec, exec, s[0:1]
	v_cmp_lt_u32_e32 vcc, v30, v23
	s_or_b64 s[2:3], s[28:29], vcc
	s_and_saveexec_b64 s[0:1], s[2:3]
	s_cbranch_execz .LBB235_99
; %bb.97:
	v_mov_b32_e32 v25, 1
	v_and_b32_sdwa v25, v25, v16 dst_sel:DWORD dst_unused:UNUSED_PAD src0_sel:DWORD src1_sel:WORD_1
	v_cmp_eq_u32_e32 vcc, 1, v25
	s_and_b64 exec, exec, vcc
	s_cbranch_execz .LBB235_99
; %bb.98:
	s_lshl_b64 s[2:3], s[22:23], 3
	s_add_u32 s2, s24, s2
	s_addc_u32 s3, s25, s3
	v_mov_b32_e32 v31, 0
	v_lshl_add_u64 v[36:37], v[30:31], 3, s[2:3]
	global_store_dwordx2 v[36:37], v[6:7], off
.LBB235_99:
	s_or_b64 exec, exec, s[0:1]
	v_cmp_lt_u32_e32 vcc, v28, v23
	s_or_b64 s[2:3], s[28:29], vcc
	s_and_saveexec_b64 s[0:1], s[2:3]
	s_cbranch_execz .LBB235_102
; %bb.100:
	v_and_b32_e32 v25, 1, v20
	v_cmp_eq_u32_e32 vcc, 1, v25
	s_and_b64 exec, exec, vcc
	s_cbranch_execz .LBB235_102
; %bb.101:
	s_lshl_b64 s[2:3], s[22:23], 3
	s_add_u32 s2, s24, s2
	s_addc_u32 s3, s25, s3
	v_mov_b32_e32 v29, 0
	v_lshl_add_u64 v[36:37], v[28:29], 3, s[2:3]
	global_store_dwordx2 v[36:37], v[8:9], off
.LBB235_102:
	s_or_b64 exec, exec, s[0:1]
	v_cmp_lt_u32_e32 vcc, v26, v23
	s_or_b64 s[2:3], s[28:29], vcc
	s_and_saveexec_b64 s[0:1], s[2:3]
	s_cbranch_execz .LBB235_105
; %bb.103:
	v_and_b32_e32 v25, 1, v17
	v_cmp_eq_u32_e32 vcc, 1, v25
	s_and_b64 exec, exec, vcc
	s_cbranch_execz .LBB235_105
; %bb.104:
	s_lshl_b64 s[2:3], s[22:23], 3
	s_add_u32 s2, s24, s2
	s_addc_u32 s3, s25, s3
	v_mov_b32_e32 v27, 0
	v_lshl_add_u64 v[36:37], v[26:27], 3, s[2:3]
	global_store_dwordx2 v[36:37], v[2:3], off
.LBB235_105:
	;; [unrolled: 18-line block ×3, first 2 shown]
	s_or_b64 exec, exec, s[0:1]
	v_cmp_lt_u32_e32 vcc, v22, v23
	s_or_b64 s[2:3], s[28:29], vcc
	s_and_saveexec_b64 s[0:1], s[2:3]
	s_cbranch_execz .LBB235_111
; %bb.109:
	v_mov_b32_e32 v23, 1
	v_and_b32_sdwa v23, v23, v17 dst_sel:DWORD dst_unused:UNUSED_PAD src0_sel:DWORD src1_sel:WORD_1
	v_cmp_eq_u32_e32 vcc, 1, v23
	s_and_b64 exec, exec, vcc
	s_cbranch_execz .LBB235_111
; %bb.110:
	s_lshl_b64 s[2:3], s[22:23], 3
	s_add_u32 s2, s24, s2
	s_addc_u32 s3, s25, s3
	v_mov_b32_e32 v23, 0
	v_lshl_add_u64 v[36:37], v[22:23], 3, s[2:3]
	global_store_dwordx2 v[36:37], v[14:15], off
.LBB235_111:
	s_or_b64 exec, exec, s[0:1]
	s_branch .LBB235_88
.LBB235_112:
	v_and_b32_e32 v23, 1, v16
	v_cmp_eq_u32_e32 vcc, 1, v23
	s_and_saveexec_b64 s[0:1], vcc
	s_cbranch_execz .LBB235_114
; %bb.113:
	v_sub_u32_e32 v23, v34, v19
	v_lshlrev_b32_e32 v23, 3, v23
	ds_write_b64 v23, v[10:11]
.LBB235_114:
	s_or_b64 exec, exec, s[0:1]
	v_and_b32_e32 v10, 1, v21
	v_cmp_eq_u32_e32 vcc, 1, v10
	s_and_saveexec_b64 s[0:1], vcc
	s_cbranch_execz .LBB235_116
; %bb.115:
	v_sub_u32_e32 v10, v32, v19
	v_lshlrev_b32_e32 v10, 3, v10
	ds_write_b64 v10, v[12:13]
.LBB235_116:
	s_or_b64 exec, exec, s[0:1]
	v_mov_b32_e32 v10, 1
	v_and_b32_sdwa v10, v10, v16 dst_sel:DWORD dst_unused:UNUSED_PAD src0_sel:DWORD src1_sel:WORD_1
	v_cmp_eq_u32_e32 vcc, 1, v10
	s_and_saveexec_b64 s[0:1], vcc
	s_cbranch_execz .LBB235_118
; %bb.117:
	v_sub_u32_e32 v10, v30, v19
	v_lshlrev_b32_e32 v10, 3, v10
	ds_write_b64 v10, v[6:7]
.LBB235_118:
	s_or_b64 exec, exec, s[0:1]
	v_and_b32_e32 v6, 1, v20
	v_cmp_eq_u32_e32 vcc, 1, v6
	s_and_saveexec_b64 s[0:1], vcc
	s_cbranch_execz .LBB235_120
; %bb.119:
	v_sub_u32_e32 v6, v28, v19
	v_lshlrev_b32_e32 v6, 3, v6
	ds_write_b64 v6, v[8:9]
.LBB235_120:
	s_or_b64 exec, exec, s[0:1]
	v_and_b32_e32 v6, 1, v17
	;; [unrolled: 10-line block ×3, first 2 shown]
	v_cmp_eq_u32_e32 vcc, 1, v1
	s_and_saveexec_b64 s[0:1], vcc
	s_cbranch_execz .LBB235_124
; %bb.123:
	v_sub_u32_e32 v1, v24, v19
	v_lshlrev_b32_e32 v1, 3, v1
	ds_write_b64 v1, v[4:5]
.LBB235_124:
	s_or_b64 exec, exec, s[0:1]
	v_mov_b32_e32 v1, 1
	v_and_b32_sdwa v1, v1, v17 dst_sel:DWORD dst_unused:UNUSED_PAD src0_sel:DWORD src1_sel:WORD_1
	v_cmp_eq_u32_e32 vcc, 1, v1
	s_and_saveexec_b64 s[0:1], vcc
	s_cbranch_execz .LBB235_126
; %bb.125:
	v_sub_u32_e32 v1, v22, v19
	v_lshlrev_b32_e32 v1, 3, v1
	ds_write_b64 v1, v[14:15]
.LBB235_126:
	s_or_b64 exec, exec, s[0:1]
	v_cmp_lt_u32_e32 vcc, v0, v18
	s_waitcnt lgkmcnt(0)
	s_barrier
	s_and_saveexec_b64 s[0:1], vcc
	s_cbranch_execz .LBB235_129
; %bb.127:
	v_mov_b32_e32 v5, 0
	v_mov_b32_e32 v4, v19
	s_lshl_b64 s[2:3], s[22:23], 3
	v_lshlrev_b64 v[6:7], 3, v[4:5]
	v_lshl_add_u64 v[6:7], s[2:3], 0, v[6:7]
	v_lshlrev_b32_e32 v2, 3, v0
	v_mov_b32_e32 v3, v5
	v_lshl_add_u64 v[4:5], s[24:25], 0, v[6:7]
	v_lshl_add_u64 v[4:5], v[4:5], 0, v[2:3]
	s_mov_b64 s[2:3], 0
	s_mov_b64 s[4:5], 0x1000
.LBB235_128:                            ; =>This Inner Loop Header: Depth=1
	ds_read_b64 v[6:7], v2
	v_add_u32_e32 v0, 0x200, v0
	v_cmp_ge_u32_e32 vcc, v0, v18
	v_add_u32_e32 v2, 0x1000, v2
	s_or_b64 s[2:3], vcc, s[2:3]
	s_waitcnt lgkmcnt(0)
	global_store_dwordx2 v[4:5], v[6:7], off
	v_lshl_add_u64 v[4:5], v[4:5], 0, s[4:5]
	s_andn2_b64 exec, exec, s[2:3]
	s_cbranch_execnz .LBB235_128
.LBB235_129:
	s_or_b64 exec, exec, s[0:1]
	s_and_b64 s[0:1], s[18:19], s[26:27]
	s_and_saveexec_b64 s[2:3], s[0:1]
	s_cbranch_execz .LBB235_89
.LBB235_130:
	v_mov_b32_e32 v1, 0
	v_mov_b32_e32 v0, v18
	v_lshl_add_u64 v[2:3], s[22:23], 0, v[0:1]
	v_mov_b32_e32 v0, v19
	v_lshl_add_u64 v[2:3], v[2:3], 0, v[0:1]
	global_store_dwordx2 v1, v[2:3], s[20:21]
	s_endpgm
.LBB235_131:
	s_or_b64 exec, exec, s[4:5]
	s_and_saveexec_b64 s[2:3], s[34:35]
	s_cbranch_execnz .LBB235_42
	s_branch .LBB235_43
	.section	.rodata,"a",@progbits
	.p2align	6, 0x0
	.amdhsa_kernel _ZN7rocprim17ROCPRIM_400000_NS6detail17trampoline_kernelINS0_14default_configENS1_25partition_config_selectorILNS1_17partition_subalgoE8ElNS0_10empty_typeEbEEZZNS1_14partition_implILS5_8ELb0ES3_jPKlPS6_PKS6_NS0_5tupleIJPlS6_EEENSE_IJSB_SB_EEENS0_18inequality_wrapperIN6hipcub16HIPCUB_304000_NS8EqualityEEESF_JS6_EEE10hipError_tPvRmT3_T4_T5_T6_T7_T9_mT8_P12ihipStream_tbDpT10_ENKUlT_T0_E_clISt17integral_constantIbLb1EES16_EEDaS11_S12_EUlS11_E_NS1_11comp_targetILNS1_3genE5ELNS1_11target_archE942ELNS1_3gpuE9ELNS1_3repE0EEENS1_30default_config_static_selectorELNS0_4arch9wavefront6targetE1EEEvT1_
		.amdhsa_group_segment_fixed_size 28680
		.amdhsa_private_segment_fixed_size 0
		.amdhsa_kernarg_size 128
		.amdhsa_user_sgpr_count 2
		.amdhsa_user_sgpr_dispatch_ptr 0
		.amdhsa_user_sgpr_queue_ptr 0
		.amdhsa_user_sgpr_kernarg_segment_ptr 1
		.amdhsa_user_sgpr_dispatch_id 0
		.amdhsa_user_sgpr_kernarg_preload_length 0
		.amdhsa_user_sgpr_kernarg_preload_offset 0
		.amdhsa_user_sgpr_private_segment_size 0
		.amdhsa_uses_dynamic_stack 0
		.amdhsa_enable_private_segment 0
		.amdhsa_system_sgpr_workgroup_id_x 1
		.amdhsa_system_sgpr_workgroup_id_y 0
		.amdhsa_system_sgpr_workgroup_id_z 0
		.amdhsa_system_sgpr_workgroup_info 0
		.amdhsa_system_vgpr_workitem_id 0
		.amdhsa_next_free_vgpr 53
		.amdhsa_next_free_sgpr 42
		.amdhsa_accum_offset 56
		.amdhsa_reserve_vcc 1
		.amdhsa_float_round_mode_32 0
		.amdhsa_float_round_mode_16_64 0
		.amdhsa_float_denorm_mode_32 3
		.amdhsa_float_denorm_mode_16_64 3
		.amdhsa_dx10_clamp 1
		.amdhsa_ieee_mode 1
		.amdhsa_fp16_overflow 0
		.amdhsa_tg_split 0
		.amdhsa_exception_fp_ieee_invalid_op 0
		.amdhsa_exception_fp_denorm_src 0
		.amdhsa_exception_fp_ieee_div_zero 0
		.amdhsa_exception_fp_ieee_overflow 0
		.amdhsa_exception_fp_ieee_underflow 0
		.amdhsa_exception_fp_ieee_inexact 0
		.amdhsa_exception_int_div_zero 0
	.end_amdhsa_kernel
	.section	.text._ZN7rocprim17ROCPRIM_400000_NS6detail17trampoline_kernelINS0_14default_configENS1_25partition_config_selectorILNS1_17partition_subalgoE8ElNS0_10empty_typeEbEEZZNS1_14partition_implILS5_8ELb0ES3_jPKlPS6_PKS6_NS0_5tupleIJPlS6_EEENSE_IJSB_SB_EEENS0_18inequality_wrapperIN6hipcub16HIPCUB_304000_NS8EqualityEEESF_JS6_EEE10hipError_tPvRmT3_T4_T5_T6_T7_T9_mT8_P12ihipStream_tbDpT10_ENKUlT_T0_E_clISt17integral_constantIbLb1EES16_EEDaS11_S12_EUlS11_E_NS1_11comp_targetILNS1_3genE5ELNS1_11target_archE942ELNS1_3gpuE9ELNS1_3repE0EEENS1_30default_config_static_selectorELNS0_4arch9wavefront6targetE1EEEvT1_,"axG",@progbits,_ZN7rocprim17ROCPRIM_400000_NS6detail17trampoline_kernelINS0_14default_configENS1_25partition_config_selectorILNS1_17partition_subalgoE8ElNS0_10empty_typeEbEEZZNS1_14partition_implILS5_8ELb0ES3_jPKlPS6_PKS6_NS0_5tupleIJPlS6_EEENSE_IJSB_SB_EEENS0_18inequality_wrapperIN6hipcub16HIPCUB_304000_NS8EqualityEEESF_JS6_EEE10hipError_tPvRmT3_T4_T5_T6_T7_T9_mT8_P12ihipStream_tbDpT10_ENKUlT_T0_E_clISt17integral_constantIbLb1EES16_EEDaS11_S12_EUlS11_E_NS1_11comp_targetILNS1_3genE5ELNS1_11target_archE942ELNS1_3gpuE9ELNS1_3repE0EEENS1_30default_config_static_selectorELNS0_4arch9wavefront6targetE1EEEvT1_,comdat
.Lfunc_end235:
	.size	_ZN7rocprim17ROCPRIM_400000_NS6detail17trampoline_kernelINS0_14default_configENS1_25partition_config_selectorILNS1_17partition_subalgoE8ElNS0_10empty_typeEbEEZZNS1_14partition_implILS5_8ELb0ES3_jPKlPS6_PKS6_NS0_5tupleIJPlS6_EEENSE_IJSB_SB_EEENS0_18inequality_wrapperIN6hipcub16HIPCUB_304000_NS8EqualityEEESF_JS6_EEE10hipError_tPvRmT3_T4_T5_T6_T7_T9_mT8_P12ihipStream_tbDpT10_ENKUlT_T0_E_clISt17integral_constantIbLb1EES16_EEDaS11_S12_EUlS11_E_NS1_11comp_targetILNS1_3genE5ELNS1_11target_archE942ELNS1_3gpuE9ELNS1_3repE0EEENS1_30default_config_static_selectorELNS0_4arch9wavefront6targetE1EEEvT1_, .Lfunc_end235-_ZN7rocprim17ROCPRIM_400000_NS6detail17trampoline_kernelINS0_14default_configENS1_25partition_config_selectorILNS1_17partition_subalgoE8ElNS0_10empty_typeEbEEZZNS1_14partition_implILS5_8ELb0ES3_jPKlPS6_PKS6_NS0_5tupleIJPlS6_EEENSE_IJSB_SB_EEENS0_18inequality_wrapperIN6hipcub16HIPCUB_304000_NS8EqualityEEESF_JS6_EEE10hipError_tPvRmT3_T4_T5_T6_T7_T9_mT8_P12ihipStream_tbDpT10_ENKUlT_T0_E_clISt17integral_constantIbLb1EES16_EEDaS11_S12_EUlS11_E_NS1_11comp_targetILNS1_3genE5ELNS1_11target_archE942ELNS1_3gpuE9ELNS1_3repE0EEENS1_30default_config_static_selectorELNS0_4arch9wavefront6targetE1EEEvT1_
                                        ; -- End function
	.section	.AMDGPU.csdata,"",@progbits
; Kernel info:
; codeLenInByte = 5700
; NumSgprs: 48
; NumVgprs: 53
; NumAgprs: 0
; TotalNumVgprs: 53
; ScratchSize: 0
; MemoryBound: 0
; FloatMode: 240
; IeeeMode: 1
; LDSByteSize: 28680 bytes/workgroup (compile time only)
; SGPRBlocks: 5
; VGPRBlocks: 6
; NumSGPRsForWavesPerEU: 48
; NumVGPRsForWavesPerEU: 53
; AccumOffset: 56
; Occupancy: 4
; WaveLimiterHint : 1
; COMPUTE_PGM_RSRC2:SCRATCH_EN: 0
; COMPUTE_PGM_RSRC2:USER_SGPR: 2
; COMPUTE_PGM_RSRC2:TRAP_HANDLER: 0
; COMPUTE_PGM_RSRC2:TGID_X_EN: 1
; COMPUTE_PGM_RSRC2:TGID_Y_EN: 0
; COMPUTE_PGM_RSRC2:TGID_Z_EN: 0
; COMPUTE_PGM_RSRC2:TIDIG_COMP_CNT: 0
; COMPUTE_PGM_RSRC3_GFX90A:ACCUM_OFFSET: 13
; COMPUTE_PGM_RSRC3_GFX90A:TG_SPLIT: 0
	.section	.text._ZN7rocprim17ROCPRIM_400000_NS6detail17trampoline_kernelINS0_14default_configENS1_25partition_config_selectorILNS1_17partition_subalgoE8ElNS0_10empty_typeEbEEZZNS1_14partition_implILS5_8ELb0ES3_jPKlPS6_PKS6_NS0_5tupleIJPlS6_EEENSE_IJSB_SB_EEENS0_18inequality_wrapperIN6hipcub16HIPCUB_304000_NS8EqualityEEESF_JS6_EEE10hipError_tPvRmT3_T4_T5_T6_T7_T9_mT8_P12ihipStream_tbDpT10_ENKUlT_T0_E_clISt17integral_constantIbLb1EES16_EEDaS11_S12_EUlS11_E_NS1_11comp_targetILNS1_3genE4ELNS1_11target_archE910ELNS1_3gpuE8ELNS1_3repE0EEENS1_30default_config_static_selectorELNS0_4arch9wavefront6targetE1EEEvT1_,"axG",@progbits,_ZN7rocprim17ROCPRIM_400000_NS6detail17trampoline_kernelINS0_14default_configENS1_25partition_config_selectorILNS1_17partition_subalgoE8ElNS0_10empty_typeEbEEZZNS1_14partition_implILS5_8ELb0ES3_jPKlPS6_PKS6_NS0_5tupleIJPlS6_EEENSE_IJSB_SB_EEENS0_18inequality_wrapperIN6hipcub16HIPCUB_304000_NS8EqualityEEESF_JS6_EEE10hipError_tPvRmT3_T4_T5_T6_T7_T9_mT8_P12ihipStream_tbDpT10_ENKUlT_T0_E_clISt17integral_constantIbLb1EES16_EEDaS11_S12_EUlS11_E_NS1_11comp_targetILNS1_3genE4ELNS1_11target_archE910ELNS1_3gpuE8ELNS1_3repE0EEENS1_30default_config_static_selectorELNS0_4arch9wavefront6targetE1EEEvT1_,comdat
	.protected	_ZN7rocprim17ROCPRIM_400000_NS6detail17trampoline_kernelINS0_14default_configENS1_25partition_config_selectorILNS1_17partition_subalgoE8ElNS0_10empty_typeEbEEZZNS1_14partition_implILS5_8ELb0ES3_jPKlPS6_PKS6_NS0_5tupleIJPlS6_EEENSE_IJSB_SB_EEENS0_18inequality_wrapperIN6hipcub16HIPCUB_304000_NS8EqualityEEESF_JS6_EEE10hipError_tPvRmT3_T4_T5_T6_T7_T9_mT8_P12ihipStream_tbDpT10_ENKUlT_T0_E_clISt17integral_constantIbLb1EES16_EEDaS11_S12_EUlS11_E_NS1_11comp_targetILNS1_3genE4ELNS1_11target_archE910ELNS1_3gpuE8ELNS1_3repE0EEENS1_30default_config_static_selectorELNS0_4arch9wavefront6targetE1EEEvT1_ ; -- Begin function _ZN7rocprim17ROCPRIM_400000_NS6detail17trampoline_kernelINS0_14default_configENS1_25partition_config_selectorILNS1_17partition_subalgoE8ElNS0_10empty_typeEbEEZZNS1_14partition_implILS5_8ELb0ES3_jPKlPS6_PKS6_NS0_5tupleIJPlS6_EEENSE_IJSB_SB_EEENS0_18inequality_wrapperIN6hipcub16HIPCUB_304000_NS8EqualityEEESF_JS6_EEE10hipError_tPvRmT3_T4_T5_T6_T7_T9_mT8_P12ihipStream_tbDpT10_ENKUlT_T0_E_clISt17integral_constantIbLb1EES16_EEDaS11_S12_EUlS11_E_NS1_11comp_targetILNS1_3genE4ELNS1_11target_archE910ELNS1_3gpuE8ELNS1_3repE0EEENS1_30default_config_static_selectorELNS0_4arch9wavefront6targetE1EEEvT1_
	.globl	_ZN7rocprim17ROCPRIM_400000_NS6detail17trampoline_kernelINS0_14default_configENS1_25partition_config_selectorILNS1_17partition_subalgoE8ElNS0_10empty_typeEbEEZZNS1_14partition_implILS5_8ELb0ES3_jPKlPS6_PKS6_NS0_5tupleIJPlS6_EEENSE_IJSB_SB_EEENS0_18inequality_wrapperIN6hipcub16HIPCUB_304000_NS8EqualityEEESF_JS6_EEE10hipError_tPvRmT3_T4_T5_T6_T7_T9_mT8_P12ihipStream_tbDpT10_ENKUlT_T0_E_clISt17integral_constantIbLb1EES16_EEDaS11_S12_EUlS11_E_NS1_11comp_targetILNS1_3genE4ELNS1_11target_archE910ELNS1_3gpuE8ELNS1_3repE0EEENS1_30default_config_static_selectorELNS0_4arch9wavefront6targetE1EEEvT1_
	.p2align	8
	.type	_ZN7rocprim17ROCPRIM_400000_NS6detail17trampoline_kernelINS0_14default_configENS1_25partition_config_selectorILNS1_17partition_subalgoE8ElNS0_10empty_typeEbEEZZNS1_14partition_implILS5_8ELb0ES3_jPKlPS6_PKS6_NS0_5tupleIJPlS6_EEENSE_IJSB_SB_EEENS0_18inequality_wrapperIN6hipcub16HIPCUB_304000_NS8EqualityEEESF_JS6_EEE10hipError_tPvRmT3_T4_T5_T6_T7_T9_mT8_P12ihipStream_tbDpT10_ENKUlT_T0_E_clISt17integral_constantIbLb1EES16_EEDaS11_S12_EUlS11_E_NS1_11comp_targetILNS1_3genE4ELNS1_11target_archE910ELNS1_3gpuE8ELNS1_3repE0EEENS1_30default_config_static_selectorELNS0_4arch9wavefront6targetE1EEEvT1_,@function
_ZN7rocprim17ROCPRIM_400000_NS6detail17trampoline_kernelINS0_14default_configENS1_25partition_config_selectorILNS1_17partition_subalgoE8ElNS0_10empty_typeEbEEZZNS1_14partition_implILS5_8ELb0ES3_jPKlPS6_PKS6_NS0_5tupleIJPlS6_EEENSE_IJSB_SB_EEENS0_18inequality_wrapperIN6hipcub16HIPCUB_304000_NS8EqualityEEESF_JS6_EEE10hipError_tPvRmT3_T4_T5_T6_T7_T9_mT8_P12ihipStream_tbDpT10_ENKUlT_T0_E_clISt17integral_constantIbLb1EES16_EEDaS11_S12_EUlS11_E_NS1_11comp_targetILNS1_3genE4ELNS1_11target_archE910ELNS1_3gpuE8ELNS1_3repE0EEENS1_30default_config_static_selectorELNS0_4arch9wavefront6targetE1EEEvT1_: ; @_ZN7rocprim17ROCPRIM_400000_NS6detail17trampoline_kernelINS0_14default_configENS1_25partition_config_selectorILNS1_17partition_subalgoE8ElNS0_10empty_typeEbEEZZNS1_14partition_implILS5_8ELb0ES3_jPKlPS6_PKS6_NS0_5tupleIJPlS6_EEENSE_IJSB_SB_EEENS0_18inequality_wrapperIN6hipcub16HIPCUB_304000_NS8EqualityEEESF_JS6_EEE10hipError_tPvRmT3_T4_T5_T6_T7_T9_mT8_P12ihipStream_tbDpT10_ENKUlT_T0_E_clISt17integral_constantIbLb1EES16_EEDaS11_S12_EUlS11_E_NS1_11comp_targetILNS1_3genE4ELNS1_11target_archE910ELNS1_3gpuE8ELNS1_3repE0EEENS1_30default_config_static_selectorELNS0_4arch9wavefront6targetE1EEEvT1_
; %bb.0:
	.section	.rodata,"a",@progbits
	.p2align	6, 0x0
	.amdhsa_kernel _ZN7rocprim17ROCPRIM_400000_NS6detail17trampoline_kernelINS0_14default_configENS1_25partition_config_selectorILNS1_17partition_subalgoE8ElNS0_10empty_typeEbEEZZNS1_14partition_implILS5_8ELb0ES3_jPKlPS6_PKS6_NS0_5tupleIJPlS6_EEENSE_IJSB_SB_EEENS0_18inequality_wrapperIN6hipcub16HIPCUB_304000_NS8EqualityEEESF_JS6_EEE10hipError_tPvRmT3_T4_T5_T6_T7_T9_mT8_P12ihipStream_tbDpT10_ENKUlT_T0_E_clISt17integral_constantIbLb1EES16_EEDaS11_S12_EUlS11_E_NS1_11comp_targetILNS1_3genE4ELNS1_11target_archE910ELNS1_3gpuE8ELNS1_3repE0EEENS1_30default_config_static_selectorELNS0_4arch9wavefront6targetE1EEEvT1_
		.amdhsa_group_segment_fixed_size 0
		.amdhsa_private_segment_fixed_size 0
		.amdhsa_kernarg_size 128
		.amdhsa_user_sgpr_count 2
		.amdhsa_user_sgpr_dispatch_ptr 0
		.amdhsa_user_sgpr_queue_ptr 0
		.amdhsa_user_sgpr_kernarg_segment_ptr 1
		.amdhsa_user_sgpr_dispatch_id 0
		.amdhsa_user_sgpr_kernarg_preload_length 0
		.amdhsa_user_sgpr_kernarg_preload_offset 0
		.amdhsa_user_sgpr_private_segment_size 0
		.amdhsa_uses_dynamic_stack 0
		.amdhsa_enable_private_segment 0
		.amdhsa_system_sgpr_workgroup_id_x 1
		.amdhsa_system_sgpr_workgroup_id_y 0
		.amdhsa_system_sgpr_workgroup_id_z 0
		.amdhsa_system_sgpr_workgroup_info 0
		.amdhsa_system_vgpr_workitem_id 0
		.amdhsa_next_free_vgpr 1
		.amdhsa_next_free_sgpr 0
		.amdhsa_accum_offset 4
		.amdhsa_reserve_vcc 0
		.amdhsa_float_round_mode_32 0
		.amdhsa_float_round_mode_16_64 0
		.amdhsa_float_denorm_mode_32 3
		.amdhsa_float_denorm_mode_16_64 3
		.amdhsa_dx10_clamp 1
		.amdhsa_ieee_mode 1
		.amdhsa_fp16_overflow 0
		.amdhsa_tg_split 0
		.amdhsa_exception_fp_ieee_invalid_op 0
		.amdhsa_exception_fp_denorm_src 0
		.amdhsa_exception_fp_ieee_div_zero 0
		.amdhsa_exception_fp_ieee_overflow 0
		.amdhsa_exception_fp_ieee_underflow 0
		.amdhsa_exception_fp_ieee_inexact 0
		.amdhsa_exception_int_div_zero 0
	.end_amdhsa_kernel
	.section	.text._ZN7rocprim17ROCPRIM_400000_NS6detail17trampoline_kernelINS0_14default_configENS1_25partition_config_selectorILNS1_17partition_subalgoE8ElNS0_10empty_typeEbEEZZNS1_14partition_implILS5_8ELb0ES3_jPKlPS6_PKS6_NS0_5tupleIJPlS6_EEENSE_IJSB_SB_EEENS0_18inequality_wrapperIN6hipcub16HIPCUB_304000_NS8EqualityEEESF_JS6_EEE10hipError_tPvRmT3_T4_T5_T6_T7_T9_mT8_P12ihipStream_tbDpT10_ENKUlT_T0_E_clISt17integral_constantIbLb1EES16_EEDaS11_S12_EUlS11_E_NS1_11comp_targetILNS1_3genE4ELNS1_11target_archE910ELNS1_3gpuE8ELNS1_3repE0EEENS1_30default_config_static_selectorELNS0_4arch9wavefront6targetE1EEEvT1_,"axG",@progbits,_ZN7rocprim17ROCPRIM_400000_NS6detail17trampoline_kernelINS0_14default_configENS1_25partition_config_selectorILNS1_17partition_subalgoE8ElNS0_10empty_typeEbEEZZNS1_14partition_implILS5_8ELb0ES3_jPKlPS6_PKS6_NS0_5tupleIJPlS6_EEENSE_IJSB_SB_EEENS0_18inequality_wrapperIN6hipcub16HIPCUB_304000_NS8EqualityEEESF_JS6_EEE10hipError_tPvRmT3_T4_T5_T6_T7_T9_mT8_P12ihipStream_tbDpT10_ENKUlT_T0_E_clISt17integral_constantIbLb1EES16_EEDaS11_S12_EUlS11_E_NS1_11comp_targetILNS1_3genE4ELNS1_11target_archE910ELNS1_3gpuE8ELNS1_3repE0EEENS1_30default_config_static_selectorELNS0_4arch9wavefront6targetE1EEEvT1_,comdat
.Lfunc_end236:
	.size	_ZN7rocprim17ROCPRIM_400000_NS6detail17trampoline_kernelINS0_14default_configENS1_25partition_config_selectorILNS1_17partition_subalgoE8ElNS0_10empty_typeEbEEZZNS1_14partition_implILS5_8ELb0ES3_jPKlPS6_PKS6_NS0_5tupleIJPlS6_EEENSE_IJSB_SB_EEENS0_18inequality_wrapperIN6hipcub16HIPCUB_304000_NS8EqualityEEESF_JS6_EEE10hipError_tPvRmT3_T4_T5_T6_T7_T9_mT8_P12ihipStream_tbDpT10_ENKUlT_T0_E_clISt17integral_constantIbLb1EES16_EEDaS11_S12_EUlS11_E_NS1_11comp_targetILNS1_3genE4ELNS1_11target_archE910ELNS1_3gpuE8ELNS1_3repE0EEENS1_30default_config_static_selectorELNS0_4arch9wavefront6targetE1EEEvT1_, .Lfunc_end236-_ZN7rocprim17ROCPRIM_400000_NS6detail17trampoline_kernelINS0_14default_configENS1_25partition_config_selectorILNS1_17partition_subalgoE8ElNS0_10empty_typeEbEEZZNS1_14partition_implILS5_8ELb0ES3_jPKlPS6_PKS6_NS0_5tupleIJPlS6_EEENSE_IJSB_SB_EEENS0_18inequality_wrapperIN6hipcub16HIPCUB_304000_NS8EqualityEEESF_JS6_EEE10hipError_tPvRmT3_T4_T5_T6_T7_T9_mT8_P12ihipStream_tbDpT10_ENKUlT_T0_E_clISt17integral_constantIbLb1EES16_EEDaS11_S12_EUlS11_E_NS1_11comp_targetILNS1_3genE4ELNS1_11target_archE910ELNS1_3gpuE8ELNS1_3repE0EEENS1_30default_config_static_selectorELNS0_4arch9wavefront6targetE1EEEvT1_
                                        ; -- End function
	.section	.AMDGPU.csdata,"",@progbits
; Kernel info:
; codeLenInByte = 0
; NumSgprs: 6
; NumVgprs: 0
; NumAgprs: 0
; TotalNumVgprs: 0
; ScratchSize: 0
; MemoryBound: 0
; FloatMode: 240
; IeeeMode: 1
; LDSByteSize: 0 bytes/workgroup (compile time only)
; SGPRBlocks: 0
; VGPRBlocks: 0
; NumSGPRsForWavesPerEU: 6
; NumVGPRsForWavesPerEU: 1
; AccumOffset: 4
; Occupancy: 8
; WaveLimiterHint : 0
; COMPUTE_PGM_RSRC2:SCRATCH_EN: 0
; COMPUTE_PGM_RSRC2:USER_SGPR: 2
; COMPUTE_PGM_RSRC2:TRAP_HANDLER: 0
; COMPUTE_PGM_RSRC2:TGID_X_EN: 1
; COMPUTE_PGM_RSRC2:TGID_Y_EN: 0
; COMPUTE_PGM_RSRC2:TGID_Z_EN: 0
; COMPUTE_PGM_RSRC2:TIDIG_COMP_CNT: 0
; COMPUTE_PGM_RSRC3_GFX90A:ACCUM_OFFSET: 0
; COMPUTE_PGM_RSRC3_GFX90A:TG_SPLIT: 0
	.section	.text._ZN7rocprim17ROCPRIM_400000_NS6detail17trampoline_kernelINS0_14default_configENS1_25partition_config_selectorILNS1_17partition_subalgoE8ElNS0_10empty_typeEbEEZZNS1_14partition_implILS5_8ELb0ES3_jPKlPS6_PKS6_NS0_5tupleIJPlS6_EEENSE_IJSB_SB_EEENS0_18inequality_wrapperIN6hipcub16HIPCUB_304000_NS8EqualityEEESF_JS6_EEE10hipError_tPvRmT3_T4_T5_T6_T7_T9_mT8_P12ihipStream_tbDpT10_ENKUlT_T0_E_clISt17integral_constantIbLb1EES16_EEDaS11_S12_EUlS11_E_NS1_11comp_targetILNS1_3genE3ELNS1_11target_archE908ELNS1_3gpuE7ELNS1_3repE0EEENS1_30default_config_static_selectorELNS0_4arch9wavefront6targetE1EEEvT1_,"axG",@progbits,_ZN7rocprim17ROCPRIM_400000_NS6detail17trampoline_kernelINS0_14default_configENS1_25partition_config_selectorILNS1_17partition_subalgoE8ElNS0_10empty_typeEbEEZZNS1_14partition_implILS5_8ELb0ES3_jPKlPS6_PKS6_NS0_5tupleIJPlS6_EEENSE_IJSB_SB_EEENS0_18inequality_wrapperIN6hipcub16HIPCUB_304000_NS8EqualityEEESF_JS6_EEE10hipError_tPvRmT3_T4_T5_T6_T7_T9_mT8_P12ihipStream_tbDpT10_ENKUlT_T0_E_clISt17integral_constantIbLb1EES16_EEDaS11_S12_EUlS11_E_NS1_11comp_targetILNS1_3genE3ELNS1_11target_archE908ELNS1_3gpuE7ELNS1_3repE0EEENS1_30default_config_static_selectorELNS0_4arch9wavefront6targetE1EEEvT1_,comdat
	.protected	_ZN7rocprim17ROCPRIM_400000_NS6detail17trampoline_kernelINS0_14default_configENS1_25partition_config_selectorILNS1_17partition_subalgoE8ElNS0_10empty_typeEbEEZZNS1_14partition_implILS5_8ELb0ES3_jPKlPS6_PKS6_NS0_5tupleIJPlS6_EEENSE_IJSB_SB_EEENS0_18inequality_wrapperIN6hipcub16HIPCUB_304000_NS8EqualityEEESF_JS6_EEE10hipError_tPvRmT3_T4_T5_T6_T7_T9_mT8_P12ihipStream_tbDpT10_ENKUlT_T0_E_clISt17integral_constantIbLb1EES16_EEDaS11_S12_EUlS11_E_NS1_11comp_targetILNS1_3genE3ELNS1_11target_archE908ELNS1_3gpuE7ELNS1_3repE0EEENS1_30default_config_static_selectorELNS0_4arch9wavefront6targetE1EEEvT1_ ; -- Begin function _ZN7rocprim17ROCPRIM_400000_NS6detail17trampoline_kernelINS0_14default_configENS1_25partition_config_selectorILNS1_17partition_subalgoE8ElNS0_10empty_typeEbEEZZNS1_14partition_implILS5_8ELb0ES3_jPKlPS6_PKS6_NS0_5tupleIJPlS6_EEENSE_IJSB_SB_EEENS0_18inequality_wrapperIN6hipcub16HIPCUB_304000_NS8EqualityEEESF_JS6_EEE10hipError_tPvRmT3_T4_T5_T6_T7_T9_mT8_P12ihipStream_tbDpT10_ENKUlT_T0_E_clISt17integral_constantIbLb1EES16_EEDaS11_S12_EUlS11_E_NS1_11comp_targetILNS1_3genE3ELNS1_11target_archE908ELNS1_3gpuE7ELNS1_3repE0EEENS1_30default_config_static_selectorELNS0_4arch9wavefront6targetE1EEEvT1_
	.globl	_ZN7rocprim17ROCPRIM_400000_NS6detail17trampoline_kernelINS0_14default_configENS1_25partition_config_selectorILNS1_17partition_subalgoE8ElNS0_10empty_typeEbEEZZNS1_14partition_implILS5_8ELb0ES3_jPKlPS6_PKS6_NS0_5tupleIJPlS6_EEENSE_IJSB_SB_EEENS0_18inequality_wrapperIN6hipcub16HIPCUB_304000_NS8EqualityEEESF_JS6_EEE10hipError_tPvRmT3_T4_T5_T6_T7_T9_mT8_P12ihipStream_tbDpT10_ENKUlT_T0_E_clISt17integral_constantIbLb1EES16_EEDaS11_S12_EUlS11_E_NS1_11comp_targetILNS1_3genE3ELNS1_11target_archE908ELNS1_3gpuE7ELNS1_3repE0EEENS1_30default_config_static_selectorELNS0_4arch9wavefront6targetE1EEEvT1_
	.p2align	8
	.type	_ZN7rocprim17ROCPRIM_400000_NS6detail17trampoline_kernelINS0_14default_configENS1_25partition_config_selectorILNS1_17partition_subalgoE8ElNS0_10empty_typeEbEEZZNS1_14partition_implILS5_8ELb0ES3_jPKlPS6_PKS6_NS0_5tupleIJPlS6_EEENSE_IJSB_SB_EEENS0_18inequality_wrapperIN6hipcub16HIPCUB_304000_NS8EqualityEEESF_JS6_EEE10hipError_tPvRmT3_T4_T5_T6_T7_T9_mT8_P12ihipStream_tbDpT10_ENKUlT_T0_E_clISt17integral_constantIbLb1EES16_EEDaS11_S12_EUlS11_E_NS1_11comp_targetILNS1_3genE3ELNS1_11target_archE908ELNS1_3gpuE7ELNS1_3repE0EEENS1_30default_config_static_selectorELNS0_4arch9wavefront6targetE1EEEvT1_,@function
_ZN7rocprim17ROCPRIM_400000_NS6detail17trampoline_kernelINS0_14default_configENS1_25partition_config_selectorILNS1_17partition_subalgoE8ElNS0_10empty_typeEbEEZZNS1_14partition_implILS5_8ELb0ES3_jPKlPS6_PKS6_NS0_5tupleIJPlS6_EEENSE_IJSB_SB_EEENS0_18inequality_wrapperIN6hipcub16HIPCUB_304000_NS8EqualityEEESF_JS6_EEE10hipError_tPvRmT3_T4_T5_T6_T7_T9_mT8_P12ihipStream_tbDpT10_ENKUlT_T0_E_clISt17integral_constantIbLb1EES16_EEDaS11_S12_EUlS11_E_NS1_11comp_targetILNS1_3genE3ELNS1_11target_archE908ELNS1_3gpuE7ELNS1_3repE0EEENS1_30default_config_static_selectorELNS0_4arch9wavefront6targetE1EEEvT1_: ; @_ZN7rocprim17ROCPRIM_400000_NS6detail17trampoline_kernelINS0_14default_configENS1_25partition_config_selectorILNS1_17partition_subalgoE8ElNS0_10empty_typeEbEEZZNS1_14partition_implILS5_8ELb0ES3_jPKlPS6_PKS6_NS0_5tupleIJPlS6_EEENSE_IJSB_SB_EEENS0_18inequality_wrapperIN6hipcub16HIPCUB_304000_NS8EqualityEEESF_JS6_EEE10hipError_tPvRmT3_T4_T5_T6_T7_T9_mT8_P12ihipStream_tbDpT10_ENKUlT_T0_E_clISt17integral_constantIbLb1EES16_EEDaS11_S12_EUlS11_E_NS1_11comp_targetILNS1_3genE3ELNS1_11target_archE908ELNS1_3gpuE7ELNS1_3repE0EEENS1_30default_config_static_selectorELNS0_4arch9wavefront6targetE1EEEvT1_
; %bb.0:
	.section	.rodata,"a",@progbits
	.p2align	6, 0x0
	.amdhsa_kernel _ZN7rocprim17ROCPRIM_400000_NS6detail17trampoline_kernelINS0_14default_configENS1_25partition_config_selectorILNS1_17partition_subalgoE8ElNS0_10empty_typeEbEEZZNS1_14partition_implILS5_8ELb0ES3_jPKlPS6_PKS6_NS0_5tupleIJPlS6_EEENSE_IJSB_SB_EEENS0_18inequality_wrapperIN6hipcub16HIPCUB_304000_NS8EqualityEEESF_JS6_EEE10hipError_tPvRmT3_T4_T5_T6_T7_T9_mT8_P12ihipStream_tbDpT10_ENKUlT_T0_E_clISt17integral_constantIbLb1EES16_EEDaS11_S12_EUlS11_E_NS1_11comp_targetILNS1_3genE3ELNS1_11target_archE908ELNS1_3gpuE7ELNS1_3repE0EEENS1_30default_config_static_selectorELNS0_4arch9wavefront6targetE1EEEvT1_
		.amdhsa_group_segment_fixed_size 0
		.amdhsa_private_segment_fixed_size 0
		.amdhsa_kernarg_size 128
		.amdhsa_user_sgpr_count 2
		.amdhsa_user_sgpr_dispatch_ptr 0
		.amdhsa_user_sgpr_queue_ptr 0
		.amdhsa_user_sgpr_kernarg_segment_ptr 1
		.amdhsa_user_sgpr_dispatch_id 0
		.amdhsa_user_sgpr_kernarg_preload_length 0
		.amdhsa_user_sgpr_kernarg_preload_offset 0
		.amdhsa_user_sgpr_private_segment_size 0
		.amdhsa_uses_dynamic_stack 0
		.amdhsa_enable_private_segment 0
		.amdhsa_system_sgpr_workgroup_id_x 1
		.amdhsa_system_sgpr_workgroup_id_y 0
		.amdhsa_system_sgpr_workgroup_id_z 0
		.amdhsa_system_sgpr_workgroup_info 0
		.amdhsa_system_vgpr_workitem_id 0
		.amdhsa_next_free_vgpr 1
		.amdhsa_next_free_sgpr 0
		.amdhsa_accum_offset 4
		.amdhsa_reserve_vcc 0
		.amdhsa_float_round_mode_32 0
		.amdhsa_float_round_mode_16_64 0
		.amdhsa_float_denorm_mode_32 3
		.amdhsa_float_denorm_mode_16_64 3
		.amdhsa_dx10_clamp 1
		.amdhsa_ieee_mode 1
		.amdhsa_fp16_overflow 0
		.amdhsa_tg_split 0
		.amdhsa_exception_fp_ieee_invalid_op 0
		.amdhsa_exception_fp_denorm_src 0
		.amdhsa_exception_fp_ieee_div_zero 0
		.amdhsa_exception_fp_ieee_overflow 0
		.amdhsa_exception_fp_ieee_underflow 0
		.amdhsa_exception_fp_ieee_inexact 0
		.amdhsa_exception_int_div_zero 0
	.end_amdhsa_kernel
	.section	.text._ZN7rocprim17ROCPRIM_400000_NS6detail17trampoline_kernelINS0_14default_configENS1_25partition_config_selectorILNS1_17partition_subalgoE8ElNS0_10empty_typeEbEEZZNS1_14partition_implILS5_8ELb0ES3_jPKlPS6_PKS6_NS0_5tupleIJPlS6_EEENSE_IJSB_SB_EEENS0_18inequality_wrapperIN6hipcub16HIPCUB_304000_NS8EqualityEEESF_JS6_EEE10hipError_tPvRmT3_T4_T5_T6_T7_T9_mT8_P12ihipStream_tbDpT10_ENKUlT_T0_E_clISt17integral_constantIbLb1EES16_EEDaS11_S12_EUlS11_E_NS1_11comp_targetILNS1_3genE3ELNS1_11target_archE908ELNS1_3gpuE7ELNS1_3repE0EEENS1_30default_config_static_selectorELNS0_4arch9wavefront6targetE1EEEvT1_,"axG",@progbits,_ZN7rocprim17ROCPRIM_400000_NS6detail17trampoline_kernelINS0_14default_configENS1_25partition_config_selectorILNS1_17partition_subalgoE8ElNS0_10empty_typeEbEEZZNS1_14partition_implILS5_8ELb0ES3_jPKlPS6_PKS6_NS0_5tupleIJPlS6_EEENSE_IJSB_SB_EEENS0_18inequality_wrapperIN6hipcub16HIPCUB_304000_NS8EqualityEEESF_JS6_EEE10hipError_tPvRmT3_T4_T5_T6_T7_T9_mT8_P12ihipStream_tbDpT10_ENKUlT_T0_E_clISt17integral_constantIbLb1EES16_EEDaS11_S12_EUlS11_E_NS1_11comp_targetILNS1_3genE3ELNS1_11target_archE908ELNS1_3gpuE7ELNS1_3repE0EEENS1_30default_config_static_selectorELNS0_4arch9wavefront6targetE1EEEvT1_,comdat
.Lfunc_end237:
	.size	_ZN7rocprim17ROCPRIM_400000_NS6detail17trampoline_kernelINS0_14default_configENS1_25partition_config_selectorILNS1_17partition_subalgoE8ElNS0_10empty_typeEbEEZZNS1_14partition_implILS5_8ELb0ES3_jPKlPS6_PKS6_NS0_5tupleIJPlS6_EEENSE_IJSB_SB_EEENS0_18inequality_wrapperIN6hipcub16HIPCUB_304000_NS8EqualityEEESF_JS6_EEE10hipError_tPvRmT3_T4_T5_T6_T7_T9_mT8_P12ihipStream_tbDpT10_ENKUlT_T0_E_clISt17integral_constantIbLb1EES16_EEDaS11_S12_EUlS11_E_NS1_11comp_targetILNS1_3genE3ELNS1_11target_archE908ELNS1_3gpuE7ELNS1_3repE0EEENS1_30default_config_static_selectorELNS0_4arch9wavefront6targetE1EEEvT1_, .Lfunc_end237-_ZN7rocprim17ROCPRIM_400000_NS6detail17trampoline_kernelINS0_14default_configENS1_25partition_config_selectorILNS1_17partition_subalgoE8ElNS0_10empty_typeEbEEZZNS1_14partition_implILS5_8ELb0ES3_jPKlPS6_PKS6_NS0_5tupleIJPlS6_EEENSE_IJSB_SB_EEENS0_18inequality_wrapperIN6hipcub16HIPCUB_304000_NS8EqualityEEESF_JS6_EEE10hipError_tPvRmT3_T4_T5_T6_T7_T9_mT8_P12ihipStream_tbDpT10_ENKUlT_T0_E_clISt17integral_constantIbLb1EES16_EEDaS11_S12_EUlS11_E_NS1_11comp_targetILNS1_3genE3ELNS1_11target_archE908ELNS1_3gpuE7ELNS1_3repE0EEENS1_30default_config_static_selectorELNS0_4arch9wavefront6targetE1EEEvT1_
                                        ; -- End function
	.section	.AMDGPU.csdata,"",@progbits
; Kernel info:
; codeLenInByte = 0
; NumSgprs: 6
; NumVgprs: 0
; NumAgprs: 0
; TotalNumVgprs: 0
; ScratchSize: 0
; MemoryBound: 0
; FloatMode: 240
; IeeeMode: 1
; LDSByteSize: 0 bytes/workgroup (compile time only)
; SGPRBlocks: 0
; VGPRBlocks: 0
; NumSGPRsForWavesPerEU: 6
; NumVGPRsForWavesPerEU: 1
; AccumOffset: 4
; Occupancy: 8
; WaveLimiterHint : 0
; COMPUTE_PGM_RSRC2:SCRATCH_EN: 0
; COMPUTE_PGM_RSRC2:USER_SGPR: 2
; COMPUTE_PGM_RSRC2:TRAP_HANDLER: 0
; COMPUTE_PGM_RSRC2:TGID_X_EN: 1
; COMPUTE_PGM_RSRC2:TGID_Y_EN: 0
; COMPUTE_PGM_RSRC2:TGID_Z_EN: 0
; COMPUTE_PGM_RSRC2:TIDIG_COMP_CNT: 0
; COMPUTE_PGM_RSRC3_GFX90A:ACCUM_OFFSET: 0
; COMPUTE_PGM_RSRC3_GFX90A:TG_SPLIT: 0
	.section	.text._ZN7rocprim17ROCPRIM_400000_NS6detail17trampoline_kernelINS0_14default_configENS1_25partition_config_selectorILNS1_17partition_subalgoE8ElNS0_10empty_typeEbEEZZNS1_14partition_implILS5_8ELb0ES3_jPKlPS6_PKS6_NS0_5tupleIJPlS6_EEENSE_IJSB_SB_EEENS0_18inequality_wrapperIN6hipcub16HIPCUB_304000_NS8EqualityEEESF_JS6_EEE10hipError_tPvRmT3_T4_T5_T6_T7_T9_mT8_P12ihipStream_tbDpT10_ENKUlT_T0_E_clISt17integral_constantIbLb1EES16_EEDaS11_S12_EUlS11_E_NS1_11comp_targetILNS1_3genE2ELNS1_11target_archE906ELNS1_3gpuE6ELNS1_3repE0EEENS1_30default_config_static_selectorELNS0_4arch9wavefront6targetE1EEEvT1_,"axG",@progbits,_ZN7rocprim17ROCPRIM_400000_NS6detail17trampoline_kernelINS0_14default_configENS1_25partition_config_selectorILNS1_17partition_subalgoE8ElNS0_10empty_typeEbEEZZNS1_14partition_implILS5_8ELb0ES3_jPKlPS6_PKS6_NS0_5tupleIJPlS6_EEENSE_IJSB_SB_EEENS0_18inequality_wrapperIN6hipcub16HIPCUB_304000_NS8EqualityEEESF_JS6_EEE10hipError_tPvRmT3_T4_T5_T6_T7_T9_mT8_P12ihipStream_tbDpT10_ENKUlT_T0_E_clISt17integral_constantIbLb1EES16_EEDaS11_S12_EUlS11_E_NS1_11comp_targetILNS1_3genE2ELNS1_11target_archE906ELNS1_3gpuE6ELNS1_3repE0EEENS1_30default_config_static_selectorELNS0_4arch9wavefront6targetE1EEEvT1_,comdat
	.protected	_ZN7rocprim17ROCPRIM_400000_NS6detail17trampoline_kernelINS0_14default_configENS1_25partition_config_selectorILNS1_17partition_subalgoE8ElNS0_10empty_typeEbEEZZNS1_14partition_implILS5_8ELb0ES3_jPKlPS6_PKS6_NS0_5tupleIJPlS6_EEENSE_IJSB_SB_EEENS0_18inequality_wrapperIN6hipcub16HIPCUB_304000_NS8EqualityEEESF_JS6_EEE10hipError_tPvRmT3_T4_T5_T6_T7_T9_mT8_P12ihipStream_tbDpT10_ENKUlT_T0_E_clISt17integral_constantIbLb1EES16_EEDaS11_S12_EUlS11_E_NS1_11comp_targetILNS1_3genE2ELNS1_11target_archE906ELNS1_3gpuE6ELNS1_3repE0EEENS1_30default_config_static_selectorELNS0_4arch9wavefront6targetE1EEEvT1_ ; -- Begin function _ZN7rocprim17ROCPRIM_400000_NS6detail17trampoline_kernelINS0_14default_configENS1_25partition_config_selectorILNS1_17partition_subalgoE8ElNS0_10empty_typeEbEEZZNS1_14partition_implILS5_8ELb0ES3_jPKlPS6_PKS6_NS0_5tupleIJPlS6_EEENSE_IJSB_SB_EEENS0_18inequality_wrapperIN6hipcub16HIPCUB_304000_NS8EqualityEEESF_JS6_EEE10hipError_tPvRmT3_T4_T5_T6_T7_T9_mT8_P12ihipStream_tbDpT10_ENKUlT_T0_E_clISt17integral_constantIbLb1EES16_EEDaS11_S12_EUlS11_E_NS1_11comp_targetILNS1_3genE2ELNS1_11target_archE906ELNS1_3gpuE6ELNS1_3repE0EEENS1_30default_config_static_selectorELNS0_4arch9wavefront6targetE1EEEvT1_
	.globl	_ZN7rocprim17ROCPRIM_400000_NS6detail17trampoline_kernelINS0_14default_configENS1_25partition_config_selectorILNS1_17partition_subalgoE8ElNS0_10empty_typeEbEEZZNS1_14partition_implILS5_8ELb0ES3_jPKlPS6_PKS6_NS0_5tupleIJPlS6_EEENSE_IJSB_SB_EEENS0_18inequality_wrapperIN6hipcub16HIPCUB_304000_NS8EqualityEEESF_JS6_EEE10hipError_tPvRmT3_T4_T5_T6_T7_T9_mT8_P12ihipStream_tbDpT10_ENKUlT_T0_E_clISt17integral_constantIbLb1EES16_EEDaS11_S12_EUlS11_E_NS1_11comp_targetILNS1_3genE2ELNS1_11target_archE906ELNS1_3gpuE6ELNS1_3repE0EEENS1_30default_config_static_selectorELNS0_4arch9wavefront6targetE1EEEvT1_
	.p2align	8
	.type	_ZN7rocprim17ROCPRIM_400000_NS6detail17trampoline_kernelINS0_14default_configENS1_25partition_config_selectorILNS1_17partition_subalgoE8ElNS0_10empty_typeEbEEZZNS1_14partition_implILS5_8ELb0ES3_jPKlPS6_PKS6_NS0_5tupleIJPlS6_EEENSE_IJSB_SB_EEENS0_18inequality_wrapperIN6hipcub16HIPCUB_304000_NS8EqualityEEESF_JS6_EEE10hipError_tPvRmT3_T4_T5_T6_T7_T9_mT8_P12ihipStream_tbDpT10_ENKUlT_T0_E_clISt17integral_constantIbLb1EES16_EEDaS11_S12_EUlS11_E_NS1_11comp_targetILNS1_3genE2ELNS1_11target_archE906ELNS1_3gpuE6ELNS1_3repE0EEENS1_30default_config_static_selectorELNS0_4arch9wavefront6targetE1EEEvT1_,@function
_ZN7rocprim17ROCPRIM_400000_NS6detail17trampoline_kernelINS0_14default_configENS1_25partition_config_selectorILNS1_17partition_subalgoE8ElNS0_10empty_typeEbEEZZNS1_14partition_implILS5_8ELb0ES3_jPKlPS6_PKS6_NS0_5tupleIJPlS6_EEENSE_IJSB_SB_EEENS0_18inequality_wrapperIN6hipcub16HIPCUB_304000_NS8EqualityEEESF_JS6_EEE10hipError_tPvRmT3_T4_T5_T6_T7_T9_mT8_P12ihipStream_tbDpT10_ENKUlT_T0_E_clISt17integral_constantIbLb1EES16_EEDaS11_S12_EUlS11_E_NS1_11comp_targetILNS1_3genE2ELNS1_11target_archE906ELNS1_3gpuE6ELNS1_3repE0EEENS1_30default_config_static_selectorELNS0_4arch9wavefront6targetE1EEEvT1_: ; @_ZN7rocprim17ROCPRIM_400000_NS6detail17trampoline_kernelINS0_14default_configENS1_25partition_config_selectorILNS1_17partition_subalgoE8ElNS0_10empty_typeEbEEZZNS1_14partition_implILS5_8ELb0ES3_jPKlPS6_PKS6_NS0_5tupleIJPlS6_EEENSE_IJSB_SB_EEENS0_18inequality_wrapperIN6hipcub16HIPCUB_304000_NS8EqualityEEESF_JS6_EEE10hipError_tPvRmT3_T4_T5_T6_T7_T9_mT8_P12ihipStream_tbDpT10_ENKUlT_T0_E_clISt17integral_constantIbLb1EES16_EEDaS11_S12_EUlS11_E_NS1_11comp_targetILNS1_3genE2ELNS1_11target_archE906ELNS1_3gpuE6ELNS1_3repE0EEENS1_30default_config_static_selectorELNS0_4arch9wavefront6targetE1EEEvT1_
; %bb.0:
	.section	.rodata,"a",@progbits
	.p2align	6, 0x0
	.amdhsa_kernel _ZN7rocprim17ROCPRIM_400000_NS6detail17trampoline_kernelINS0_14default_configENS1_25partition_config_selectorILNS1_17partition_subalgoE8ElNS0_10empty_typeEbEEZZNS1_14partition_implILS5_8ELb0ES3_jPKlPS6_PKS6_NS0_5tupleIJPlS6_EEENSE_IJSB_SB_EEENS0_18inequality_wrapperIN6hipcub16HIPCUB_304000_NS8EqualityEEESF_JS6_EEE10hipError_tPvRmT3_T4_T5_T6_T7_T9_mT8_P12ihipStream_tbDpT10_ENKUlT_T0_E_clISt17integral_constantIbLb1EES16_EEDaS11_S12_EUlS11_E_NS1_11comp_targetILNS1_3genE2ELNS1_11target_archE906ELNS1_3gpuE6ELNS1_3repE0EEENS1_30default_config_static_selectorELNS0_4arch9wavefront6targetE1EEEvT1_
		.amdhsa_group_segment_fixed_size 0
		.amdhsa_private_segment_fixed_size 0
		.amdhsa_kernarg_size 128
		.amdhsa_user_sgpr_count 2
		.amdhsa_user_sgpr_dispatch_ptr 0
		.amdhsa_user_sgpr_queue_ptr 0
		.amdhsa_user_sgpr_kernarg_segment_ptr 1
		.amdhsa_user_sgpr_dispatch_id 0
		.amdhsa_user_sgpr_kernarg_preload_length 0
		.amdhsa_user_sgpr_kernarg_preload_offset 0
		.amdhsa_user_sgpr_private_segment_size 0
		.amdhsa_uses_dynamic_stack 0
		.amdhsa_enable_private_segment 0
		.amdhsa_system_sgpr_workgroup_id_x 1
		.amdhsa_system_sgpr_workgroup_id_y 0
		.amdhsa_system_sgpr_workgroup_id_z 0
		.amdhsa_system_sgpr_workgroup_info 0
		.amdhsa_system_vgpr_workitem_id 0
		.amdhsa_next_free_vgpr 1
		.amdhsa_next_free_sgpr 0
		.amdhsa_accum_offset 4
		.amdhsa_reserve_vcc 0
		.amdhsa_float_round_mode_32 0
		.amdhsa_float_round_mode_16_64 0
		.amdhsa_float_denorm_mode_32 3
		.amdhsa_float_denorm_mode_16_64 3
		.amdhsa_dx10_clamp 1
		.amdhsa_ieee_mode 1
		.amdhsa_fp16_overflow 0
		.amdhsa_tg_split 0
		.amdhsa_exception_fp_ieee_invalid_op 0
		.amdhsa_exception_fp_denorm_src 0
		.amdhsa_exception_fp_ieee_div_zero 0
		.amdhsa_exception_fp_ieee_overflow 0
		.amdhsa_exception_fp_ieee_underflow 0
		.amdhsa_exception_fp_ieee_inexact 0
		.amdhsa_exception_int_div_zero 0
	.end_amdhsa_kernel
	.section	.text._ZN7rocprim17ROCPRIM_400000_NS6detail17trampoline_kernelINS0_14default_configENS1_25partition_config_selectorILNS1_17partition_subalgoE8ElNS0_10empty_typeEbEEZZNS1_14partition_implILS5_8ELb0ES3_jPKlPS6_PKS6_NS0_5tupleIJPlS6_EEENSE_IJSB_SB_EEENS0_18inequality_wrapperIN6hipcub16HIPCUB_304000_NS8EqualityEEESF_JS6_EEE10hipError_tPvRmT3_T4_T5_T6_T7_T9_mT8_P12ihipStream_tbDpT10_ENKUlT_T0_E_clISt17integral_constantIbLb1EES16_EEDaS11_S12_EUlS11_E_NS1_11comp_targetILNS1_3genE2ELNS1_11target_archE906ELNS1_3gpuE6ELNS1_3repE0EEENS1_30default_config_static_selectorELNS0_4arch9wavefront6targetE1EEEvT1_,"axG",@progbits,_ZN7rocprim17ROCPRIM_400000_NS6detail17trampoline_kernelINS0_14default_configENS1_25partition_config_selectorILNS1_17partition_subalgoE8ElNS0_10empty_typeEbEEZZNS1_14partition_implILS5_8ELb0ES3_jPKlPS6_PKS6_NS0_5tupleIJPlS6_EEENSE_IJSB_SB_EEENS0_18inequality_wrapperIN6hipcub16HIPCUB_304000_NS8EqualityEEESF_JS6_EEE10hipError_tPvRmT3_T4_T5_T6_T7_T9_mT8_P12ihipStream_tbDpT10_ENKUlT_T0_E_clISt17integral_constantIbLb1EES16_EEDaS11_S12_EUlS11_E_NS1_11comp_targetILNS1_3genE2ELNS1_11target_archE906ELNS1_3gpuE6ELNS1_3repE0EEENS1_30default_config_static_selectorELNS0_4arch9wavefront6targetE1EEEvT1_,comdat
.Lfunc_end238:
	.size	_ZN7rocprim17ROCPRIM_400000_NS6detail17trampoline_kernelINS0_14default_configENS1_25partition_config_selectorILNS1_17partition_subalgoE8ElNS0_10empty_typeEbEEZZNS1_14partition_implILS5_8ELb0ES3_jPKlPS6_PKS6_NS0_5tupleIJPlS6_EEENSE_IJSB_SB_EEENS0_18inequality_wrapperIN6hipcub16HIPCUB_304000_NS8EqualityEEESF_JS6_EEE10hipError_tPvRmT3_T4_T5_T6_T7_T9_mT8_P12ihipStream_tbDpT10_ENKUlT_T0_E_clISt17integral_constantIbLb1EES16_EEDaS11_S12_EUlS11_E_NS1_11comp_targetILNS1_3genE2ELNS1_11target_archE906ELNS1_3gpuE6ELNS1_3repE0EEENS1_30default_config_static_selectorELNS0_4arch9wavefront6targetE1EEEvT1_, .Lfunc_end238-_ZN7rocprim17ROCPRIM_400000_NS6detail17trampoline_kernelINS0_14default_configENS1_25partition_config_selectorILNS1_17partition_subalgoE8ElNS0_10empty_typeEbEEZZNS1_14partition_implILS5_8ELb0ES3_jPKlPS6_PKS6_NS0_5tupleIJPlS6_EEENSE_IJSB_SB_EEENS0_18inequality_wrapperIN6hipcub16HIPCUB_304000_NS8EqualityEEESF_JS6_EEE10hipError_tPvRmT3_T4_T5_T6_T7_T9_mT8_P12ihipStream_tbDpT10_ENKUlT_T0_E_clISt17integral_constantIbLb1EES16_EEDaS11_S12_EUlS11_E_NS1_11comp_targetILNS1_3genE2ELNS1_11target_archE906ELNS1_3gpuE6ELNS1_3repE0EEENS1_30default_config_static_selectorELNS0_4arch9wavefront6targetE1EEEvT1_
                                        ; -- End function
	.section	.AMDGPU.csdata,"",@progbits
; Kernel info:
; codeLenInByte = 0
; NumSgprs: 6
; NumVgprs: 0
; NumAgprs: 0
; TotalNumVgprs: 0
; ScratchSize: 0
; MemoryBound: 0
; FloatMode: 240
; IeeeMode: 1
; LDSByteSize: 0 bytes/workgroup (compile time only)
; SGPRBlocks: 0
; VGPRBlocks: 0
; NumSGPRsForWavesPerEU: 6
; NumVGPRsForWavesPerEU: 1
; AccumOffset: 4
; Occupancy: 8
; WaveLimiterHint : 0
; COMPUTE_PGM_RSRC2:SCRATCH_EN: 0
; COMPUTE_PGM_RSRC2:USER_SGPR: 2
; COMPUTE_PGM_RSRC2:TRAP_HANDLER: 0
; COMPUTE_PGM_RSRC2:TGID_X_EN: 1
; COMPUTE_PGM_RSRC2:TGID_Y_EN: 0
; COMPUTE_PGM_RSRC2:TGID_Z_EN: 0
; COMPUTE_PGM_RSRC2:TIDIG_COMP_CNT: 0
; COMPUTE_PGM_RSRC3_GFX90A:ACCUM_OFFSET: 0
; COMPUTE_PGM_RSRC3_GFX90A:TG_SPLIT: 0
	.section	.text._ZN7rocprim17ROCPRIM_400000_NS6detail17trampoline_kernelINS0_14default_configENS1_25partition_config_selectorILNS1_17partition_subalgoE8ElNS0_10empty_typeEbEEZZNS1_14partition_implILS5_8ELb0ES3_jPKlPS6_PKS6_NS0_5tupleIJPlS6_EEENSE_IJSB_SB_EEENS0_18inequality_wrapperIN6hipcub16HIPCUB_304000_NS8EqualityEEESF_JS6_EEE10hipError_tPvRmT3_T4_T5_T6_T7_T9_mT8_P12ihipStream_tbDpT10_ENKUlT_T0_E_clISt17integral_constantIbLb1EES16_EEDaS11_S12_EUlS11_E_NS1_11comp_targetILNS1_3genE10ELNS1_11target_archE1200ELNS1_3gpuE4ELNS1_3repE0EEENS1_30default_config_static_selectorELNS0_4arch9wavefront6targetE1EEEvT1_,"axG",@progbits,_ZN7rocprim17ROCPRIM_400000_NS6detail17trampoline_kernelINS0_14default_configENS1_25partition_config_selectorILNS1_17partition_subalgoE8ElNS0_10empty_typeEbEEZZNS1_14partition_implILS5_8ELb0ES3_jPKlPS6_PKS6_NS0_5tupleIJPlS6_EEENSE_IJSB_SB_EEENS0_18inequality_wrapperIN6hipcub16HIPCUB_304000_NS8EqualityEEESF_JS6_EEE10hipError_tPvRmT3_T4_T5_T6_T7_T9_mT8_P12ihipStream_tbDpT10_ENKUlT_T0_E_clISt17integral_constantIbLb1EES16_EEDaS11_S12_EUlS11_E_NS1_11comp_targetILNS1_3genE10ELNS1_11target_archE1200ELNS1_3gpuE4ELNS1_3repE0EEENS1_30default_config_static_selectorELNS0_4arch9wavefront6targetE1EEEvT1_,comdat
	.protected	_ZN7rocprim17ROCPRIM_400000_NS6detail17trampoline_kernelINS0_14default_configENS1_25partition_config_selectorILNS1_17partition_subalgoE8ElNS0_10empty_typeEbEEZZNS1_14partition_implILS5_8ELb0ES3_jPKlPS6_PKS6_NS0_5tupleIJPlS6_EEENSE_IJSB_SB_EEENS0_18inequality_wrapperIN6hipcub16HIPCUB_304000_NS8EqualityEEESF_JS6_EEE10hipError_tPvRmT3_T4_T5_T6_T7_T9_mT8_P12ihipStream_tbDpT10_ENKUlT_T0_E_clISt17integral_constantIbLb1EES16_EEDaS11_S12_EUlS11_E_NS1_11comp_targetILNS1_3genE10ELNS1_11target_archE1200ELNS1_3gpuE4ELNS1_3repE0EEENS1_30default_config_static_selectorELNS0_4arch9wavefront6targetE1EEEvT1_ ; -- Begin function _ZN7rocprim17ROCPRIM_400000_NS6detail17trampoline_kernelINS0_14default_configENS1_25partition_config_selectorILNS1_17partition_subalgoE8ElNS0_10empty_typeEbEEZZNS1_14partition_implILS5_8ELb0ES3_jPKlPS6_PKS6_NS0_5tupleIJPlS6_EEENSE_IJSB_SB_EEENS0_18inequality_wrapperIN6hipcub16HIPCUB_304000_NS8EqualityEEESF_JS6_EEE10hipError_tPvRmT3_T4_T5_T6_T7_T9_mT8_P12ihipStream_tbDpT10_ENKUlT_T0_E_clISt17integral_constantIbLb1EES16_EEDaS11_S12_EUlS11_E_NS1_11comp_targetILNS1_3genE10ELNS1_11target_archE1200ELNS1_3gpuE4ELNS1_3repE0EEENS1_30default_config_static_selectorELNS0_4arch9wavefront6targetE1EEEvT1_
	.globl	_ZN7rocprim17ROCPRIM_400000_NS6detail17trampoline_kernelINS0_14default_configENS1_25partition_config_selectorILNS1_17partition_subalgoE8ElNS0_10empty_typeEbEEZZNS1_14partition_implILS5_8ELb0ES3_jPKlPS6_PKS6_NS0_5tupleIJPlS6_EEENSE_IJSB_SB_EEENS0_18inequality_wrapperIN6hipcub16HIPCUB_304000_NS8EqualityEEESF_JS6_EEE10hipError_tPvRmT3_T4_T5_T6_T7_T9_mT8_P12ihipStream_tbDpT10_ENKUlT_T0_E_clISt17integral_constantIbLb1EES16_EEDaS11_S12_EUlS11_E_NS1_11comp_targetILNS1_3genE10ELNS1_11target_archE1200ELNS1_3gpuE4ELNS1_3repE0EEENS1_30default_config_static_selectorELNS0_4arch9wavefront6targetE1EEEvT1_
	.p2align	8
	.type	_ZN7rocprim17ROCPRIM_400000_NS6detail17trampoline_kernelINS0_14default_configENS1_25partition_config_selectorILNS1_17partition_subalgoE8ElNS0_10empty_typeEbEEZZNS1_14partition_implILS5_8ELb0ES3_jPKlPS6_PKS6_NS0_5tupleIJPlS6_EEENSE_IJSB_SB_EEENS0_18inequality_wrapperIN6hipcub16HIPCUB_304000_NS8EqualityEEESF_JS6_EEE10hipError_tPvRmT3_T4_T5_T6_T7_T9_mT8_P12ihipStream_tbDpT10_ENKUlT_T0_E_clISt17integral_constantIbLb1EES16_EEDaS11_S12_EUlS11_E_NS1_11comp_targetILNS1_3genE10ELNS1_11target_archE1200ELNS1_3gpuE4ELNS1_3repE0EEENS1_30default_config_static_selectorELNS0_4arch9wavefront6targetE1EEEvT1_,@function
_ZN7rocprim17ROCPRIM_400000_NS6detail17trampoline_kernelINS0_14default_configENS1_25partition_config_selectorILNS1_17partition_subalgoE8ElNS0_10empty_typeEbEEZZNS1_14partition_implILS5_8ELb0ES3_jPKlPS6_PKS6_NS0_5tupleIJPlS6_EEENSE_IJSB_SB_EEENS0_18inequality_wrapperIN6hipcub16HIPCUB_304000_NS8EqualityEEESF_JS6_EEE10hipError_tPvRmT3_T4_T5_T6_T7_T9_mT8_P12ihipStream_tbDpT10_ENKUlT_T0_E_clISt17integral_constantIbLb1EES16_EEDaS11_S12_EUlS11_E_NS1_11comp_targetILNS1_3genE10ELNS1_11target_archE1200ELNS1_3gpuE4ELNS1_3repE0EEENS1_30default_config_static_selectorELNS0_4arch9wavefront6targetE1EEEvT1_: ; @_ZN7rocprim17ROCPRIM_400000_NS6detail17trampoline_kernelINS0_14default_configENS1_25partition_config_selectorILNS1_17partition_subalgoE8ElNS0_10empty_typeEbEEZZNS1_14partition_implILS5_8ELb0ES3_jPKlPS6_PKS6_NS0_5tupleIJPlS6_EEENSE_IJSB_SB_EEENS0_18inequality_wrapperIN6hipcub16HIPCUB_304000_NS8EqualityEEESF_JS6_EEE10hipError_tPvRmT3_T4_T5_T6_T7_T9_mT8_P12ihipStream_tbDpT10_ENKUlT_T0_E_clISt17integral_constantIbLb1EES16_EEDaS11_S12_EUlS11_E_NS1_11comp_targetILNS1_3genE10ELNS1_11target_archE1200ELNS1_3gpuE4ELNS1_3repE0EEENS1_30default_config_static_selectorELNS0_4arch9wavefront6targetE1EEEvT1_
; %bb.0:
	.section	.rodata,"a",@progbits
	.p2align	6, 0x0
	.amdhsa_kernel _ZN7rocprim17ROCPRIM_400000_NS6detail17trampoline_kernelINS0_14default_configENS1_25partition_config_selectorILNS1_17partition_subalgoE8ElNS0_10empty_typeEbEEZZNS1_14partition_implILS5_8ELb0ES3_jPKlPS6_PKS6_NS0_5tupleIJPlS6_EEENSE_IJSB_SB_EEENS0_18inequality_wrapperIN6hipcub16HIPCUB_304000_NS8EqualityEEESF_JS6_EEE10hipError_tPvRmT3_T4_T5_T6_T7_T9_mT8_P12ihipStream_tbDpT10_ENKUlT_T0_E_clISt17integral_constantIbLb1EES16_EEDaS11_S12_EUlS11_E_NS1_11comp_targetILNS1_3genE10ELNS1_11target_archE1200ELNS1_3gpuE4ELNS1_3repE0EEENS1_30default_config_static_selectorELNS0_4arch9wavefront6targetE1EEEvT1_
		.amdhsa_group_segment_fixed_size 0
		.amdhsa_private_segment_fixed_size 0
		.amdhsa_kernarg_size 128
		.amdhsa_user_sgpr_count 2
		.amdhsa_user_sgpr_dispatch_ptr 0
		.amdhsa_user_sgpr_queue_ptr 0
		.amdhsa_user_sgpr_kernarg_segment_ptr 1
		.amdhsa_user_sgpr_dispatch_id 0
		.amdhsa_user_sgpr_kernarg_preload_length 0
		.amdhsa_user_sgpr_kernarg_preload_offset 0
		.amdhsa_user_sgpr_private_segment_size 0
		.amdhsa_uses_dynamic_stack 0
		.amdhsa_enable_private_segment 0
		.amdhsa_system_sgpr_workgroup_id_x 1
		.amdhsa_system_sgpr_workgroup_id_y 0
		.amdhsa_system_sgpr_workgroup_id_z 0
		.amdhsa_system_sgpr_workgroup_info 0
		.amdhsa_system_vgpr_workitem_id 0
		.amdhsa_next_free_vgpr 1
		.amdhsa_next_free_sgpr 0
		.amdhsa_accum_offset 4
		.amdhsa_reserve_vcc 0
		.amdhsa_float_round_mode_32 0
		.amdhsa_float_round_mode_16_64 0
		.amdhsa_float_denorm_mode_32 3
		.amdhsa_float_denorm_mode_16_64 3
		.amdhsa_dx10_clamp 1
		.amdhsa_ieee_mode 1
		.amdhsa_fp16_overflow 0
		.amdhsa_tg_split 0
		.amdhsa_exception_fp_ieee_invalid_op 0
		.amdhsa_exception_fp_denorm_src 0
		.amdhsa_exception_fp_ieee_div_zero 0
		.amdhsa_exception_fp_ieee_overflow 0
		.amdhsa_exception_fp_ieee_underflow 0
		.amdhsa_exception_fp_ieee_inexact 0
		.amdhsa_exception_int_div_zero 0
	.end_amdhsa_kernel
	.section	.text._ZN7rocprim17ROCPRIM_400000_NS6detail17trampoline_kernelINS0_14default_configENS1_25partition_config_selectorILNS1_17partition_subalgoE8ElNS0_10empty_typeEbEEZZNS1_14partition_implILS5_8ELb0ES3_jPKlPS6_PKS6_NS0_5tupleIJPlS6_EEENSE_IJSB_SB_EEENS0_18inequality_wrapperIN6hipcub16HIPCUB_304000_NS8EqualityEEESF_JS6_EEE10hipError_tPvRmT3_T4_T5_T6_T7_T9_mT8_P12ihipStream_tbDpT10_ENKUlT_T0_E_clISt17integral_constantIbLb1EES16_EEDaS11_S12_EUlS11_E_NS1_11comp_targetILNS1_3genE10ELNS1_11target_archE1200ELNS1_3gpuE4ELNS1_3repE0EEENS1_30default_config_static_selectorELNS0_4arch9wavefront6targetE1EEEvT1_,"axG",@progbits,_ZN7rocprim17ROCPRIM_400000_NS6detail17trampoline_kernelINS0_14default_configENS1_25partition_config_selectorILNS1_17partition_subalgoE8ElNS0_10empty_typeEbEEZZNS1_14partition_implILS5_8ELb0ES3_jPKlPS6_PKS6_NS0_5tupleIJPlS6_EEENSE_IJSB_SB_EEENS0_18inequality_wrapperIN6hipcub16HIPCUB_304000_NS8EqualityEEESF_JS6_EEE10hipError_tPvRmT3_T4_T5_T6_T7_T9_mT8_P12ihipStream_tbDpT10_ENKUlT_T0_E_clISt17integral_constantIbLb1EES16_EEDaS11_S12_EUlS11_E_NS1_11comp_targetILNS1_3genE10ELNS1_11target_archE1200ELNS1_3gpuE4ELNS1_3repE0EEENS1_30default_config_static_selectorELNS0_4arch9wavefront6targetE1EEEvT1_,comdat
.Lfunc_end239:
	.size	_ZN7rocprim17ROCPRIM_400000_NS6detail17trampoline_kernelINS0_14default_configENS1_25partition_config_selectorILNS1_17partition_subalgoE8ElNS0_10empty_typeEbEEZZNS1_14partition_implILS5_8ELb0ES3_jPKlPS6_PKS6_NS0_5tupleIJPlS6_EEENSE_IJSB_SB_EEENS0_18inequality_wrapperIN6hipcub16HIPCUB_304000_NS8EqualityEEESF_JS6_EEE10hipError_tPvRmT3_T4_T5_T6_T7_T9_mT8_P12ihipStream_tbDpT10_ENKUlT_T0_E_clISt17integral_constantIbLb1EES16_EEDaS11_S12_EUlS11_E_NS1_11comp_targetILNS1_3genE10ELNS1_11target_archE1200ELNS1_3gpuE4ELNS1_3repE0EEENS1_30default_config_static_selectorELNS0_4arch9wavefront6targetE1EEEvT1_, .Lfunc_end239-_ZN7rocprim17ROCPRIM_400000_NS6detail17trampoline_kernelINS0_14default_configENS1_25partition_config_selectorILNS1_17partition_subalgoE8ElNS0_10empty_typeEbEEZZNS1_14partition_implILS5_8ELb0ES3_jPKlPS6_PKS6_NS0_5tupleIJPlS6_EEENSE_IJSB_SB_EEENS0_18inequality_wrapperIN6hipcub16HIPCUB_304000_NS8EqualityEEESF_JS6_EEE10hipError_tPvRmT3_T4_T5_T6_T7_T9_mT8_P12ihipStream_tbDpT10_ENKUlT_T0_E_clISt17integral_constantIbLb1EES16_EEDaS11_S12_EUlS11_E_NS1_11comp_targetILNS1_3genE10ELNS1_11target_archE1200ELNS1_3gpuE4ELNS1_3repE0EEENS1_30default_config_static_selectorELNS0_4arch9wavefront6targetE1EEEvT1_
                                        ; -- End function
	.section	.AMDGPU.csdata,"",@progbits
; Kernel info:
; codeLenInByte = 0
; NumSgprs: 6
; NumVgprs: 0
; NumAgprs: 0
; TotalNumVgprs: 0
; ScratchSize: 0
; MemoryBound: 0
; FloatMode: 240
; IeeeMode: 1
; LDSByteSize: 0 bytes/workgroup (compile time only)
; SGPRBlocks: 0
; VGPRBlocks: 0
; NumSGPRsForWavesPerEU: 6
; NumVGPRsForWavesPerEU: 1
; AccumOffset: 4
; Occupancy: 8
; WaveLimiterHint : 0
; COMPUTE_PGM_RSRC2:SCRATCH_EN: 0
; COMPUTE_PGM_RSRC2:USER_SGPR: 2
; COMPUTE_PGM_RSRC2:TRAP_HANDLER: 0
; COMPUTE_PGM_RSRC2:TGID_X_EN: 1
; COMPUTE_PGM_RSRC2:TGID_Y_EN: 0
; COMPUTE_PGM_RSRC2:TGID_Z_EN: 0
; COMPUTE_PGM_RSRC2:TIDIG_COMP_CNT: 0
; COMPUTE_PGM_RSRC3_GFX90A:ACCUM_OFFSET: 0
; COMPUTE_PGM_RSRC3_GFX90A:TG_SPLIT: 0
	.section	.text._ZN7rocprim17ROCPRIM_400000_NS6detail17trampoline_kernelINS0_14default_configENS1_25partition_config_selectorILNS1_17partition_subalgoE8ElNS0_10empty_typeEbEEZZNS1_14partition_implILS5_8ELb0ES3_jPKlPS6_PKS6_NS0_5tupleIJPlS6_EEENSE_IJSB_SB_EEENS0_18inequality_wrapperIN6hipcub16HIPCUB_304000_NS8EqualityEEESF_JS6_EEE10hipError_tPvRmT3_T4_T5_T6_T7_T9_mT8_P12ihipStream_tbDpT10_ENKUlT_T0_E_clISt17integral_constantIbLb1EES16_EEDaS11_S12_EUlS11_E_NS1_11comp_targetILNS1_3genE9ELNS1_11target_archE1100ELNS1_3gpuE3ELNS1_3repE0EEENS1_30default_config_static_selectorELNS0_4arch9wavefront6targetE1EEEvT1_,"axG",@progbits,_ZN7rocprim17ROCPRIM_400000_NS6detail17trampoline_kernelINS0_14default_configENS1_25partition_config_selectorILNS1_17partition_subalgoE8ElNS0_10empty_typeEbEEZZNS1_14partition_implILS5_8ELb0ES3_jPKlPS6_PKS6_NS0_5tupleIJPlS6_EEENSE_IJSB_SB_EEENS0_18inequality_wrapperIN6hipcub16HIPCUB_304000_NS8EqualityEEESF_JS6_EEE10hipError_tPvRmT3_T4_T5_T6_T7_T9_mT8_P12ihipStream_tbDpT10_ENKUlT_T0_E_clISt17integral_constantIbLb1EES16_EEDaS11_S12_EUlS11_E_NS1_11comp_targetILNS1_3genE9ELNS1_11target_archE1100ELNS1_3gpuE3ELNS1_3repE0EEENS1_30default_config_static_selectorELNS0_4arch9wavefront6targetE1EEEvT1_,comdat
	.protected	_ZN7rocprim17ROCPRIM_400000_NS6detail17trampoline_kernelINS0_14default_configENS1_25partition_config_selectorILNS1_17partition_subalgoE8ElNS0_10empty_typeEbEEZZNS1_14partition_implILS5_8ELb0ES3_jPKlPS6_PKS6_NS0_5tupleIJPlS6_EEENSE_IJSB_SB_EEENS0_18inequality_wrapperIN6hipcub16HIPCUB_304000_NS8EqualityEEESF_JS6_EEE10hipError_tPvRmT3_T4_T5_T6_T7_T9_mT8_P12ihipStream_tbDpT10_ENKUlT_T0_E_clISt17integral_constantIbLb1EES16_EEDaS11_S12_EUlS11_E_NS1_11comp_targetILNS1_3genE9ELNS1_11target_archE1100ELNS1_3gpuE3ELNS1_3repE0EEENS1_30default_config_static_selectorELNS0_4arch9wavefront6targetE1EEEvT1_ ; -- Begin function _ZN7rocprim17ROCPRIM_400000_NS6detail17trampoline_kernelINS0_14default_configENS1_25partition_config_selectorILNS1_17partition_subalgoE8ElNS0_10empty_typeEbEEZZNS1_14partition_implILS5_8ELb0ES3_jPKlPS6_PKS6_NS0_5tupleIJPlS6_EEENSE_IJSB_SB_EEENS0_18inequality_wrapperIN6hipcub16HIPCUB_304000_NS8EqualityEEESF_JS6_EEE10hipError_tPvRmT3_T4_T5_T6_T7_T9_mT8_P12ihipStream_tbDpT10_ENKUlT_T0_E_clISt17integral_constantIbLb1EES16_EEDaS11_S12_EUlS11_E_NS1_11comp_targetILNS1_3genE9ELNS1_11target_archE1100ELNS1_3gpuE3ELNS1_3repE0EEENS1_30default_config_static_selectorELNS0_4arch9wavefront6targetE1EEEvT1_
	.globl	_ZN7rocprim17ROCPRIM_400000_NS6detail17trampoline_kernelINS0_14default_configENS1_25partition_config_selectorILNS1_17partition_subalgoE8ElNS0_10empty_typeEbEEZZNS1_14partition_implILS5_8ELb0ES3_jPKlPS6_PKS6_NS0_5tupleIJPlS6_EEENSE_IJSB_SB_EEENS0_18inequality_wrapperIN6hipcub16HIPCUB_304000_NS8EqualityEEESF_JS6_EEE10hipError_tPvRmT3_T4_T5_T6_T7_T9_mT8_P12ihipStream_tbDpT10_ENKUlT_T0_E_clISt17integral_constantIbLb1EES16_EEDaS11_S12_EUlS11_E_NS1_11comp_targetILNS1_3genE9ELNS1_11target_archE1100ELNS1_3gpuE3ELNS1_3repE0EEENS1_30default_config_static_selectorELNS0_4arch9wavefront6targetE1EEEvT1_
	.p2align	8
	.type	_ZN7rocprim17ROCPRIM_400000_NS6detail17trampoline_kernelINS0_14default_configENS1_25partition_config_selectorILNS1_17partition_subalgoE8ElNS0_10empty_typeEbEEZZNS1_14partition_implILS5_8ELb0ES3_jPKlPS6_PKS6_NS0_5tupleIJPlS6_EEENSE_IJSB_SB_EEENS0_18inequality_wrapperIN6hipcub16HIPCUB_304000_NS8EqualityEEESF_JS6_EEE10hipError_tPvRmT3_T4_T5_T6_T7_T9_mT8_P12ihipStream_tbDpT10_ENKUlT_T0_E_clISt17integral_constantIbLb1EES16_EEDaS11_S12_EUlS11_E_NS1_11comp_targetILNS1_3genE9ELNS1_11target_archE1100ELNS1_3gpuE3ELNS1_3repE0EEENS1_30default_config_static_selectorELNS0_4arch9wavefront6targetE1EEEvT1_,@function
_ZN7rocprim17ROCPRIM_400000_NS6detail17trampoline_kernelINS0_14default_configENS1_25partition_config_selectorILNS1_17partition_subalgoE8ElNS0_10empty_typeEbEEZZNS1_14partition_implILS5_8ELb0ES3_jPKlPS6_PKS6_NS0_5tupleIJPlS6_EEENSE_IJSB_SB_EEENS0_18inequality_wrapperIN6hipcub16HIPCUB_304000_NS8EqualityEEESF_JS6_EEE10hipError_tPvRmT3_T4_T5_T6_T7_T9_mT8_P12ihipStream_tbDpT10_ENKUlT_T0_E_clISt17integral_constantIbLb1EES16_EEDaS11_S12_EUlS11_E_NS1_11comp_targetILNS1_3genE9ELNS1_11target_archE1100ELNS1_3gpuE3ELNS1_3repE0EEENS1_30default_config_static_selectorELNS0_4arch9wavefront6targetE1EEEvT1_: ; @_ZN7rocprim17ROCPRIM_400000_NS6detail17trampoline_kernelINS0_14default_configENS1_25partition_config_selectorILNS1_17partition_subalgoE8ElNS0_10empty_typeEbEEZZNS1_14partition_implILS5_8ELb0ES3_jPKlPS6_PKS6_NS0_5tupleIJPlS6_EEENSE_IJSB_SB_EEENS0_18inequality_wrapperIN6hipcub16HIPCUB_304000_NS8EqualityEEESF_JS6_EEE10hipError_tPvRmT3_T4_T5_T6_T7_T9_mT8_P12ihipStream_tbDpT10_ENKUlT_T0_E_clISt17integral_constantIbLb1EES16_EEDaS11_S12_EUlS11_E_NS1_11comp_targetILNS1_3genE9ELNS1_11target_archE1100ELNS1_3gpuE3ELNS1_3repE0EEENS1_30default_config_static_selectorELNS0_4arch9wavefront6targetE1EEEvT1_
; %bb.0:
	.section	.rodata,"a",@progbits
	.p2align	6, 0x0
	.amdhsa_kernel _ZN7rocprim17ROCPRIM_400000_NS6detail17trampoline_kernelINS0_14default_configENS1_25partition_config_selectorILNS1_17partition_subalgoE8ElNS0_10empty_typeEbEEZZNS1_14partition_implILS5_8ELb0ES3_jPKlPS6_PKS6_NS0_5tupleIJPlS6_EEENSE_IJSB_SB_EEENS0_18inequality_wrapperIN6hipcub16HIPCUB_304000_NS8EqualityEEESF_JS6_EEE10hipError_tPvRmT3_T4_T5_T6_T7_T9_mT8_P12ihipStream_tbDpT10_ENKUlT_T0_E_clISt17integral_constantIbLb1EES16_EEDaS11_S12_EUlS11_E_NS1_11comp_targetILNS1_3genE9ELNS1_11target_archE1100ELNS1_3gpuE3ELNS1_3repE0EEENS1_30default_config_static_selectorELNS0_4arch9wavefront6targetE1EEEvT1_
		.amdhsa_group_segment_fixed_size 0
		.amdhsa_private_segment_fixed_size 0
		.amdhsa_kernarg_size 128
		.amdhsa_user_sgpr_count 2
		.amdhsa_user_sgpr_dispatch_ptr 0
		.amdhsa_user_sgpr_queue_ptr 0
		.amdhsa_user_sgpr_kernarg_segment_ptr 1
		.amdhsa_user_sgpr_dispatch_id 0
		.amdhsa_user_sgpr_kernarg_preload_length 0
		.amdhsa_user_sgpr_kernarg_preload_offset 0
		.amdhsa_user_sgpr_private_segment_size 0
		.amdhsa_uses_dynamic_stack 0
		.amdhsa_enable_private_segment 0
		.amdhsa_system_sgpr_workgroup_id_x 1
		.amdhsa_system_sgpr_workgroup_id_y 0
		.amdhsa_system_sgpr_workgroup_id_z 0
		.amdhsa_system_sgpr_workgroup_info 0
		.amdhsa_system_vgpr_workitem_id 0
		.amdhsa_next_free_vgpr 1
		.amdhsa_next_free_sgpr 0
		.amdhsa_accum_offset 4
		.amdhsa_reserve_vcc 0
		.amdhsa_float_round_mode_32 0
		.amdhsa_float_round_mode_16_64 0
		.amdhsa_float_denorm_mode_32 3
		.amdhsa_float_denorm_mode_16_64 3
		.amdhsa_dx10_clamp 1
		.amdhsa_ieee_mode 1
		.amdhsa_fp16_overflow 0
		.amdhsa_tg_split 0
		.amdhsa_exception_fp_ieee_invalid_op 0
		.amdhsa_exception_fp_denorm_src 0
		.amdhsa_exception_fp_ieee_div_zero 0
		.amdhsa_exception_fp_ieee_overflow 0
		.amdhsa_exception_fp_ieee_underflow 0
		.amdhsa_exception_fp_ieee_inexact 0
		.amdhsa_exception_int_div_zero 0
	.end_amdhsa_kernel
	.section	.text._ZN7rocprim17ROCPRIM_400000_NS6detail17trampoline_kernelINS0_14default_configENS1_25partition_config_selectorILNS1_17partition_subalgoE8ElNS0_10empty_typeEbEEZZNS1_14partition_implILS5_8ELb0ES3_jPKlPS6_PKS6_NS0_5tupleIJPlS6_EEENSE_IJSB_SB_EEENS0_18inequality_wrapperIN6hipcub16HIPCUB_304000_NS8EqualityEEESF_JS6_EEE10hipError_tPvRmT3_T4_T5_T6_T7_T9_mT8_P12ihipStream_tbDpT10_ENKUlT_T0_E_clISt17integral_constantIbLb1EES16_EEDaS11_S12_EUlS11_E_NS1_11comp_targetILNS1_3genE9ELNS1_11target_archE1100ELNS1_3gpuE3ELNS1_3repE0EEENS1_30default_config_static_selectorELNS0_4arch9wavefront6targetE1EEEvT1_,"axG",@progbits,_ZN7rocprim17ROCPRIM_400000_NS6detail17trampoline_kernelINS0_14default_configENS1_25partition_config_selectorILNS1_17partition_subalgoE8ElNS0_10empty_typeEbEEZZNS1_14partition_implILS5_8ELb0ES3_jPKlPS6_PKS6_NS0_5tupleIJPlS6_EEENSE_IJSB_SB_EEENS0_18inequality_wrapperIN6hipcub16HIPCUB_304000_NS8EqualityEEESF_JS6_EEE10hipError_tPvRmT3_T4_T5_T6_T7_T9_mT8_P12ihipStream_tbDpT10_ENKUlT_T0_E_clISt17integral_constantIbLb1EES16_EEDaS11_S12_EUlS11_E_NS1_11comp_targetILNS1_3genE9ELNS1_11target_archE1100ELNS1_3gpuE3ELNS1_3repE0EEENS1_30default_config_static_selectorELNS0_4arch9wavefront6targetE1EEEvT1_,comdat
.Lfunc_end240:
	.size	_ZN7rocprim17ROCPRIM_400000_NS6detail17trampoline_kernelINS0_14default_configENS1_25partition_config_selectorILNS1_17partition_subalgoE8ElNS0_10empty_typeEbEEZZNS1_14partition_implILS5_8ELb0ES3_jPKlPS6_PKS6_NS0_5tupleIJPlS6_EEENSE_IJSB_SB_EEENS0_18inequality_wrapperIN6hipcub16HIPCUB_304000_NS8EqualityEEESF_JS6_EEE10hipError_tPvRmT3_T4_T5_T6_T7_T9_mT8_P12ihipStream_tbDpT10_ENKUlT_T0_E_clISt17integral_constantIbLb1EES16_EEDaS11_S12_EUlS11_E_NS1_11comp_targetILNS1_3genE9ELNS1_11target_archE1100ELNS1_3gpuE3ELNS1_3repE0EEENS1_30default_config_static_selectorELNS0_4arch9wavefront6targetE1EEEvT1_, .Lfunc_end240-_ZN7rocprim17ROCPRIM_400000_NS6detail17trampoline_kernelINS0_14default_configENS1_25partition_config_selectorILNS1_17partition_subalgoE8ElNS0_10empty_typeEbEEZZNS1_14partition_implILS5_8ELb0ES3_jPKlPS6_PKS6_NS0_5tupleIJPlS6_EEENSE_IJSB_SB_EEENS0_18inequality_wrapperIN6hipcub16HIPCUB_304000_NS8EqualityEEESF_JS6_EEE10hipError_tPvRmT3_T4_T5_T6_T7_T9_mT8_P12ihipStream_tbDpT10_ENKUlT_T0_E_clISt17integral_constantIbLb1EES16_EEDaS11_S12_EUlS11_E_NS1_11comp_targetILNS1_3genE9ELNS1_11target_archE1100ELNS1_3gpuE3ELNS1_3repE0EEENS1_30default_config_static_selectorELNS0_4arch9wavefront6targetE1EEEvT1_
                                        ; -- End function
	.section	.AMDGPU.csdata,"",@progbits
; Kernel info:
; codeLenInByte = 0
; NumSgprs: 6
; NumVgprs: 0
; NumAgprs: 0
; TotalNumVgprs: 0
; ScratchSize: 0
; MemoryBound: 0
; FloatMode: 240
; IeeeMode: 1
; LDSByteSize: 0 bytes/workgroup (compile time only)
; SGPRBlocks: 0
; VGPRBlocks: 0
; NumSGPRsForWavesPerEU: 6
; NumVGPRsForWavesPerEU: 1
; AccumOffset: 4
; Occupancy: 8
; WaveLimiterHint : 0
; COMPUTE_PGM_RSRC2:SCRATCH_EN: 0
; COMPUTE_PGM_RSRC2:USER_SGPR: 2
; COMPUTE_PGM_RSRC2:TRAP_HANDLER: 0
; COMPUTE_PGM_RSRC2:TGID_X_EN: 1
; COMPUTE_PGM_RSRC2:TGID_Y_EN: 0
; COMPUTE_PGM_RSRC2:TGID_Z_EN: 0
; COMPUTE_PGM_RSRC2:TIDIG_COMP_CNT: 0
; COMPUTE_PGM_RSRC3_GFX90A:ACCUM_OFFSET: 0
; COMPUTE_PGM_RSRC3_GFX90A:TG_SPLIT: 0
	.section	.text._ZN7rocprim17ROCPRIM_400000_NS6detail17trampoline_kernelINS0_14default_configENS1_25partition_config_selectorILNS1_17partition_subalgoE8ElNS0_10empty_typeEbEEZZNS1_14partition_implILS5_8ELb0ES3_jPKlPS6_PKS6_NS0_5tupleIJPlS6_EEENSE_IJSB_SB_EEENS0_18inequality_wrapperIN6hipcub16HIPCUB_304000_NS8EqualityEEESF_JS6_EEE10hipError_tPvRmT3_T4_T5_T6_T7_T9_mT8_P12ihipStream_tbDpT10_ENKUlT_T0_E_clISt17integral_constantIbLb1EES16_EEDaS11_S12_EUlS11_E_NS1_11comp_targetILNS1_3genE8ELNS1_11target_archE1030ELNS1_3gpuE2ELNS1_3repE0EEENS1_30default_config_static_selectorELNS0_4arch9wavefront6targetE1EEEvT1_,"axG",@progbits,_ZN7rocprim17ROCPRIM_400000_NS6detail17trampoline_kernelINS0_14default_configENS1_25partition_config_selectorILNS1_17partition_subalgoE8ElNS0_10empty_typeEbEEZZNS1_14partition_implILS5_8ELb0ES3_jPKlPS6_PKS6_NS0_5tupleIJPlS6_EEENSE_IJSB_SB_EEENS0_18inequality_wrapperIN6hipcub16HIPCUB_304000_NS8EqualityEEESF_JS6_EEE10hipError_tPvRmT3_T4_T5_T6_T7_T9_mT8_P12ihipStream_tbDpT10_ENKUlT_T0_E_clISt17integral_constantIbLb1EES16_EEDaS11_S12_EUlS11_E_NS1_11comp_targetILNS1_3genE8ELNS1_11target_archE1030ELNS1_3gpuE2ELNS1_3repE0EEENS1_30default_config_static_selectorELNS0_4arch9wavefront6targetE1EEEvT1_,comdat
	.protected	_ZN7rocprim17ROCPRIM_400000_NS6detail17trampoline_kernelINS0_14default_configENS1_25partition_config_selectorILNS1_17partition_subalgoE8ElNS0_10empty_typeEbEEZZNS1_14partition_implILS5_8ELb0ES3_jPKlPS6_PKS6_NS0_5tupleIJPlS6_EEENSE_IJSB_SB_EEENS0_18inequality_wrapperIN6hipcub16HIPCUB_304000_NS8EqualityEEESF_JS6_EEE10hipError_tPvRmT3_T4_T5_T6_T7_T9_mT8_P12ihipStream_tbDpT10_ENKUlT_T0_E_clISt17integral_constantIbLb1EES16_EEDaS11_S12_EUlS11_E_NS1_11comp_targetILNS1_3genE8ELNS1_11target_archE1030ELNS1_3gpuE2ELNS1_3repE0EEENS1_30default_config_static_selectorELNS0_4arch9wavefront6targetE1EEEvT1_ ; -- Begin function _ZN7rocprim17ROCPRIM_400000_NS6detail17trampoline_kernelINS0_14default_configENS1_25partition_config_selectorILNS1_17partition_subalgoE8ElNS0_10empty_typeEbEEZZNS1_14partition_implILS5_8ELb0ES3_jPKlPS6_PKS6_NS0_5tupleIJPlS6_EEENSE_IJSB_SB_EEENS0_18inequality_wrapperIN6hipcub16HIPCUB_304000_NS8EqualityEEESF_JS6_EEE10hipError_tPvRmT3_T4_T5_T6_T7_T9_mT8_P12ihipStream_tbDpT10_ENKUlT_T0_E_clISt17integral_constantIbLb1EES16_EEDaS11_S12_EUlS11_E_NS1_11comp_targetILNS1_3genE8ELNS1_11target_archE1030ELNS1_3gpuE2ELNS1_3repE0EEENS1_30default_config_static_selectorELNS0_4arch9wavefront6targetE1EEEvT1_
	.globl	_ZN7rocprim17ROCPRIM_400000_NS6detail17trampoline_kernelINS0_14default_configENS1_25partition_config_selectorILNS1_17partition_subalgoE8ElNS0_10empty_typeEbEEZZNS1_14partition_implILS5_8ELb0ES3_jPKlPS6_PKS6_NS0_5tupleIJPlS6_EEENSE_IJSB_SB_EEENS0_18inequality_wrapperIN6hipcub16HIPCUB_304000_NS8EqualityEEESF_JS6_EEE10hipError_tPvRmT3_T4_T5_T6_T7_T9_mT8_P12ihipStream_tbDpT10_ENKUlT_T0_E_clISt17integral_constantIbLb1EES16_EEDaS11_S12_EUlS11_E_NS1_11comp_targetILNS1_3genE8ELNS1_11target_archE1030ELNS1_3gpuE2ELNS1_3repE0EEENS1_30default_config_static_selectorELNS0_4arch9wavefront6targetE1EEEvT1_
	.p2align	8
	.type	_ZN7rocprim17ROCPRIM_400000_NS6detail17trampoline_kernelINS0_14default_configENS1_25partition_config_selectorILNS1_17partition_subalgoE8ElNS0_10empty_typeEbEEZZNS1_14partition_implILS5_8ELb0ES3_jPKlPS6_PKS6_NS0_5tupleIJPlS6_EEENSE_IJSB_SB_EEENS0_18inequality_wrapperIN6hipcub16HIPCUB_304000_NS8EqualityEEESF_JS6_EEE10hipError_tPvRmT3_T4_T5_T6_T7_T9_mT8_P12ihipStream_tbDpT10_ENKUlT_T0_E_clISt17integral_constantIbLb1EES16_EEDaS11_S12_EUlS11_E_NS1_11comp_targetILNS1_3genE8ELNS1_11target_archE1030ELNS1_3gpuE2ELNS1_3repE0EEENS1_30default_config_static_selectorELNS0_4arch9wavefront6targetE1EEEvT1_,@function
_ZN7rocprim17ROCPRIM_400000_NS6detail17trampoline_kernelINS0_14default_configENS1_25partition_config_selectorILNS1_17partition_subalgoE8ElNS0_10empty_typeEbEEZZNS1_14partition_implILS5_8ELb0ES3_jPKlPS6_PKS6_NS0_5tupleIJPlS6_EEENSE_IJSB_SB_EEENS0_18inequality_wrapperIN6hipcub16HIPCUB_304000_NS8EqualityEEESF_JS6_EEE10hipError_tPvRmT3_T4_T5_T6_T7_T9_mT8_P12ihipStream_tbDpT10_ENKUlT_T0_E_clISt17integral_constantIbLb1EES16_EEDaS11_S12_EUlS11_E_NS1_11comp_targetILNS1_3genE8ELNS1_11target_archE1030ELNS1_3gpuE2ELNS1_3repE0EEENS1_30default_config_static_selectorELNS0_4arch9wavefront6targetE1EEEvT1_: ; @_ZN7rocprim17ROCPRIM_400000_NS6detail17trampoline_kernelINS0_14default_configENS1_25partition_config_selectorILNS1_17partition_subalgoE8ElNS0_10empty_typeEbEEZZNS1_14partition_implILS5_8ELb0ES3_jPKlPS6_PKS6_NS0_5tupleIJPlS6_EEENSE_IJSB_SB_EEENS0_18inequality_wrapperIN6hipcub16HIPCUB_304000_NS8EqualityEEESF_JS6_EEE10hipError_tPvRmT3_T4_T5_T6_T7_T9_mT8_P12ihipStream_tbDpT10_ENKUlT_T0_E_clISt17integral_constantIbLb1EES16_EEDaS11_S12_EUlS11_E_NS1_11comp_targetILNS1_3genE8ELNS1_11target_archE1030ELNS1_3gpuE2ELNS1_3repE0EEENS1_30default_config_static_selectorELNS0_4arch9wavefront6targetE1EEEvT1_
; %bb.0:
	.section	.rodata,"a",@progbits
	.p2align	6, 0x0
	.amdhsa_kernel _ZN7rocprim17ROCPRIM_400000_NS6detail17trampoline_kernelINS0_14default_configENS1_25partition_config_selectorILNS1_17partition_subalgoE8ElNS0_10empty_typeEbEEZZNS1_14partition_implILS5_8ELb0ES3_jPKlPS6_PKS6_NS0_5tupleIJPlS6_EEENSE_IJSB_SB_EEENS0_18inequality_wrapperIN6hipcub16HIPCUB_304000_NS8EqualityEEESF_JS6_EEE10hipError_tPvRmT3_T4_T5_T6_T7_T9_mT8_P12ihipStream_tbDpT10_ENKUlT_T0_E_clISt17integral_constantIbLb1EES16_EEDaS11_S12_EUlS11_E_NS1_11comp_targetILNS1_3genE8ELNS1_11target_archE1030ELNS1_3gpuE2ELNS1_3repE0EEENS1_30default_config_static_selectorELNS0_4arch9wavefront6targetE1EEEvT1_
		.amdhsa_group_segment_fixed_size 0
		.amdhsa_private_segment_fixed_size 0
		.amdhsa_kernarg_size 128
		.amdhsa_user_sgpr_count 2
		.amdhsa_user_sgpr_dispatch_ptr 0
		.amdhsa_user_sgpr_queue_ptr 0
		.amdhsa_user_sgpr_kernarg_segment_ptr 1
		.amdhsa_user_sgpr_dispatch_id 0
		.amdhsa_user_sgpr_kernarg_preload_length 0
		.amdhsa_user_sgpr_kernarg_preload_offset 0
		.amdhsa_user_sgpr_private_segment_size 0
		.amdhsa_uses_dynamic_stack 0
		.amdhsa_enable_private_segment 0
		.amdhsa_system_sgpr_workgroup_id_x 1
		.amdhsa_system_sgpr_workgroup_id_y 0
		.amdhsa_system_sgpr_workgroup_id_z 0
		.amdhsa_system_sgpr_workgroup_info 0
		.amdhsa_system_vgpr_workitem_id 0
		.amdhsa_next_free_vgpr 1
		.amdhsa_next_free_sgpr 0
		.amdhsa_accum_offset 4
		.amdhsa_reserve_vcc 0
		.amdhsa_float_round_mode_32 0
		.amdhsa_float_round_mode_16_64 0
		.amdhsa_float_denorm_mode_32 3
		.amdhsa_float_denorm_mode_16_64 3
		.amdhsa_dx10_clamp 1
		.amdhsa_ieee_mode 1
		.amdhsa_fp16_overflow 0
		.amdhsa_tg_split 0
		.amdhsa_exception_fp_ieee_invalid_op 0
		.amdhsa_exception_fp_denorm_src 0
		.amdhsa_exception_fp_ieee_div_zero 0
		.amdhsa_exception_fp_ieee_overflow 0
		.amdhsa_exception_fp_ieee_underflow 0
		.amdhsa_exception_fp_ieee_inexact 0
		.amdhsa_exception_int_div_zero 0
	.end_amdhsa_kernel
	.section	.text._ZN7rocprim17ROCPRIM_400000_NS6detail17trampoline_kernelINS0_14default_configENS1_25partition_config_selectorILNS1_17partition_subalgoE8ElNS0_10empty_typeEbEEZZNS1_14partition_implILS5_8ELb0ES3_jPKlPS6_PKS6_NS0_5tupleIJPlS6_EEENSE_IJSB_SB_EEENS0_18inequality_wrapperIN6hipcub16HIPCUB_304000_NS8EqualityEEESF_JS6_EEE10hipError_tPvRmT3_T4_T5_T6_T7_T9_mT8_P12ihipStream_tbDpT10_ENKUlT_T0_E_clISt17integral_constantIbLb1EES16_EEDaS11_S12_EUlS11_E_NS1_11comp_targetILNS1_3genE8ELNS1_11target_archE1030ELNS1_3gpuE2ELNS1_3repE0EEENS1_30default_config_static_selectorELNS0_4arch9wavefront6targetE1EEEvT1_,"axG",@progbits,_ZN7rocprim17ROCPRIM_400000_NS6detail17trampoline_kernelINS0_14default_configENS1_25partition_config_selectorILNS1_17partition_subalgoE8ElNS0_10empty_typeEbEEZZNS1_14partition_implILS5_8ELb0ES3_jPKlPS6_PKS6_NS0_5tupleIJPlS6_EEENSE_IJSB_SB_EEENS0_18inequality_wrapperIN6hipcub16HIPCUB_304000_NS8EqualityEEESF_JS6_EEE10hipError_tPvRmT3_T4_T5_T6_T7_T9_mT8_P12ihipStream_tbDpT10_ENKUlT_T0_E_clISt17integral_constantIbLb1EES16_EEDaS11_S12_EUlS11_E_NS1_11comp_targetILNS1_3genE8ELNS1_11target_archE1030ELNS1_3gpuE2ELNS1_3repE0EEENS1_30default_config_static_selectorELNS0_4arch9wavefront6targetE1EEEvT1_,comdat
.Lfunc_end241:
	.size	_ZN7rocprim17ROCPRIM_400000_NS6detail17trampoline_kernelINS0_14default_configENS1_25partition_config_selectorILNS1_17partition_subalgoE8ElNS0_10empty_typeEbEEZZNS1_14partition_implILS5_8ELb0ES3_jPKlPS6_PKS6_NS0_5tupleIJPlS6_EEENSE_IJSB_SB_EEENS0_18inequality_wrapperIN6hipcub16HIPCUB_304000_NS8EqualityEEESF_JS6_EEE10hipError_tPvRmT3_T4_T5_T6_T7_T9_mT8_P12ihipStream_tbDpT10_ENKUlT_T0_E_clISt17integral_constantIbLb1EES16_EEDaS11_S12_EUlS11_E_NS1_11comp_targetILNS1_3genE8ELNS1_11target_archE1030ELNS1_3gpuE2ELNS1_3repE0EEENS1_30default_config_static_selectorELNS0_4arch9wavefront6targetE1EEEvT1_, .Lfunc_end241-_ZN7rocprim17ROCPRIM_400000_NS6detail17trampoline_kernelINS0_14default_configENS1_25partition_config_selectorILNS1_17partition_subalgoE8ElNS0_10empty_typeEbEEZZNS1_14partition_implILS5_8ELb0ES3_jPKlPS6_PKS6_NS0_5tupleIJPlS6_EEENSE_IJSB_SB_EEENS0_18inequality_wrapperIN6hipcub16HIPCUB_304000_NS8EqualityEEESF_JS6_EEE10hipError_tPvRmT3_T4_T5_T6_T7_T9_mT8_P12ihipStream_tbDpT10_ENKUlT_T0_E_clISt17integral_constantIbLb1EES16_EEDaS11_S12_EUlS11_E_NS1_11comp_targetILNS1_3genE8ELNS1_11target_archE1030ELNS1_3gpuE2ELNS1_3repE0EEENS1_30default_config_static_selectorELNS0_4arch9wavefront6targetE1EEEvT1_
                                        ; -- End function
	.section	.AMDGPU.csdata,"",@progbits
; Kernel info:
; codeLenInByte = 0
; NumSgprs: 6
; NumVgprs: 0
; NumAgprs: 0
; TotalNumVgprs: 0
; ScratchSize: 0
; MemoryBound: 0
; FloatMode: 240
; IeeeMode: 1
; LDSByteSize: 0 bytes/workgroup (compile time only)
; SGPRBlocks: 0
; VGPRBlocks: 0
; NumSGPRsForWavesPerEU: 6
; NumVGPRsForWavesPerEU: 1
; AccumOffset: 4
; Occupancy: 8
; WaveLimiterHint : 0
; COMPUTE_PGM_RSRC2:SCRATCH_EN: 0
; COMPUTE_PGM_RSRC2:USER_SGPR: 2
; COMPUTE_PGM_RSRC2:TRAP_HANDLER: 0
; COMPUTE_PGM_RSRC2:TGID_X_EN: 1
; COMPUTE_PGM_RSRC2:TGID_Y_EN: 0
; COMPUTE_PGM_RSRC2:TGID_Z_EN: 0
; COMPUTE_PGM_RSRC2:TIDIG_COMP_CNT: 0
; COMPUTE_PGM_RSRC3_GFX90A:ACCUM_OFFSET: 0
; COMPUTE_PGM_RSRC3_GFX90A:TG_SPLIT: 0
	.section	.text._ZN7rocprim17ROCPRIM_400000_NS6detail17trampoline_kernelINS0_14default_configENS1_25partition_config_selectorILNS1_17partition_subalgoE8ElNS0_10empty_typeEbEEZZNS1_14partition_implILS5_8ELb0ES3_jPKlPS6_PKS6_NS0_5tupleIJPlS6_EEENSE_IJSB_SB_EEENS0_18inequality_wrapperIN6hipcub16HIPCUB_304000_NS8EqualityEEESF_JS6_EEE10hipError_tPvRmT3_T4_T5_T6_T7_T9_mT8_P12ihipStream_tbDpT10_ENKUlT_T0_E_clISt17integral_constantIbLb1EES15_IbLb0EEEEDaS11_S12_EUlS11_E_NS1_11comp_targetILNS1_3genE0ELNS1_11target_archE4294967295ELNS1_3gpuE0ELNS1_3repE0EEENS1_30default_config_static_selectorELNS0_4arch9wavefront6targetE1EEEvT1_,"axG",@progbits,_ZN7rocprim17ROCPRIM_400000_NS6detail17trampoline_kernelINS0_14default_configENS1_25partition_config_selectorILNS1_17partition_subalgoE8ElNS0_10empty_typeEbEEZZNS1_14partition_implILS5_8ELb0ES3_jPKlPS6_PKS6_NS0_5tupleIJPlS6_EEENSE_IJSB_SB_EEENS0_18inequality_wrapperIN6hipcub16HIPCUB_304000_NS8EqualityEEESF_JS6_EEE10hipError_tPvRmT3_T4_T5_T6_T7_T9_mT8_P12ihipStream_tbDpT10_ENKUlT_T0_E_clISt17integral_constantIbLb1EES15_IbLb0EEEEDaS11_S12_EUlS11_E_NS1_11comp_targetILNS1_3genE0ELNS1_11target_archE4294967295ELNS1_3gpuE0ELNS1_3repE0EEENS1_30default_config_static_selectorELNS0_4arch9wavefront6targetE1EEEvT1_,comdat
	.protected	_ZN7rocprim17ROCPRIM_400000_NS6detail17trampoline_kernelINS0_14default_configENS1_25partition_config_selectorILNS1_17partition_subalgoE8ElNS0_10empty_typeEbEEZZNS1_14partition_implILS5_8ELb0ES3_jPKlPS6_PKS6_NS0_5tupleIJPlS6_EEENSE_IJSB_SB_EEENS0_18inequality_wrapperIN6hipcub16HIPCUB_304000_NS8EqualityEEESF_JS6_EEE10hipError_tPvRmT3_T4_T5_T6_T7_T9_mT8_P12ihipStream_tbDpT10_ENKUlT_T0_E_clISt17integral_constantIbLb1EES15_IbLb0EEEEDaS11_S12_EUlS11_E_NS1_11comp_targetILNS1_3genE0ELNS1_11target_archE4294967295ELNS1_3gpuE0ELNS1_3repE0EEENS1_30default_config_static_selectorELNS0_4arch9wavefront6targetE1EEEvT1_ ; -- Begin function _ZN7rocprim17ROCPRIM_400000_NS6detail17trampoline_kernelINS0_14default_configENS1_25partition_config_selectorILNS1_17partition_subalgoE8ElNS0_10empty_typeEbEEZZNS1_14partition_implILS5_8ELb0ES3_jPKlPS6_PKS6_NS0_5tupleIJPlS6_EEENSE_IJSB_SB_EEENS0_18inequality_wrapperIN6hipcub16HIPCUB_304000_NS8EqualityEEESF_JS6_EEE10hipError_tPvRmT3_T4_T5_T6_T7_T9_mT8_P12ihipStream_tbDpT10_ENKUlT_T0_E_clISt17integral_constantIbLb1EES15_IbLb0EEEEDaS11_S12_EUlS11_E_NS1_11comp_targetILNS1_3genE0ELNS1_11target_archE4294967295ELNS1_3gpuE0ELNS1_3repE0EEENS1_30default_config_static_selectorELNS0_4arch9wavefront6targetE1EEEvT1_
	.globl	_ZN7rocprim17ROCPRIM_400000_NS6detail17trampoline_kernelINS0_14default_configENS1_25partition_config_selectorILNS1_17partition_subalgoE8ElNS0_10empty_typeEbEEZZNS1_14partition_implILS5_8ELb0ES3_jPKlPS6_PKS6_NS0_5tupleIJPlS6_EEENSE_IJSB_SB_EEENS0_18inequality_wrapperIN6hipcub16HIPCUB_304000_NS8EqualityEEESF_JS6_EEE10hipError_tPvRmT3_T4_T5_T6_T7_T9_mT8_P12ihipStream_tbDpT10_ENKUlT_T0_E_clISt17integral_constantIbLb1EES15_IbLb0EEEEDaS11_S12_EUlS11_E_NS1_11comp_targetILNS1_3genE0ELNS1_11target_archE4294967295ELNS1_3gpuE0ELNS1_3repE0EEENS1_30default_config_static_selectorELNS0_4arch9wavefront6targetE1EEEvT1_
	.p2align	8
	.type	_ZN7rocprim17ROCPRIM_400000_NS6detail17trampoline_kernelINS0_14default_configENS1_25partition_config_selectorILNS1_17partition_subalgoE8ElNS0_10empty_typeEbEEZZNS1_14partition_implILS5_8ELb0ES3_jPKlPS6_PKS6_NS0_5tupleIJPlS6_EEENSE_IJSB_SB_EEENS0_18inequality_wrapperIN6hipcub16HIPCUB_304000_NS8EqualityEEESF_JS6_EEE10hipError_tPvRmT3_T4_T5_T6_T7_T9_mT8_P12ihipStream_tbDpT10_ENKUlT_T0_E_clISt17integral_constantIbLb1EES15_IbLb0EEEEDaS11_S12_EUlS11_E_NS1_11comp_targetILNS1_3genE0ELNS1_11target_archE4294967295ELNS1_3gpuE0ELNS1_3repE0EEENS1_30default_config_static_selectorELNS0_4arch9wavefront6targetE1EEEvT1_,@function
_ZN7rocprim17ROCPRIM_400000_NS6detail17trampoline_kernelINS0_14default_configENS1_25partition_config_selectorILNS1_17partition_subalgoE8ElNS0_10empty_typeEbEEZZNS1_14partition_implILS5_8ELb0ES3_jPKlPS6_PKS6_NS0_5tupleIJPlS6_EEENSE_IJSB_SB_EEENS0_18inequality_wrapperIN6hipcub16HIPCUB_304000_NS8EqualityEEESF_JS6_EEE10hipError_tPvRmT3_T4_T5_T6_T7_T9_mT8_P12ihipStream_tbDpT10_ENKUlT_T0_E_clISt17integral_constantIbLb1EES15_IbLb0EEEEDaS11_S12_EUlS11_E_NS1_11comp_targetILNS1_3genE0ELNS1_11target_archE4294967295ELNS1_3gpuE0ELNS1_3repE0EEENS1_30default_config_static_selectorELNS0_4arch9wavefront6targetE1EEEvT1_: ; @_ZN7rocprim17ROCPRIM_400000_NS6detail17trampoline_kernelINS0_14default_configENS1_25partition_config_selectorILNS1_17partition_subalgoE8ElNS0_10empty_typeEbEEZZNS1_14partition_implILS5_8ELb0ES3_jPKlPS6_PKS6_NS0_5tupleIJPlS6_EEENSE_IJSB_SB_EEENS0_18inequality_wrapperIN6hipcub16HIPCUB_304000_NS8EqualityEEESF_JS6_EEE10hipError_tPvRmT3_T4_T5_T6_T7_T9_mT8_P12ihipStream_tbDpT10_ENKUlT_T0_E_clISt17integral_constantIbLb1EES15_IbLb0EEEEDaS11_S12_EUlS11_E_NS1_11comp_targetILNS1_3genE0ELNS1_11target_archE4294967295ELNS1_3gpuE0ELNS1_3repE0EEENS1_30default_config_static_selectorELNS0_4arch9wavefront6targetE1EEEvT1_
; %bb.0:
	.section	.rodata,"a",@progbits
	.p2align	6, 0x0
	.amdhsa_kernel _ZN7rocprim17ROCPRIM_400000_NS6detail17trampoline_kernelINS0_14default_configENS1_25partition_config_selectorILNS1_17partition_subalgoE8ElNS0_10empty_typeEbEEZZNS1_14partition_implILS5_8ELb0ES3_jPKlPS6_PKS6_NS0_5tupleIJPlS6_EEENSE_IJSB_SB_EEENS0_18inequality_wrapperIN6hipcub16HIPCUB_304000_NS8EqualityEEESF_JS6_EEE10hipError_tPvRmT3_T4_T5_T6_T7_T9_mT8_P12ihipStream_tbDpT10_ENKUlT_T0_E_clISt17integral_constantIbLb1EES15_IbLb0EEEEDaS11_S12_EUlS11_E_NS1_11comp_targetILNS1_3genE0ELNS1_11target_archE4294967295ELNS1_3gpuE0ELNS1_3repE0EEENS1_30default_config_static_selectorELNS0_4arch9wavefront6targetE1EEEvT1_
		.amdhsa_group_segment_fixed_size 0
		.amdhsa_private_segment_fixed_size 0
		.amdhsa_kernarg_size 112
		.amdhsa_user_sgpr_count 2
		.amdhsa_user_sgpr_dispatch_ptr 0
		.amdhsa_user_sgpr_queue_ptr 0
		.amdhsa_user_sgpr_kernarg_segment_ptr 1
		.amdhsa_user_sgpr_dispatch_id 0
		.amdhsa_user_sgpr_kernarg_preload_length 0
		.amdhsa_user_sgpr_kernarg_preload_offset 0
		.amdhsa_user_sgpr_private_segment_size 0
		.amdhsa_uses_dynamic_stack 0
		.amdhsa_enable_private_segment 0
		.amdhsa_system_sgpr_workgroup_id_x 1
		.amdhsa_system_sgpr_workgroup_id_y 0
		.amdhsa_system_sgpr_workgroup_id_z 0
		.amdhsa_system_sgpr_workgroup_info 0
		.amdhsa_system_vgpr_workitem_id 0
		.amdhsa_next_free_vgpr 1
		.amdhsa_next_free_sgpr 0
		.amdhsa_accum_offset 4
		.amdhsa_reserve_vcc 0
		.amdhsa_float_round_mode_32 0
		.amdhsa_float_round_mode_16_64 0
		.amdhsa_float_denorm_mode_32 3
		.amdhsa_float_denorm_mode_16_64 3
		.amdhsa_dx10_clamp 1
		.amdhsa_ieee_mode 1
		.amdhsa_fp16_overflow 0
		.amdhsa_tg_split 0
		.amdhsa_exception_fp_ieee_invalid_op 0
		.amdhsa_exception_fp_denorm_src 0
		.amdhsa_exception_fp_ieee_div_zero 0
		.amdhsa_exception_fp_ieee_overflow 0
		.amdhsa_exception_fp_ieee_underflow 0
		.amdhsa_exception_fp_ieee_inexact 0
		.amdhsa_exception_int_div_zero 0
	.end_amdhsa_kernel
	.section	.text._ZN7rocprim17ROCPRIM_400000_NS6detail17trampoline_kernelINS0_14default_configENS1_25partition_config_selectorILNS1_17partition_subalgoE8ElNS0_10empty_typeEbEEZZNS1_14partition_implILS5_8ELb0ES3_jPKlPS6_PKS6_NS0_5tupleIJPlS6_EEENSE_IJSB_SB_EEENS0_18inequality_wrapperIN6hipcub16HIPCUB_304000_NS8EqualityEEESF_JS6_EEE10hipError_tPvRmT3_T4_T5_T6_T7_T9_mT8_P12ihipStream_tbDpT10_ENKUlT_T0_E_clISt17integral_constantIbLb1EES15_IbLb0EEEEDaS11_S12_EUlS11_E_NS1_11comp_targetILNS1_3genE0ELNS1_11target_archE4294967295ELNS1_3gpuE0ELNS1_3repE0EEENS1_30default_config_static_selectorELNS0_4arch9wavefront6targetE1EEEvT1_,"axG",@progbits,_ZN7rocprim17ROCPRIM_400000_NS6detail17trampoline_kernelINS0_14default_configENS1_25partition_config_selectorILNS1_17partition_subalgoE8ElNS0_10empty_typeEbEEZZNS1_14partition_implILS5_8ELb0ES3_jPKlPS6_PKS6_NS0_5tupleIJPlS6_EEENSE_IJSB_SB_EEENS0_18inequality_wrapperIN6hipcub16HIPCUB_304000_NS8EqualityEEESF_JS6_EEE10hipError_tPvRmT3_T4_T5_T6_T7_T9_mT8_P12ihipStream_tbDpT10_ENKUlT_T0_E_clISt17integral_constantIbLb1EES15_IbLb0EEEEDaS11_S12_EUlS11_E_NS1_11comp_targetILNS1_3genE0ELNS1_11target_archE4294967295ELNS1_3gpuE0ELNS1_3repE0EEENS1_30default_config_static_selectorELNS0_4arch9wavefront6targetE1EEEvT1_,comdat
.Lfunc_end242:
	.size	_ZN7rocprim17ROCPRIM_400000_NS6detail17trampoline_kernelINS0_14default_configENS1_25partition_config_selectorILNS1_17partition_subalgoE8ElNS0_10empty_typeEbEEZZNS1_14partition_implILS5_8ELb0ES3_jPKlPS6_PKS6_NS0_5tupleIJPlS6_EEENSE_IJSB_SB_EEENS0_18inequality_wrapperIN6hipcub16HIPCUB_304000_NS8EqualityEEESF_JS6_EEE10hipError_tPvRmT3_T4_T5_T6_T7_T9_mT8_P12ihipStream_tbDpT10_ENKUlT_T0_E_clISt17integral_constantIbLb1EES15_IbLb0EEEEDaS11_S12_EUlS11_E_NS1_11comp_targetILNS1_3genE0ELNS1_11target_archE4294967295ELNS1_3gpuE0ELNS1_3repE0EEENS1_30default_config_static_selectorELNS0_4arch9wavefront6targetE1EEEvT1_, .Lfunc_end242-_ZN7rocprim17ROCPRIM_400000_NS6detail17trampoline_kernelINS0_14default_configENS1_25partition_config_selectorILNS1_17partition_subalgoE8ElNS0_10empty_typeEbEEZZNS1_14partition_implILS5_8ELb0ES3_jPKlPS6_PKS6_NS0_5tupleIJPlS6_EEENSE_IJSB_SB_EEENS0_18inequality_wrapperIN6hipcub16HIPCUB_304000_NS8EqualityEEESF_JS6_EEE10hipError_tPvRmT3_T4_T5_T6_T7_T9_mT8_P12ihipStream_tbDpT10_ENKUlT_T0_E_clISt17integral_constantIbLb1EES15_IbLb0EEEEDaS11_S12_EUlS11_E_NS1_11comp_targetILNS1_3genE0ELNS1_11target_archE4294967295ELNS1_3gpuE0ELNS1_3repE0EEENS1_30default_config_static_selectorELNS0_4arch9wavefront6targetE1EEEvT1_
                                        ; -- End function
	.section	.AMDGPU.csdata,"",@progbits
; Kernel info:
; codeLenInByte = 0
; NumSgprs: 6
; NumVgprs: 0
; NumAgprs: 0
; TotalNumVgprs: 0
; ScratchSize: 0
; MemoryBound: 0
; FloatMode: 240
; IeeeMode: 1
; LDSByteSize: 0 bytes/workgroup (compile time only)
; SGPRBlocks: 0
; VGPRBlocks: 0
; NumSGPRsForWavesPerEU: 6
; NumVGPRsForWavesPerEU: 1
; AccumOffset: 4
; Occupancy: 8
; WaveLimiterHint : 0
; COMPUTE_PGM_RSRC2:SCRATCH_EN: 0
; COMPUTE_PGM_RSRC2:USER_SGPR: 2
; COMPUTE_PGM_RSRC2:TRAP_HANDLER: 0
; COMPUTE_PGM_RSRC2:TGID_X_EN: 1
; COMPUTE_PGM_RSRC2:TGID_Y_EN: 0
; COMPUTE_PGM_RSRC2:TGID_Z_EN: 0
; COMPUTE_PGM_RSRC2:TIDIG_COMP_CNT: 0
; COMPUTE_PGM_RSRC3_GFX90A:ACCUM_OFFSET: 0
; COMPUTE_PGM_RSRC3_GFX90A:TG_SPLIT: 0
	.section	.text._ZN7rocprim17ROCPRIM_400000_NS6detail17trampoline_kernelINS0_14default_configENS1_25partition_config_selectorILNS1_17partition_subalgoE8ElNS0_10empty_typeEbEEZZNS1_14partition_implILS5_8ELb0ES3_jPKlPS6_PKS6_NS0_5tupleIJPlS6_EEENSE_IJSB_SB_EEENS0_18inequality_wrapperIN6hipcub16HIPCUB_304000_NS8EqualityEEESF_JS6_EEE10hipError_tPvRmT3_T4_T5_T6_T7_T9_mT8_P12ihipStream_tbDpT10_ENKUlT_T0_E_clISt17integral_constantIbLb1EES15_IbLb0EEEEDaS11_S12_EUlS11_E_NS1_11comp_targetILNS1_3genE5ELNS1_11target_archE942ELNS1_3gpuE9ELNS1_3repE0EEENS1_30default_config_static_selectorELNS0_4arch9wavefront6targetE1EEEvT1_,"axG",@progbits,_ZN7rocprim17ROCPRIM_400000_NS6detail17trampoline_kernelINS0_14default_configENS1_25partition_config_selectorILNS1_17partition_subalgoE8ElNS0_10empty_typeEbEEZZNS1_14partition_implILS5_8ELb0ES3_jPKlPS6_PKS6_NS0_5tupleIJPlS6_EEENSE_IJSB_SB_EEENS0_18inequality_wrapperIN6hipcub16HIPCUB_304000_NS8EqualityEEESF_JS6_EEE10hipError_tPvRmT3_T4_T5_T6_T7_T9_mT8_P12ihipStream_tbDpT10_ENKUlT_T0_E_clISt17integral_constantIbLb1EES15_IbLb0EEEEDaS11_S12_EUlS11_E_NS1_11comp_targetILNS1_3genE5ELNS1_11target_archE942ELNS1_3gpuE9ELNS1_3repE0EEENS1_30default_config_static_selectorELNS0_4arch9wavefront6targetE1EEEvT1_,comdat
	.protected	_ZN7rocprim17ROCPRIM_400000_NS6detail17trampoline_kernelINS0_14default_configENS1_25partition_config_selectorILNS1_17partition_subalgoE8ElNS0_10empty_typeEbEEZZNS1_14partition_implILS5_8ELb0ES3_jPKlPS6_PKS6_NS0_5tupleIJPlS6_EEENSE_IJSB_SB_EEENS0_18inequality_wrapperIN6hipcub16HIPCUB_304000_NS8EqualityEEESF_JS6_EEE10hipError_tPvRmT3_T4_T5_T6_T7_T9_mT8_P12ihipStream_tbDpT10_ENKUlT_T0_E_clISt17integral_constantIbLb1EES15_IbLb0EEEEDaS11_S12_EUlS11_E_NS1_11comp_targetILNS1_3genE5ELNS1_11target_archE942ELNS1_3gpuE9ELNS1_3repE0EEENS1_30default_config_static_selectorELNS0_4arch9wavefront6targetE1EEEvT1_ ; -- Begin function _ZN7rocprim17ROCPRIM_400000_NS6detail17trampoline_kernelINS0_14default_configENS1_25partition_config_selectorILNS1_17partition_subalgoE8ElNS0_10empty_typeEbEEZZNS1_14partition_implILS5_8ELb0ES3_jPKlPS6_PKS6_NS0_5tupleIJPlS6_EEENSE_IJSB_SB_EEENS0_18inequality_wrapperIN6hipcub16HIPCUB_304000_NS8EqualityEEESF_JS6_EEE10hipError_tPvRmT3_T4_T5_T6_T7_T9_mT8_P12ihipStream_tbDpT10_ENKUlT_T0_E_clISt17integral_constantIbLb1EES15_IbLb0EEEEDaS11_S12_EUlS11_E_NS1_11comp_targetILNS1_3genE5ELNS1_11target_archE942ELNS1_3gpuE9ELNS1_3repE0EEENS1_30default_config_static_selectorELNS0_4arch9wavefront6targetE1EEEvT1_
	.globl	_ZN7rocprim17ROCPRIM_400000_NS6detail17trampoline_kernelINS0_14default_configENS1_25partition_config_selectorILNS1_17partition_subalgoE8ElNS0_10empty_typeEbEEZZNS1_14partition_implILS5_8ELb0ES3_jPKlPS6_PKS6_NS0_5tupleIJPlS6_EEENSE_IJSB_SB_EEENS0_18inequality_wrapperIN6hipcub16HIPCUB_304000_NS8EqualityEEESF_JS6_EEE10hipError_tPvRmT3_T4_T5_T6_T7_T9_mT8_P12ihipStream_tbDpT10_ENKUlT_T0_E_clISt17integral_constantIbLb1EES15_IbLb0EEEEDaS11_S12_EUlS11_E_NS1_11comp_targetILNS1_3genE5ELNS1_11target_archE942ELNS1_3gpuE9ELNS1_3repE0EEENS1_30default_config_static_selectorELNS0_4arch9wavefront6targetE1EEEvT1_
	.p2align	8
	.type	_ZN7rocprim17ROCPRIM_400000_NS6detail17trampoline_kernelINS0_14default_configENS1_25partition_config_selectorILNS1_17partition_subalgoE8ElNS0_10empty_typeEbEEZZNS1_14partition_implILS5_8ELb0ES3_jPKlPS6_PKS6_NS0_5tupleIJPlS6_EEENSE_IJSB_SB_EEENS0_18inequality_wrapperIN6hipcub16HIPCUB_304000_NS8EqualityEEESF_JS6_EEE10hipError_tPvRmT3_T4_T5_T6_T7_T9_mT8_P12ihipStream_tbDpT10_ENKUlT_T0_E_clISt17integral_constantIbLb1EES15_IbLb0EEEEDaS11_S12_EUlS11_E_NS1_11comp_targetILNS1_3genE5ELNS1_11target_archE942ELNS1_3gpuE9ELNS1_3repE0EEENS1_30default_config_static_selectorELNS0_4arch9wavefront6targetE1EEEvT1_,@function
_ZN7rocprim17ROCPRIM_400000_NS6detail17trampoline_kernelINS0_14default_configENS1_25partition_config_selectorILNS1_17partition_subalgoE8ElNS0_10empty_typeEbEEZZNS1_14partition_implILS5_8ELb0ES3_jPKlPS6_PKS6_NS0_5tupleIJPlS6_EEENSE_IJSB_SB_EEENS0_18inequality_wrapperIN6hipcub16HIPCUB_304000_NS8EqualityEEESF_JS6_EEE10hipError_tPvRmT3_T4_T5_T6_T7_T9_mT8_P12ihipStream_tbDpT10_ENKUlT_T0_E_clISt17integral_constantIbLb1EES15_IbLb0EEEEDaS11_S12_EUlS11_E_NS1_11comp_targetILNS1_3genE5ELNS1_11target_archE942ELNS1_3gpuE9ELNS1_3repE0EEENS1_30default_config_static_selectorELNS0_4arch9wavefront6targetE1EEEvT1_: ; @_ZN7rocprim17ROCPRIM_400000_NS6detail17trampoline_kernelINS0_14default_configENS1_25partition_config_selectorILNS1_17partition_subalgoE8ElNS0_10empty_typeEbEEZZNS1_14partition_implILS5_8ELb0ES3_jPKlPS6_PKS6_NS0_5tupleIJPlS6_EEENSE_IJSB_SB_EEENS0_18inequality_wrapperIN6hipcub16HIPCUB_304000_NS8EqualityEEESF_JS6_EEE10hipError_tPvRmT3_T4_T5_T6_T7_T9_mT8_P12ihipStream_tbDpT10_ENKUlT_T0_E_clISt17integral_constantIbLb1EES15_IbLb0EEEEDaS11_S12_EUlS11_E_NS1_11comp_targetILNS1_3genE5ELNS1_11target_archE942ELNS1_3gpuE9ELNS1_3repE0EEENS1_30default_config_static_selectorELNS0_4arch9wavefront6targetE1EEEvT1_
; %bb.0:
	s_load_dwordx2 s[8:9], s[0:1], 0x50
	s_load_dwordx4 s[4:7], s[0:1], 0x8
	s_load_dwordx4 s[20:23], s[0:1], 0x40
	s_load_dword s3, s[0:1], 0x68
	s_waitcnt lgkmcnt(0)
	v_mov_b32_e32 v3, s9
	s_lshl_b64 s[10:11], s[6:7], 3
	s_add_u32 s10, s4, s10
	s_mul_i32 s9, s3, 0xe00
	s_addc_u32 s11, s5, s11
	s_add_i32 s12, s3, -1
	s_add_i32 s3, s9, s6
	s_sub_i32 s3, s8, s3
	v_mov_b32_e32 v2, s8
	s_add_u32 s8, s6, s9
	s_addc_u32 s9, s7, 0
	s_cmp_eq_u32 s2, s12
	s_load_dwordx2 s[22:23], s[22:23], 0x0
	v_cmp_ge_u64_e32 vcc, s[8:9], v[2:3]
	s_cselect_b64 s[24:25], -1, 0
	s_mul_i32 s4, s2, 0xe00
	s_mov_b32 s5, 0
	s_and_b64 s[16:17], s[24:25], vcc
	s_xor_b64 s[26:27], s[16:17], -1
	s_lshl_b64 s[4:5], s[4:5], 3
	s_add_u32 s4, s10, s4
	s_mov_b64 s[8:9], -1
	s_addc_u32 s5, s11, s5
	s_and_b64 vcc, exec, s[26:27]
	s_cbranch_vccz .LBB243_2
; %bb.1:
	v_lshlrev_b32_e32 v2, 3, v0
	v_mov_b32_e32 v3, 0
	v_lshl_add_u64 v[4:5], s[4:5], 0, v[2:3]
	v_add_co_u32_e32 v8, vcc, 0x1000, v4
	global_load_dwordx2 v[6:7], v2, s[4:5]
	s_nop 0
	v_addc_co_u32_e32 v9, vcc, 0, v5, vcc
	v_add_co_u32_e32 v10, vcc, 0x2000, v4
	s_mov_b64 s[8:9], 0
	s_nop 0
	v_addc_co_u32_e32 v11, vcc, 0, v5, vcc
	v_add_co_u32_e32 v12, vcc, 0x3000, v4
	s_nop 1
	v_addc_co_u32_e32 v13, vcc, 0, v5, vcc
	v_add_co_u32_e32 v14, vcc, 0x4000, v4
	s_nop 1
	v_addc_co_u32_e32 v15, vcc, 0, v5, vcc
	global_load_dwordx2 v[16:17], v[8:9], off
	global_load_dwordx2 v[18:19], v[10:11], off
	;; [unrolled: 1-line block ×4, first 2 shown]
	v_add_co_u32_e32 v8, vcc, 0x5000, v4
	s_nop 1
	v_addc_co_u32_e32 v9, vcc, 0, v5, vcc
	v_add_co_u32_e32 v4, vcc, 0x6000, v4
	global_load_dwordx2 v[8:9], v[8:9], off
	s_nop 0
	v_addc_co_u32_e32 v5, vcc, 0, v5, vcc
	global_load_dwordx2 v[4:5], v[4:5], off
	s_waitcnt vmcnt(5)
	ds_write2st64_b64 v2, v[6:7], v[16:17] offset1:8
	s_waitcnt vmcnt(3)
	ds_write2st64_b64 v2, v[18:19], v[20:21] offset0:16 offset1:24
	s_waitcnt vmcnt(1)
	ds_write2st64_b64 v2, v[22:23], v[8:9] offset0:32 offset1:40
	s_waitcnt vmcnt(0)
	ds_write_b64 v2, v[4:5] offset:24576
	s_waitcnt lgkmcnt(0)
	s_barrier
.LBB243_2:
	s_andn2_b64 vcc, exec, s[8:9]
	s_addk_i32 s3, 0xe00
	s_cbranch_vccnz .LBB243_18
; %bb.3:
	v_cmp_gt_u32_e32 vcc, s3, v0
                                        ; implicit-def: $vgpr2_vgpr3_vgpr4_vgpr5_vgpr6_vgpr7_vgpr8_vgpr9_vgpr10_vgpr11_vgpr12_vgpr13_vgpr14_vgpr15_vgpr16_vgpr17
	s_and_saveexec_b64 s[8:9], vcc
	s_cbranch_execz .LBB243_5
; %bb.4:
	v_lshlrev_b32_e32 v1, 3, v0
	global_load_dwordx2 v[2:3], v1, s[4:5]
.LBB243_5:
	s_or_b64 exec, exec, s[8:9]
	v_or_b32_e32 v1, 0x200, v0
	v_cmp_gt_u32_e32 vcc, s3, v1
	s_and_saveexec_b64 s[8:9], vcc
	s_cbranch_execz .LBB243_7
; %bb.6:
	v_lshlrev_b32_e32 v1, 3, v1
	global_load_dwordx2 v[4:5], v1, s[4:5]
.LBB243_7:
	s_or_b64 exec, exec, s[8:9]
	v_or_b32_e32 v1, 0x400, v0
	v_cmp_gt_u32_e32 vcc, s3, v1
	;; [unrolled: 9-line block ×6, first 2 shown]
	s_and_saveexec_b64 s[8:9], vcc
	s_cbranch_execz .LBB243_17
; %bb.16:
	v_lshlrev_b32_e32 v1, 3, v1
	global_load_dwordx2 v[14:15], v1, s[4:5]
.LBB243_17:
	s_or_b64 exec, exec, s[8:9]
	v_lshlrev_b32_e32 v1, 3, v0
	s_waitcnt vmcnt(0)
	ds_write2st64_b64 v1, v[2:3], v[4:5] offset1:8
	ds_write2st64_b64 v1, v[6:7], v[8:9] offset0:16 offset1:24
	ds_write2st64_b64 v1, v[10:11], v[12:13] offset0:32 offset1:40
	ds_write_b64 v1, v[14:15] offset:24576
	s_waitcnt lgkmcnt(0)
	s_barrier
.LBB243_18:
	v_mul_u32_u24_e32 v18, 7, v0
	v_lshlrev_b32_e32 v1, 3, v18
	s_waitcnt lgkmcnt(0)
	ds_read2_b64 v[10:13], v1 offset1:1
	ds_read2_b64 v[6:9], v1 offset0:2 offset1:3
	ds_read2_b64 v[2:5], v1 offset0:4 offset1:5
	ds_read_b64 v[14:15], v1 offset:48
	s_cmp_lg_u32 s2, 0
	s_cselect_b64 s[30:31], -1, 0
	s_cmp_lg_u64 s[6:7], 0
	s_cselect_b64 s[6:7], -1, 0
	s_or_b64 s[6:7], s[30:31], s[6:7]
	v_mad_u32_u24 v20, v0, 7, 1
	v_mad_u32_u24 v19, v0, 7, 2
	;; [unrolled: 1-line block ×6, first 2 shown]
	s_mov_b64 s[18:19], 0
	s_and_b64 vcc, exec, s[6:7]
	s_waitcnt lgkmcnt(0)
	s_barrier
	s_cbranch_vccz .LBB243_23
; %bb.19:
	s_add_u32 s4, s4, -8
	s_addc_u32 s5, s5, -1
	s_load_dwordx2 s[6:7], s[4:5], 0x0
	v_lshlrev_b32_e32 v29, 3, v0
	s_and_b64 vcc, exec, s[26:27]
	ds_write_b64 v29, v[14:15]
	s_cbranch_vccz .LBB243_25
; %bb.20:
	v_cmp_ne_u32_e32 vcc, 0, v0
	s_waitcnt lgkmcnt(0)
	v_mov_b64_e32 v[16:17], s[6:7]
	s_barrier
	s_and_saveexec_b64 s[4:5], vcc
	s_cbranch_execz .LBB243_22
; %bb.21:
	v_add_u32_e32 v16, -8, v29
	ds_read_b64 v[16:17], v16
.LBB243_22:
	s_or_b64 exec, exec, s[4:5]
	v_cmp_ne_u64_e32 vcc, v[4:5], v[14:15]
	s_waitcnt lgkmcnt(0)
	v_cmp_ne_u64_e64 s[4:5], v[16:17], v[10:11]
	v_cndmask_b32_e64 v27, 0, 1, vcc
	v_cmp_ne_u64_e32 vcc, v[2:3], v[4:5]
	s_nop 1
	v_cndmask_b32_e64 v25, 0, 1, vcc
	v_cmp_ne_u64_e32 vcc, v[8:9], v[2:3]
	s_nop 1
	;; [unrolled: 3-line block ×3, first 2 shown]
	v_cndmask_b32_e64 v28, 0, 1, vcc
	v_cmp_ne_u64_e32 vcc, v[12:13], v[6:7]
	v_lshlrev_b16_e32 v16, 8, v28
	s_nop 0
	v_cndmask_b32_e64 v30, 0, 1, vcc
	v_cmp_ne_u64_e32 vcc, v[10:11], v[12:13]
	v_or_b32_sdwa v16, v30, v16 dst_sel:WORD_1 dst_unused:UNUSED_PAD src0_sel:DWORD src1_sel:DWORD
	s_nop 0
	v_cndmask_b32_e64 v31, 0, 1, vcc
	v_lshlrev_b16_e32 v17, 8, v31
	v_or_b32_e32 v28, v17, v16
	s_branch .LBB243_29
.LBB243_23:
                                        ; implicit-def: $sgpr4_sgpr5
                                        ; implicit-def: $vgpr27
                                        ; implicit-def: $vgpr25
                                        ; implicit-def: $vgpr26
                                        ; implicit-def: $vgpr28
	s_branch .LBB243_30
.LBB243_24:
                                        ; implicit-def: $vgpr16_vgpr17
	s_and_saveexec_b64 s[6:7], s[18:19]
	s_cbranch_execnz .LBB243_38
	s_branch .LBB243_39
.LBB243_25:
                                        ; implicit-def: $sgpr4_sgpr5
                                        ; implicit-def: $vgpr27
                                        ; implicit-def: $vgpr25
                                        ; implicit-def: $vgpr26
                                        ; implicit-def: $vgpr28
	s_cbranch_execz .LBB243_29
; %bb.26:
	v_cmp_ne_u32_e32 vcc, 0, v0
	s_waitcnt lgkmcnt(0)
	v_mov_b64_e32 v[16:17], s[6:7]
	s_barrier
	s_and_saveexec_b64 s[4:5], vcc
	s_cbranch_execz .LBB243_28
; %bb.27:
	v_add_u32_e32 v16, -8, v29
	ds_read_b64 v[16:17], v16
.LBB243_28:
	s_or_b64 exec, exec, s[4:5]
	v_cmp_gt_u32_e32 vcc, s3, v22
	v_cmp_ne_u64_e64 s[4:5], v[4:5], v[14:15]
	s_and_b64 s[4:5], vcc, s[4:5]
	v_cmp_gt_u32_e32 vcc, s3, v24
	v_cndmask_b32_e64 v27, 0, 1, s[4:5]
	v_cmp_ne_u64_e64 s[4:5], v[2:3], v[4:5]
	s_and_b64 s[4:5], vcc, s[4:5]
	v_cmp_gt_u32_e32 vcc, s3, v21
	v_cndmask_b32_e64 v25, 0, 1, s[4:5]
	;; [unrolled: 4-line block ×6, first 2 shown]
	s_waitcnt lgkmcnt(0)
	v_cmp_ne_u64_e64 s[4:5], v[16:17], v[10:11]
	v_lshlrev_b16_e32 v16, 8, v28
	v_or_b32_sdwa v16, v29, v16 dst_sel:WORD_1 dst_unused:UNUSED_PAD src0_sel:DWORD src1_sel:DWORD
	v_lshlrev_b16_e32 v17, 8, v30
	s_and_b64 s[4:5], vcc, s[4:5]
	v_or_b32_e32 v28, v17, v16
.LBB243_29:
	s_waitcnt lgkmcnt(0)
	s_mov_b64 s[18:19], -1
	s_cbranch_execnz .LBB243_24
.LBB243_30:
	s_movk_i32 s4, 0xffd0
	v_mad_i32_i24 v29, v0, s4, v1
	s_and_b64 vcc, exec, s[26:27]
	v_cmp_ne_u64_e64 s[14:15], v[4:5], v[14:15]
	v_cmp_ne_u64_e64 s[4:5], v[2:3], v[4:5]
	;; [unrolled: 1-line block ×6, first 2 shown]
	ds_write_b64 v29, v[14:15]
	s_cbranch_vccz .LBB243_34
; %bb.31:
	v_cndmask_b32_e64 v25, 0, 1, s[4:5]
	v_cndmask_b32_e64 v16, 0, 1, s[8:9]
	;; [unrolled: 1-line block ×5, first 2 shown]
	v_lshlrev_b16_e32 v17, 8, v25
	v_lshlrev_b16_e32 v16, 8, v16
	v_or_b32_e32 v17, v26, v17
	v_or_b32_sdwa v16, v28, v16 dst_sel:WORD_1 dst_unused:UNUSED_PAD src0_sel:DWORD src1_sel:DWORD
	v_lshlrev_b16_e32 v28, 8, v30
	v_and_b32_e32 v17, 0xffff, v17
	v_cndmask_b32_e64 v27, 0, 1, s[14:15]
	v_or_b32_e32 v28, 1, v28
	v_lshl_or_b32 v17, v27, 16, v17
	v_or_b32_sdwa v16, v28, v16 dst_sel:DWORD dst_unused:UNUSED_PAD src0_sel:WORD_0 src1_sel:DWORD
	v_cmp_ne_u32_e32 vcc, 0, v0
	s_waitcnt lgkmcnt(0)
	s_barrier
	s_waitcnt lgkmcnt(0)
                                        ; implicit-def: $sgpr4_sgpr5
                                        ; implicit-def: $vgpr28
	s_and_saveexec_b64 s[6:7], vcc
	s_xor_b64 s[6:7], exec, s[6:7]
	s_cbranch_execz .LBB243_33
; %bb.32:
	v_add_u32_e32 v17, -8, v29
	ds_read_b64 v[30:31], v17
	s_mov_b32 s4, 0x3020104
	v_perm_b32 v28, v16, v16, s4
	s_or_b64 s[18:19], s[18:19], exec
                                        ; implicit-def: $vgpr16_vgpr17
	s_waitcnt lgkmcnt(0)
	v_cmp_ne_u64_e32 vcc, v[30:31], v[10:11]
	s_and_b64 s[4:5], vcc, exec
.LBB243_33:
	s_or_b64 exec, exec, s[6:7]
	s_branch .LBB243_37
.LBB243_34:
                                        ; implicit-def: $sgpr4_sgpr5
                                        ; implicit-def: $vgpr27
                                        ; implicit-def: $vgpr25
                                        ; implicit-def: $vgpr26
                                        ; implicit-def: $vgpr28
                                        ; implicit-def: $vgpr16_vgpr17
	s_cbranch_execz .LBB243_37
; %bb.35:
	v_cmp_gt_u32_e64 s[6:7], s3, v24
	v_cmp_ne_u64_e64 s[8:9], v[2:3], v[4:5]
	s_and_b64 s[6:7], s[6:7], s[8:9]
	v_cndmask_b32_e64 v25, 0, 1, s[6:7]
	v_cmp_gt_u32_e64 s[6:7], s3, v21
	v_cmp_ne_u64_e64 s[8:9], v[8:9], v[2:3]
	s_and_b64 s[6:7], s[6:7], s[8:9]
	v_cndmask_b32_e64 v26, 0, 1, s[6:7]
	;; [unrolled: 4-line block ×4, first 2 shown]
	v_cmp_gt_u32_e64 s[6:7], s3, v20
	v_cmp_ne_u64_e64 s[8:9], v[10:11], v[12:13]
	s_and_b64 s[6:7], s[6:7], s[8:9]
	v_cmp_gt_u32_e32 vcc, s3, v22
	v_cmp_ne_u64_e64 s[4:5], v[4:5], v[14:15]
	v_cndmask_b32_e64 v30, 0, 1, s[6:7]
	v_lshlrev_b16_e32 v17, 8, v25
	v_lshlrev_b16_e32 v16, 8, v16
	v_or_b32_e32 v17, v26, v17
	s_and_b64 s[4:5], vcc, s[4:5]
	v_or_b32_sdwa v16, v28, v16 dst_sel:WORD_1 dst_unused:UNUSED_PAD src0_sel:DWORD src1_sel:DWORD
	v_lshlrev_b16_e32 v28, 8, v30
	v_and_b32_e32 v17, 0xffff, v17
	v_cndmask_b32_e64 v27, 0, 1, s[4:5]
	v_or_b32_e32 v28, 1, v28
	v_lshl_or_b32 v17, v27, 16, v17
	v_or_b32_sdwa v16, v28, v16 dst_sel:DWORD dst_unused:UNUSED_PAD src0_sel:WORD_0 src1_sel:DWORD
	v_cmp_ne_u32_e32 vcc, 0, v0
	s_waitcnt lgkmcnt(0)
	s_barrier
	s_waitcnt lgkmcnt(0)
                                        ; implicit-def: $sgpr4_sgpr5
                                        ; implicit-def: $vgpr28
	s_and_saveexec_b64 s[6:7], vcc
	s_cbranch_execz .LBB243_127
; %bb.36:
	v_add_u32_e32 v17, -8, v29
	ds_read_b64 v[30:31], v17
	s_mov_b32 s4, 0x3020104
	v_cmp_gt_u32_e32 vcc, s3, v18
	v_perm_b32 v28, v16, v16, s4
	s_or_b64 s[18:19], s[18:19], exec
	s_waitcnt lgkmcnt(0)
	v_cmp_ne_u64_e64 s[4:5], v[30:31], v[10:11]
	s_and_b64 s[4:5], vcc, s[4:5]
	s_and_b64 s[4:5], s[4:5], exec
                                        ; implicit-def: $vgpr16_vgpr17
	s_or_b64 exec, exec, s[6:7]
.LBB243_37:
	s_and_saveexec_b64 s[6:7], s[18:19]
	s_cbranch_execz .LBB243_39
.LBB243_38:
	v_lshlrev_b16_e32 v17, 8, v25
	v_and_b32_e32 v25, 0xff, v27
	v_or_b32_sdwa v17, v26, v17 dst_sel:DWORD dst_unused:UNUSED_PAD src0_sel:BYTE_0 src1_sel:DWORD
	v_lshlrev_b32_e32 v25, 16, v25
	v_cndmask_b32_e64 v16, 0, 1, s[4:5]
	s_movk_i32 s4, 0xff
	v_or_b32_sdwa v17, v17, v25 dst_sel:DWORD dst_unused:UNUSED_PAD src0_sel:WORD_0 src1_sel:DWORD
	v_lshrrev_b32_e32 v25, 24, v28
	v_lshlrev_b16_e32 v25, 8, v25
	v_and_b32_sdwa v26, v28, s4 dst_sel:DWORD dst_unused:UNUSED_PAD src0_sel:WORD_1 src1_sel:DWORD
	v_or_b32_sdwa v25, v26, v25 dst_sel:WORD_1 dst_unused:UNUSED_PAD src0_sel:DWORD src1_sel:DWORD
	v_mov_b32_e32 v26, 8
	v_lshrrev_b32_sdwa v26, v26, v28 dst_sel:BYTE_1 dst_unused:UNUSED_PAD src0_sel:DWORD src1_sel:DWORD
	s_nop 0
	v_or_b32_e32 v16, v16, v26
	v_or_b32_sdwa v16, v16, v25 dst_sel:DWORD dst_unused:UNUSED_PAD src0_sel:WORD_0 src1_sel:DWORD
.LBB243_39:
	s_or_b64 exec, exec, s[6:7]
	s_load_dwordx2 s[28:29], s[0:1], 0x60
	s_andn2_b64 vcc, exec, s[16:17]
	s_cbranch_vccnz .LBB243_41
; %bb.40:
	v_and_b32_e32 v25, 0xffff0000, v16
	v_cmp_gt_u32_e32 vcc, s3, v18
	s_mov_b32 s4, 0x40c0100
	s_nop 0
	v_cndmask_b32_e32 v18, v25, v16, vcc
	v_and_b32_e32 v18, 0xffff00ff, v18
	v_cmp_gt_u32_e32 vcc, s3, v20
	s_nop 1
	v_cndmask_b32_e32 v18, v18, v16, vcc
	v_lshrrev_b32_e32 v20, 24, v18
	v_perm_b32 v18, v20, v18, s4
	v_cmp_gt_u32_e32 vcc, s3, v19
	v_and_b32_e32 v19, 0xffffff00, v17
	s_nop 0
	v_cndmask_b32_e32 v18, v18, v16, vcc
	v_and_b32_e32 v18, 0xffffff, v18
	v_cmp_gt_u32_e32 vcc, s3, v23
	s_nop 1
	v_cndmask_b32_e32 v18, v18, v16, vcc
	v_cmp_gt_u32_e32 vcc, s3, v21
	s_nop 1
	v_cndmask_b32_e32 v19, v19, v17, vcc
	v_and_b32_e32 v19, 0xffff00ff, v19
	v_cndmask_b32_e32 v18, v18, v16, vcc
	v_cmp_gt_u32_e32 vcc, s3, v24
	s_nop 1
	v_cndmask_b32_e32 v19, v19, v17, vcc
	v_lshrrev_b32_e32 v20, 24, v19
	v_cndmask_b32_e32 v18, v18, v16, vcc
	v_perm_b32 v19, v20, v19, s4
	v_cmp_gt_u32_e32 vcc, s3, v22
	s_mov_b32 s3, 0x3020104
	s_nop 0
	v_cndmask_b32_e32 v16, v18, v16, vcc
	v_cndmask_b32_e32 v17, v19, v17, vcc
	v_mov_b32_e32 v18, 8
	v_lshrrev_b32_sdwa v18, v18, v17 dst_sel:BYTE_1 dst_unused:UNUSED_PAD src0_sel:DWORD src1_sel:DWORD
	v_perm_b32 v16, v16, v16, s3
	v_or_b32_sdwa v18, v17, v18 dst_sel:DWORD dst_unused:UNUSED_PAD src0_sel:BYTE_0 src1_sel:DWORD
	v_and_b32_e32 v18, 0xffff, v18
	v_bfe_u32 v17, v17, 16, 8
	v_lshl_or_b32 v17, v17, 16, v18
.LBB243_41:
	v_and_b32_e32 v29, 0xff, v16
	v_bfe_u32 v31, v16, 8, 8
	v_bfe_u32 v33, v16, 16, 8
	v_alignbit_b32 v18, v17, v16, 24
	v_and_b32_e32 v35, 0xff, v18
	v_and_b32_e32 v36, 0xff, v17
	v_add3_u32 v19, v31, v29, v33
	v_bfe_u32 v37, v17, 8, 8
	v_bfe_u32 v18, v17, 16, 8
	v_add3_u32 v19, v19, v35, v36
	v_add3_u32 v40, v19, v37, v18
	v_mbcnt_lo_u32_b32 v18, -1, 0
	v_mbcnt_hi_u32_b32 v38, -1, v18
	v_and_b32_e32 v18, 15, v38
	v_cmp_eq_u32_e64 s[14:15], 0, v18
	v_cmp_lt_u32_e64 s[12:13], 1, v18
	v_cmp_lt_u32_e64 s[10:11], 3, v18
	;; [unrolled: 1-line block ×3, first 2 shown]
	v_and_b32_e32 v18, 16, v38
	v_cmp_eq_u32_e64 s[6:7], 0, v18
	v_or_b32_e32 v18, 63, v0
	v_cmp_lt_u32_e64 s[18:19], 31, v38
	v_lshrrev_b32_e32 v39, 6, v0
	v_cmp_eq_u32_e64 s[4:5], v18, v0
	s_and_b64 vcc, exec, s[30:31]
	s_waitcnt lgkmcnt(0)
	s_barrier
	s_cbranch_vccz .LBB243_72
; %bb.42:
	v_mov_b32_dpp v18, v40 row_shr:1 row_mask:0xf bank_mask:0xf
	v_cndmask_b32_e64 v18, v18, 0, s[14:15]
	v_add_u32_e32 v18, v18, v40
	s_nop 1
	v_mov_b32_dpp v19, v18 row_shr:2 row_mask:0xf bank_mask:0xf
	v_cndmask_b32_e64 v19, 0, v19, s[12:13]
	v_add_u32_e32 v18, v18, v19
	s_nop 1
	;; [unrolled: 4-line block ×4, first 2 shown]
	v_mov_b32_dpp v19, v18 row_bcast:15 row_mask:0xf bank_mask:0xf
	v_cndmask_b32_e64 v19, v19, 0, s[6:7]
	v_add_u32_e32 v18, v18, v19
	s_nop 1
	v_mov_b32_dpp v19, v18 row_bcast:31 row_mask:0xf bank_mask:0xf
	v_cndmask_b32_e64 v19, 0, v19, s[18:19]
	v_add_u32_e32 v18, v18, v19
	s_and_saveexec_b64 s[16:17], s[4:5]
	s_cbranch_execz .LBB243_44
; %bb.43:
	v_lshlrev_b32_e32 v19, 2, v39
	ds_write_b32 v19, v18
.LBB243_44:
	s_or_b64 exec, exec, s[16:17]
	v_cmp_gt_u32_e32 vcc, 8, v0
	s_waitcnt lgkmcnt(0)
	s_barrier
	s_and_saveexec_b64 s[16:17], vcc
	s_cbranch_execz .LBB243_46
; %bb.45:
	v_lshlrev_b32_e32 v19, 2, v0
	ds_read_b32 v20, v19
	v_and_b32_e32 v21, 7, v38
	v_cmp_ne_u32_e32 vcc, 0, v21
	s_waitcnt lgkmcnt(0)
	v_mov_b32_dpp v22, v20 row_shr:1 row_mask:0xf bank_mask:0xf
	v_cndmask_b32_e32 v22, 0, v22, vcc
	v_add_u32_e32 v20, v22, v20
	v_cmp_lt_u32_e32 vcc, 1, v21
	s_nop 0
	v_mov_b32_dpp v22, v20 row_shr:2 row_mask:0xf bank_mask:0xf
	v_cndmask_b32_e32 v22, 0, v22, vcc
	v_add_u32_e32 v20, v20, v22
	v_cmp_lt_u32_e32 vcc, 3, v21
	s_nop 0
	v_mov_b32_dpp v22, v20 row_shr:4 row_mask:0xf bank_mask:0xf
	v_cndmask_b32_e32 v21, 0, v22, vcc
	v_add_u32_e32 v20, v20, v21
	ds_write_b32 v19, v20
.LBB243_46:
	s_or_b64 exec, exec, s[16:17]
	v_cmp_gt_u32_e32 vcc, 64, v0
	v_cmp_lt_u32_e64 s[16:17], 63, v0
	s_waitcnt lgkmcnt(0)
	s_barrier
	s_waitcnt lgkmcnt(0)
                                        ; implicit-def: $vgpr28
	s_and_saveexec_b64 s[30:31], s[16:17]
	s_cbranch_execz .LBB243_48
; %bb.47:
	v_lshl_add_u32 v19, v39, 2, -4
	ds_read_b32 v28, v19
	s_waitcnt lgkmcnt(0)
	v_add_u32_e32 v18, v28, v18
.LBB243_48:
	s_or_b64 exec, exec, s[30:31]
	v_add_u32_e32 v19, -1, v38
	v_and_b32_e32 v20, 64, v38
	v_cmp_lt_i32_e64 s[16:17], v19, v20
	s_nop 1
	v_cndmask_b32_e64 v19, v19, v38, s[16:17]
	v_lshlrev_b32_e32 v19, 2, v19
	ds_bpermute_b32 v30, v19, v18
	v_cmp_eq_u32_e64 s[16:17], 0, v38
	s_and_saveexec_b64 s[30:31], vcc
	s_cbranch_execz .LBB243_71
; %bb.49:
	v_mov_b32_e32 v27, 0
	ds_read_b32 v18, v27 offset:28
	s_and_saveexec_b64 s[34:35], s[16:17]
	s_cbranch_execz .LBB243_51
; %bb.50:
	s_add_i32 s36, s2, 64
	s_mov_b32 s37, 0
	s_lshl_b64 s[36:37], s[36:37], 3
	s_add_u32 s36, s28, s36
	v_mov_b32_e32 v19, 1
	s_addc_u32 s37, s29, s37
	s_waitcnt lgkmcnt(0)
	global_store_dwordx2 v27, v[18:19], s[36:37] sc1
.LBB243_51:
	s_or_b64 exec, exec, s[34:35]
	v_xad_u32 v20, v38, -1, s2
	v_add_u32_e32 v26, 64, v20
	v_lshl_add_u64 v[22:23], v[26:27], 3, s[28:29]
	global_load_dwordx2 v[24:25], v[22:23], off sc1
	s_waitcnt vmcnt(0)
	v_cmp_eq_u16_sdwa s[36:37], v25, v27 src0_sel:BYTE_0 src1_sel:DWORD
	s_and_saveexec_b64 s[34:35], s[36:37]
	s_cbranch_execz .LBB243_57
; %bb.52:
	s_mov_b32 s3, 1
	s_mov_b64 s[36:37], 0
	v_mov_b32_e32 v19, 0
.LBB243_53:                             ; =>This Loop Header: Depth=1
                                        ;     Child Loop BB243_54 Depth 2
	s_max_u32 s33, s3, 1
.LBB243_54:                             ;   Parent Loop BB243_53 Depth=1
                                        ; =>  This Inner Loop Header: Depth=2
	s_add_i32 s33, s33, -1
	s_cmp_eq_u32 s33, 0
	s_sleep 1
	s_cbranch_scc0 .LBB243_54
; %bb.55:                               ;   in Loop: Header=BB243_53 Depth=1
	global_load_dwordx2 v[24:25], v[22:23], off sc1
	s_cmp_lt_u32 s3, 32
	s_cselect_b64 s[38:39], -1, 0
	s_cmp_lg_u64 s[38:39], 0
	s_addc_u32 s3, s3, 0
	s_waitcnt vmcnt(0)
	v_cmp_ne_u16_sdwa s[38:39], v25, v19 src0_sel:BYTE_0 src1_sel:DWORD
	s_or_b64 s[36:37], s[38:39], s[36:37]
	s_andn2_b64 exec, exec, s[36:37]
	s_cbranch_execnz .LBB243_53
; %bb.56:
	s_or_b64 exec, exec, s[36:37]
.LBB243_57:
	s_or_b64 exec, exec, s[34:35]
	v_and_b32_e32 v34, 63, v38
	v_mov_b32_e32 v32, 2
	v_cmp_ne_u32_e32 vcc, 63, v34
	v_cmp_eq_u16_sdwa s[34:35], v25, v32 src0_sel:BYTE_0 src1_sel:DWORD
	v_lshlrev_b64 v[22:23], v38, -1
	v_addc_co_u32_e32 v26, vcc, 0, v38, vcc
	v_and_b32_e32 v19, s35, v23
	v_lshlrev_b32_e32 v41, 2, v26
	v_or_b32_e32 v19, 0x80000000, v19
	ds_bpermute_b32 v26, v41, v24
	v_and_b32_e32 v21, s34, v22
	v_ffbl_b32_e32 v19, v19
	v_add_u32_e32 v19, 32, v19
	v_ffbl_b32_e32 v21, v21
	v_min_u32_e32 v19, v21, v19
	v_cmp_lt_u32_e32 vcc, v34, v19
	v_add_u32_e32 v43, 2, v34
	v_add_u32_e32 v45, 4, v34
	s_waitcnt lgkmcnt(0)
	v_cndmask_b32_e32 v21, 0, v26, vcc
	v_cmp_gt_u32_e32 vcc, 62, v34
	v_add_u32_e32 v21, v21, v24
	v_add_u32_e32 v47, 8, v34
	v_cndmask_b32_e64 v24, 0, 1, vcc
	v_lshlrev_b32_e32 v24, 1, v24
	v_add_lshl_u32 v42, v24, v38, 2
	ds_bpermute_b32 v24, v42, v21
	v_cmp_le_u32_e32 vcc, v43, v19
	v_add_u32_e32 v49, 16, v34
	v_add_u32_e32 v51, 32, v34
	s_waitcnt lgkmcnt(0)
	v_cndmask_b32_e32 v24, 0, v24, vcc
	v_cmp_gt_u32_e32 vcc, 60, v34
	v_add_u32_e32 v21, v21, v24
	s_nop 0
	v_cndmask_b32_e64 v24, 0, 1, vcc
	v_lshlrev_b32_e32 v24, 2, v24
	v_add_lshl_u32 v44, v24, v38, 2
	ds_bpermute_b32 v24, v44, v21
	v_cmp_le_u32_e32 vcc, v45, v19
	s_waitcnt lgkmcnt(0)
	s_nop 0
	v_cndmask_b32_e32 v24, 0, v24, vcc
	v_cmp_gt_u32_e32 vcc, 56, v34
	v_add_u32_e32 v21, v21, v24
	s_nop 0
	v_cndmask_b32_e64 v24, 0, 1, vcc
	v_lshlrev_b32_e32 v24, 3, v24
	v_add_lshl_u32 v46, v24, v38, 2
	ds_bpermute_b32 v24, v46, v21
	v_cmp_le_u32_e32 vcc, v47, v19
	s_waitcnt lgkmcnt(0)
	s_nop 0
	;; [unrolled: 11-line block ×4, first 2 shown]
	v_cndmask_b32_e32 v19, 0, v24, vcc
	v_add_u32_e32 v24, v21, v19
	v_mov_b32_e32 v21, 0
	s_branch .LBB243_59
.LBB243_58:                             ;   in Loop: Header=BB243_59 Depth=1
	s_or_b64 exec, exec, s[34:35]
	v_cmp_eq_u16_sdwa s[34:35], v25, v32 src0_sel:BYTE_0 src1_sel:DWORD
	ds_bpermute_b32 v52, v41, v24
	v_subrev_u32_e32 v20, 64, v20
	v_and_b32_e32 v26, s35, v23
	v_or_b32_e32 v26, 0x80000000, v26
	v_and_b32_e32 v27, s34, v22
	v_ffbl_b32_e32 v26, v26
	v_add_u32_e32 v26, 32, v26
	v_ffbl_b32_e32 v27, v27
	v_min_u32_e32 v26, v27, v26
	v_cmp_lt_u32_e32 vcc, v34, v26
	s_waitcnt lgkmcnt(0)
	s_nop 0
	v_cndmask_b32_e32 v27, 0, v52, vcc
	v_add_u32_e32 v24, v27, v24
	ds_bpermute_b32 v27, v42, v24
	v_cmp_le_u32_e32 vcc, v43, v26
	s_waitcnt lgkmcnt(0)
	s_nop 0
	v_cndmask_b32_e32 v27, 0, v27, vcc
	v_add_u32_e32 v24, v24, v27
	ds_bpermute_b32 v27, v44, v24
	v_cmp_le_u32_e32 vcc, v45, v26
	;; [unrolled: 6-line block ×5, first 2 shown]
	s_waitcnt lgkmcnt(0)
	s_nop 0
	v_cndmask_b32_e32 v26, 0, v27, vcc
	v_add3_u32 v24, v26, v19, v24
.LBB243_59:                             ; =>This Loop Header: Depth=1
                                        ;     Child Loop BB243_62 Depth 2
                                        ;       Child Loop BB243_63 Depth 3
	v_cmp_ne_u16_sdwa s[34:35], v25, v32 src0_sel:BYTE_0 src1_sel:DWORD
	s_nop 1
	v_cndmask_b32_e64 v19, 0, 1, s[34:35]
	;;#ASMSTART
	;;#ASMEND
	s_nop 0
	v_cmp_ne_u32_e32 vcc, 0, v19
	s_cmp_lg_u64 vcc, exec
	v_mov_b32_e32 v19, v24
	s_cbranch_scc1 .LBB243_66
; %bb.60:                               ;   in Loop: Header=BB243_59 Depth=1
	v_lshl_add_u64 v[26:27], v[20:21], 3, s[28:29]
	global_load_dwordx2 v[24:25], v[26:27], off sc1
	s_waitcnt vmcnt(0)
	v_cmp_eq_u16_sdwa s[36:37], v25, v21 src0_sel:BYTE_0 src1_sel:DWORD
	s_and_saveexec_b64 s[34:35], s[36:37]
	s_cbranch_execz .LBB243_58
; %bb.61:                               ;   in Loop: Header=BB243_59 Depth=1
	s_mov_b32 s3, 1
	s_mov_b64 s[36:37], 0
.LBB243_62:                             ;   Parent Loop BB243_59 Depth=1
                                        ; =>  This Loop Header: Depth=2
                                        ;       Child Loop BB243_63 Depth 3
	s_max_u32 s33, s3, 1
.LBB243_63:                             ;   Parent Loop BB243_59 Depth=1
                                        ;     Parent Loop BB243_62 Depth=2
                                        ; =>    This Inner Loop Header: Depth=3
	s_add_i32 s33, s33, -1
	s_cmp_eq_u32 s33, 0
	s_sleep 1
	s_cbranch_scc0 .LBB243_63
; %bb.64:                               ;   in Loop: Header=BB243_62 Depth=2
	global_load_dwordx2 v[24:25], v[26:27], off sc1
	s_cmp_lt_u32 s3, 32
	s_cselect_b64 s[38:39], -1, 0
	s_cmp_lg_u64 s[38:39], 0
	s_addc_u32 s3, s3, 0
	s_waitcnt vmcnt(0)
	v_cmp_ne_u16_sdwa s[38:39], v25, v21 src0_sel:BYTE_0 src1_sel:DWORD
	s_or_b64 s[36:37], s[38:39], s[36:37]
	s_andn2_b64 exec, exec, s[36:37]
	s_cbranch_execnz .LBB243_62
; %bb.65:                               ;   in Loop: Header=BB243_59 Depth=1
	s_or_b64 exec, exec, s[36:37]
	s_branch .LBB243_58
.LBB243_66:                             ;   in Loop: Header=BB243_59 Depth=1
                                        ; implicit-def: $vgpr24
                                        ; implicit-def: $vgpr25
	s_cbranch_execz .LBB243_59
; %bb.67:
	s_and_saveexec_b64 s[34:35], s[16:17]
	s_cbranch_execz .LBB243_69
; %bb.68:
	s_add_i32 s2, s2, 64
	s_mov_b32 s3, 0
	s_lshl_b64 s[2:3], s[2:3], 3
	s_add_u32 s2, s28, s2
	v_add_u32_e32 v20, v19, v18
	v_mov_b32_e32 v21, 2
	s_addc_u32 s3, s29, s3
	v_mov_b32_e32 v22, 0
	global_store_dwordx2 v22, v[20:21], s[2:3] sc1
	ds_write_b64 v22, v[18:19] offset:28672
.LBB243_69:
	s_or_b64 exec, exec, s[34:35]
	v_cmp_eq_u32_e32 vcc, 0, v0
	s_and_b64 exec, exec, vcc
	s_cbranch_execz .LBB243_71
; %bb.70:
	v_mov_b32_e32 v18, 0
	ds_write_b32 v18, v19 offset:28
.LBB243_71:
	s_or_b64 exec, exec, s[30:31]
	v_mov_b32_e32 v18, 0
	s_waitcnt lgkmcnt(0)
	s_barrier
	ds_read_b32 v19, v18 offset:28
	v_cndmask_b32_e64 v20, v30, v28, s[16:17]
	v_cmp_ne_u32_e32 vcc, 0, v0
	s_waitcnt lgkmcnt(0)
	s_barrier
	v_cndmask_b32_e32 v20, 0, v20, vcc
	v_add_u32_e32 v34, v19, v20
	v_add_u32_e32 v32, v34, v29
	;; [unrolled: 1-line block ×3, first 2 shown]
	ds_read_b64 v[18:19], v18 offset:28672
	v_add_u32_e32 v28, v30, v33
	v_add_u32_e32 v26, v28, v35
	;; [unrolled: 1-line block ×4, first 2 shown]
	s_load_dwordx2 s[2:3], s[0:1], 0x28
	v_lshrrev_b64 v[20:21], 24, v[16:17]
	s_branch .LBB243_82
.LBB243_72:
                                        ; implicit-def: $vgpr19
                                        ; implicit-def: $vgpr22
                                        ; implicit-def: $vgpr24
                                        ; implicit-def: $vgpr26
                                        ; implicit-def: $vgpr28
                                        ; implicit-def: $vgpr30
                                        ; implicit-def: $vgpr32
                                        ; implicit-def: $vgpr34
	s_load_dwordx2 s[2:3], s[0:1], 0x28
	v_lshrrev_b64 v[20:21], 24, v[16:17]
	s_cbranch_execz .LBB243_82
; %bb.73:
	s_waitcnt lgkmcnt(0)
	v_mov_b32_dpp v18, v40 row_shr:1 row_mask:0xf bank_mask:0xf
	v_cndmask_b32_e64 v18, v18, 0, s[14:15]
	v_add_u32_e32 v18, v18, v40
	s_nop 1
	v_mov_b32_dpp v19, v18 row_shr:2 row_mask:0xf bank_mask:0xf
	v_cndmask_b32_e64 v19, 0, v19, s[12:13]
	v_add_u32_e32 v18, v18, v19
	s_nop 1
	;; [unrolled: 4-line block ×4, first 2 shown]
	v_mov_b32_dpp v19, v18 row_bcast:15 row_mask:0xf bank_mask:0xf
	v_cndmask_b32_e64 v19, v19, 0, s[6:7]
	v_add_u32_e32 v18, v18, v19
	s_nop 1
	v_mov_b32_dpp v19, v18 row_bcast:31 row_mask:0xf bank_mask:0xf
	v_cndmask_b32_e64 v19, 0, v19, s[18:19]
	v_add_u32_e32 v18, v18, v19
	s_and_saveexec_b64 s[0:1], s[4:5]
	s_cbranch_execz .LBB243_75
; %bb.74:
	v_lshlrev_b32_e32 v19, 2, v39
	ds_write_b32 v19, v18
.LBB243_75:
	s_or_b64 exec, exec, s[0:1]
	v_cmp_gt_u32_e32 vcc, 8, v0
	s_waitcnt lgkmcnt(0)
	s_barrier
	s_and_saveexec_b64 s[0:1], vcc
	s_cbranch_execz .LBB243_77
; %bb.76:
	s_movk_i32 s4, 0xffcc
	v_mad_i32_i24 v1, v0, s4, v1
	ds_read_b32 v19, v1
	v_and_b32_e32 v21, 7, v38
	v_cmp_ne_u32_e32 vcc, 0, v21
	s_waitcnt lgkmcnt(0)
	v_mov_b32_dpp v22, v19 row_shr:1 row_mask:0xf bank_mask:0xf
	v_cndmask_b32_e32 v22, 0, v22, vcc
	v_add_u32_e32 v19, v22, v19
	v_cmp_lt_u32_e32 vcc, 1, v21
	s_nop 0
	v_mov_b32_dpp v22, v19 row_shr:2 row_mask:0xf bank_mask:0xf
	v_cndmask_b32_e32 v22, 0, v22, vcc
	v_add_u32_e32 v19, v19, v22
	v_cmp_lt_u32_e32 vcc, 3, v21
	s_nop 0
	v_mov_b32_dpp v22, v19 row_shr:4 row_mask:0xf bank_mask:0xf
	v_cndmask_b32_e32 v21, 0, v22, vcc
	v_add_u32_e32 v19, v19, v21
	ds_write_b32 v1, v19
.LBB243_77:
	s_or_b64 exec, exec, s[0:1]
	v_cmp_lt_u32_e32 vcc, 63, v0
	v_mov_b32_e32 v19, 0
	v_mov_b32_e32 v1, 0
	s_waitcnt lgkmcnt(0)
	s_barrier
	s_and_saveexec_b64 s[0:1], vcc
	s_cbranch_execz .LBB243_79
; %bb.78:
	v_lshl_add_u32 v1, v39, 2, -4
	ds_read_b32 v1, v1
.LBB243_79:
	s_or_b64 exec, exec, s[0:1]
	v_add_u32_e32 v21, -1, v38
	v_and_b32_e32 v22, 64, v38
	v_cmp_lt_i32_e32 vcc, v21, v22
	s_waitcnt lgkmcnt(0)
	v_add_u32_e32 v18, v1, v18
	v_cndmask_b32_e32 v21, v21, v38, vcc
	v_lshlrev_b32_e32 v21, 2, v21
	ds_bpermute_b32 v21, v21, v18
	ds_read_b32 v18, v19 offset:28
	v_cmp_eq_u32_e32 vcc, 0, v0
	s_and_saveexec_b64 s[0:1], vcc
	s_cbranch_execz .LBB243_81
; %bb.80:
	v_mov_b32_e32 v22, 0
	v_mov_b32_e32 v19, 2
	s_waitcnt lgkmcnt(0)
	global_store_dwordx2 v22, v[18:19], s[28:29] offset:512 sc1
.LBB243_81:
	s_or_b64 exec, exec, s[0:1]
	v_cmp_eq_u32_e64 s[0:1], 0, v38
	v_mov_b32_e32 v19, 0
	s_waitcnt lgkmcnt(0)
	v_cndmask_b32_e64 v1, v21, v1, s[0:1]
	v_cndmask_b32_e64 v34, v1, 0, vcc
	v_add_u32_e32 v32, v34, v29
	v_add_u32_e32 v30, v32, v31
	;; [unrolled: 1-line block ×6, first 2 shown]
	s_barrier
.LBB243_82:
	s_movk_i32 s0, 0x201
	s_waitcnt lgkmcnt(0)
	v_cmp_gt_u32_e32 vcc, s0, v18
	v_lshrrev_b32_e32 v21, 8, v16
	v_lshrrev_b32_e32 v1, 8, v17
	s_mov_b64 s[0:1], -1
	s_cbranch_vccnz .LBB243_86
; %bb.83:
	s_and_b64 vcc, exec, s[0:1]
	s_cbranch_vccnz .LBB243_108
.LBB243_84:
	v_cmp_eq_u32_e32 vcc, 0, v0
	s_and_b64 s[0:1], vcc, s[24:25]
	s_and_saveexec_b64 s[2:3], s[0:1]
	s_cbranch_execnz .LBB243_126
.LBB243_85:
	s_endpgm
.LBB243_86:
	v_add_u32_e32 v23, v19, v18
	v_cmp_lt_u32_e32 vcc, v34, v23
	s_or_b64 s[4:5], s[26:27], vcc
	s_and_saveexec_b64 s[0:1], s[4:5]
	s_cbranch_execz .LBB243_89
; %bb.87:
	v_and_b32_e32 v25, 1, v16
	v_cmp_eq_u32_e32 vcc, 1, v25
	s_and_b64 exec, exec, vcc
	s_cbranch_execz .LBB243_89
; %bb.88:
	s_lshl_b64 s[4:5], s[22:23], 3
	s_add_u32 s4, s2, s4
	s_addc_u32 s5, s3, s5
	v_mov_b32_e32 v35, 0
	v_lshl_add_u64 v[36:37], v[34:35], 3, s[4:5]
	global_store_dwordx2 v[36:37], v[10:11], off
.LBB243_89:
	s_or_b64 exec, exec, s[0:1]
	v_cmp_lt_u32_e32 vcc, v32, v23
	s_or_b64 s[4:5], s[26:27], vcc
	s_and_saveexec_b64 s[0:1], s[4:5]
	s_cbranch_execz .LBB243_92
; %bb.90:
	v_and_b32_e32 v25, 1, v21
	v_cmp_eq_u32_e32 vcc, 1, v25
	s_and_b64 exec, exec, vcc
	s_cbranch_execz .LBB243_92
; %bb.91:
	s_lshl_b64 s[4:5], s[22:23], 3
	s_add_u32 s4, s2, s4
	s_addc_u32 s5, s3, s5
	v_mov_b32_e32 v33, 0
	v_lshl_add_u64 v[36:37], v[32:33], 3, s[4:5]
	global_store_dwordx2 v[36:37], v[12:13], off
.LBB243_92:
	s_or_b64 exec, exec, s[0:1]
	v_cmp_lt_u32_e32 vcc, v30, v23
	s_or_b64 s[4:5], s[26:27], vcc
	s_and_saveexec_b64 s[0:1], s[4:5]
	s_cbranch_execz .LBB243_95
; %bb.93:
	v_mov_b32_e32 v25, 1
	v_and_b32_sdwa v25, v25, v16 dst_sel:DWORD dst_unused:UNUSED_PAD src0_sel:DWORD src1_sel:WORD_1
	v_cmp_eq_u32_e32 vcc, 1, v25
	s_and_b64 exec, exec, vcc
	s_cbranch_execz .LBB243_95
; %bb.94:
	s_lshl_b64 s[4:5], s[22:23], 3
	s_add_u32 s4, s2, s4
	s_addc_u32 s5, s3, s5
	v_mov_b32_e32 v31, 0
	v_lshl_add_u64 v[36:37], v[30:31], 3, s[4:5]
	global_store_dwordx2 v[36:37], v[6:7], off
.LBB243_95:
	s_or_b64 exec, exec, s[0:1]
	v_cmp_lt_u32_e32 vcc, v28, v23
	s_or_b64 s[4:5], s[26:27], vcc
	s_and_saveexec_b64 s[0:1], s[4:5]
	s_cbranch_execz .LBB243_98
; %bb.96:
	v_and_b32_e32 v25, 1, v20
	v_cmp_eq_u32_e32 vcc, 1, v25
	s_and_b64 exec, exec, vcc
	s_cbranch_execz .LBB243_98
; %bb.97:
	s_lshl_b64 s[4:5], s[22:23], 3
	s_add_u32 s4, s2, s4
	s_addc_u32 s5, s3, s5
	v_mov_b32_e32 v29, 0
	v_lshl_add_u64 v[36:37], v[28:29], 3, s[4:5]
	global_store_dwordx2 v[36:37], v[8:9], off
.LBB243_98:
	s_or_b64 exec, exec, s[0:1]
	v_cmp_lt_u32_e32 vcc, v26, v23
	s_or_b64 s[4:5], s[26:27], vcc
	s_and_saveexec_b64 s[0:1], s[4:5]
	s_cbranch_execz .LBB243_101
; %bb.99:
	v_and_b32_e32 v25, 1, v17
	v_cmp_eq_u32_e32 vcc, 1, v25
	s_and_b64 exec, exec, vcc
	s_cbranch_execz .LBB243_101
; %bb.100:
	s_lshl_b64 s[4:5], s[22:23], 3
	s_add_u32 s4, s2, s4
	s_addc_u32 s5, s3, s5
	v_mov_b32_e32 v27, 0
	v_lshl_add_u64 v[36:37], v[26:27], 3, s[4:5]
	global_store_dwordx2 v[36:37], v[2:3], off
.LBB243_101:
	;; [unrolled: 18-line block ×3, first 2 shown]
	s_or_b64 exec, exec, s[0:1]
	v_cmp_lt_u32_e32 vcc, v22, v23
	s_or_b64 s[4:5], s[26:27], vcc
	s_and_saveexec_b64 s[0:1], s[4:5]
	s_cbranch_execz .LBB243_107
; %bb.105:
	v_mov_b32_e32 v23, 1
	v_and_b32_sdwa v23, v23, v17 dst_sel:DWORD dst_unused:UNUSED_PAD src0_sel:DWORD src1_sel:WORD_1
	v_cmp_eq_u32_e32 vcc, 1, v23
	s_and_b64 exec, exec, vcc
	s_cbranch_execz .LBB243_107
; %bb.106:
	s_lshl_b64 s[4:5], s[22:23], 3
	s_add_u32 s4, s2, s4
	s_addc_u32 s5, s3, s5
	v_mov_b32_e32 v23, 0
	v_lshl_add_u64 v[36:37], v[22:23], 3, s[4:5]
	global_store_dwordx2 v[36:37], v[14:15], off
.LBB243_107:
	s_or_b64 exec, exec, s[0:1]
	s_branch .LBB243_84
.LBB243_108:
	v_and_b32_e32 v23, 1, v16
	v_cmp_eq_u32_e32 vcc, 1, v23
	s_and_saveexec_b64 s[0:1], vcc
	s_cbranch_execz .LBB243_110
; %bb.109:
	v_sub_u32_e32 v23, v34, v19
	v_lshlrev_b32_e32 v23, 3, v23
	ds_write_b64 v23, v[10:11]
.LBB243_110:
	s_or_b64 exec, exec, s[0:1]
	v_and_b32_e32 v10, 1, v21
	v_cmp_eq_u32_e32 vcc, 1, v10
	s_and_saveexec_b64 s[0:1], vcc
	s_cbranch_execz .LBB243_112
; %bb.111:
	v_sub_u32_e32 v10, v32, v19
	v_lshlrev_b32_e32 v10, 3, v10
	ds_write_b64 v10, v[12:13]
.LBB243_112:
	s_or_b64 exec, exec, s[0:1]
	v_mov_b32_e32 v10, 1
	v_and_b32_sdwa v10, v10, v16 dst_sel:DWORD dst_unused:UNUSED_PAD src0_sel:DWORD src1_sel:WORD_1
	v_cmp_eq_u32_e32 vcc, 1, v10
	s_and_saveexec_b64 s[0:1], vcc
	s_cbranch_execz .LBB243_114
; %bb.113:
	v_sub_u32_e32 v10, v30, v19
	v_lshlrev_b32_e32 v10, 3, v10
	ds_write_b64 v10, v[6:7]
.LBB243_114:
	s_or_b64 exec, exec, s[0:1]
	v_and_b32_e32 v6, 1, v20
	v_cmp_eq_u32_e32 vcc, 1, v6
	s_and_saveexec_b64 s[0:1], vcc
	s_cbranch_execz .LBB243_116
; %bb.115:
	v_sub_u32_e32 v6, v28, v19
	v_lshlrev_b32_e32 v6, 3, v6
	ds_write_b64 v6, v[8:9]
.LBB243_116:
	s_or_b64 exec, exec, s[0:1]
	v_and_b32_e32 v6, 1, v17
	;; [unrolled: 10-line block ×3, first 2 shown]
	v_cmp_eq_u32_e32 vcc, 1, v1
	s_and_saveexec_b64 s[0:1], vcc
	s_cbranch_execz .LBB243_120
; %bb.119:
	v_sub_u32_e32 v1, v24, v19
	v_lshlrev_b32_e32 v1, 3, v1
	ds_write_b64 v1, v[4:5]
.LBB243_120:
	s_or_b64 exec, exec, s[0:1]
	v_mov_b32_e32 v1, 1
	v_and_b32_sdwa v1, v1, v17 dst_sel:DWORD dst_unused:UNUSED_PAD src0_sel:DWORD src1_sel:WORD_1
	v_cmp_eq_u32_e32 vcc, 1, v1
	s_and_saveexec_b64 s[0:1], vcc
	s_cbranch_execz .LBB243_122
; %bb.121:
	v_sub_u32_e32 v1, v22, v19
	v_lshlrev_b32_e32 v1, 3, v1
	ds_write_b64 v1, v[14:15]
.LBB243_122:
	s_or_b64 exec, exec, s[0:1]
	v_cmp_lt_u32_e32 vcc, v0, v18
	s_waitcnt lgkmcnt(0)
	s_barrier
	s_and_saveexec_b64 s[0:1], vcc
	s_cbranch_execz .LBB243_125
; %bb.123:
	v_mov_b32_e32 v5, 0
	v_mov_b32_e32 v4, v19
	s_lshl_b64 s[4:5], s[22:23], 3
	v_lshlrev_b64 v[6:7], 3, v[4:5]
	v_lshl_add_u64 v[6:7], s[4:5], 0, v[6:7]
	v_lshlrev_b32_e32 v2, 3, v0
	v_mov_b32_e32 v3, v5
	v_lshl_add_u64 v[4:5], s[2:3], 0, v[6:7]
	v_lshl_add_u64 v[4:5], v[4:5], 0, v[2:3]
	s_mov_b64 s[2:3], 0
	s_mov_b64 s[4:5], 0x1000
	v_mov_b32_e32 v1, v0
.LBB243_124:                            ; =>This Inner Loop Header: Depth=1
	ds_read_b64 v[6:7], v2
	v_add_u32_e32 v1, 0x200, v1
	v_cmp_ge_u32_e32 vcc, v1, v18
	v_add_u32_e32 v2, 0x1000, v2
	s_or_b64 s[2:3], vcc, s[2:3]
	s_waitcnt lgkmcnt(0)
	global_store_dwordx2 v[4:5], v[6:7], off
	v_lshl_add_u64 v[4:5], v[4:5], 0, s[4:5]
	s_andn2_b64 exec, exec, s[2:3]
	s_cbranch_execnz .LBB243_124
.LBB243_125:
	s_or_b64 exec, exec, s[0:1]
	v_cmp_eq_u32_e32 vcc, 0, v0
	s_and_b64 s[0:1], vcc, s[24:25]
	s_and_saveexec_b64 s[2:3], s[0:1]
	s_cbranch_execz .LBB243_85
.LBB243_126:
	v_mov_b32_e32 v1, 0
	v_mov_b32_e32 v0, v18
	v_lshl_add_u64 v[2:3], s[22:23], 0, v[0:1]
	v_mov_b32_e32 v0, v19
	v_lshl_add_u64 v[2:3], v[2:3], 0, v[0:1]
	global_store_dwordx2 v1, v[2:3], s[20:21]
	s_endpgm
.LBB243_127:
	s_or_b64 exec, exec, s[6:7]
	s_and_saveexec_b64 s[6:7], s[18:19]
	s_cbranch_execnz .LBB243_38
	s_branch .LBB243_39
	.section	.rodata,"a",@progbits
	.p2align	6, 0x0
	.amdhsa_kernel _ZN7rocprim17ROCPRIM_400000_NS6detail17trampoline_kernelINS0_14default_configENS1_25partition_config_selectorILNS1_17partition_subalgoE8ElNS0_10empty_typeEbEEZZNS1_14partition_implILS5_8ELb0ES3_jPKlPS6_PKS6_NS0_5tupleIJPlS6_EEENSE_IJSB_SB_EEENS0_18inequality_wrapperIN6hipcub16HIPCUB_304000_NS8EqualityEEESF_JS6_EEE10hipError_tPvRmT3_T4_T5_T6_T7_T9_mT8_P12ihipStream_tbDpT10_ENKUlT_T0_E_clISt17integral_constantIbLb1EES15_IbLb0EEEEDaS11_S12_EUlS11_E_NS1_11comp_targetILNS1_3genE5ELNS1_11target_archE942ELNS1_3gpuE9ELNS1_3repE0EEENS1_30default_config_static_selectorELNS0_4arch9wavefront6targetE1EEEvT1_
		.amdhsa_group_segment_fixed_size 28680
		.amdhsa_private_segment_fixed_size 0
		.amdhsa_kernarg_size 112
		.amdhsa_user_sgpr_count 2
		.amdhsa_user_sgpr_dispatch_ptr 0
		.amdhsa_user_sgpr_queue_ptr 0
		.amdhsa_user_sgpr_kernarg_segment_ptr 1
		.amdhsa_user_sgpr_dispatch_id 0
		.amdhsa_user_sgpr_kernarg_preload_length 0
		.amdhsa_user_sgpr_kernarg_preload_offset 0
		.amdhsa_user_sgpr_private_segment_size 0
		.amdhsa_uses_dynamic_stack 0
		.amdhsa_enable_private_segment 0
		.amdhsa_system_sgpr_workgroup_id_x 1
		.amdhsa_system_sgpr_workgroup_id_y 0
		.amdhsa_system_sgpr_workgroup_id_z 0
		.amdhsa_system_sgpr_workgroup_info 0
		.amdhsa_system_vgpr_workitem_id 0
		.amdhsa_next_free_vgpr 53
		.amdhsa_next_free_sgpr 40
		.amdhsa_accum_offset 56
		.amdhsa_reserve_vcc 1
		.amdhsa_float_round_mode_32 0
		.amdhsa_float_round_mode_16_64 0
		.amdhsa_float_denorm_mode_32 3
		.amdhsa_float_denorm_mode_16_64 3
		.amdhsa_dx10_clamp 1
		.amdhsa_ieee_mode 1
		.amdhsa_fp16_overflow 0
		.amdhsa_tg_split 0
		.amdhsa_exception_fp_ieee_invalid_op 0
		.amdhsa_exception_fp_denorm_src 0
		.amdhsa_exception_fp_ieee_div_zero 0
		.amdhsa_exception_fp_ieee_overflow 0
		.amdhsa_exception_fp_ieee_underflow 0
		.amdhsa_exception_fp_ieee_inexact 0
		.amdhsa_exception_int_div_zero 0
	.end_amdhsa_kernel
	.section	.text._ZN7rocprim17ROCPRIM_400000_NS6detail17trampoline_kernelINS0_14default_configENS1_25partition_config_selectorILNS1_17partition_subalgoE8ElNS0_10empty_typeEbEEZZNS1_14partition_implILS5_8ELb0ES3_jPKlPS6_PKS6_NS0_5tupleIJPlS6_EEENSE_IJSB_SB_EEENS0_18inequality_wrapperIN6hipcub16HIPCUB_304000_NS8EqualityEEESF_JS6_EEE10hipError_tPvRmT3_T4_T5_T6_T7_T9_mT8_P12ihipStream_tbDpT10_ENKUlT_T0_E_clISt17integral_constantIbLb1EES15_IbLb0EEEEDaS11_S12_EUlS11_E_NS1_11comp_targetILNS1_3genE5ELNS1_11target_archE942ELNS1_3gpuE9ELNS1_3repE0EEENS1_30default_config_static_selectorELNS0_4arch9wavefront6targetE1EEEvT1_,"axG",@progbits,_ZN7rocprim17ROCPRIM_400000_NS6detail17trampoline_kernelINS0_14default_configENS1_25partition_config_selectorILNS1_17partition_subalgoE8ElNS0_10empty_typeEbEEZZNS1_14partition_implILS5_8ELb0ES3_jPKlPS6_PKS6_NS0_5tupleIJPlS6_EEENSE_IJSB_SB_EEENS0_18inequality_wrapperIN6hipcub16HIPCUB_304000_NS8EqualityEEESF_JS6_EEE10hipError_tPvRmT3_T4_T5_T6_T7_T9_mT8_P12ihipStream_tbDpT10_ENKUlT_T0_E_clISt17integral_constantIbLb1EES15_IbLb0EEEEDaS11_S12_EUlS11_E_NS1_11comp_targetILNS1_3genE5ELNS1_11target_archE942ELNS1_3gpuE9ELNS1_3repE0EEENS1_30default_config_static_selectorELNS0_4arch9wavefront6targetE1EEEvT1_,comdat
.Lfunc_end243:
	.size	_ZN7rocprim17ROCPRIM_400000_NS6detail17trampoline_kernelINS0_14default_configENS1_25partition_config_selectorILNS1_17partition_subalgoE8ElNS0_10empty_typeEbEEZZNS1_14partition_implILS5_8ELb0ES3_jPKlPS6_PKS6_NS0_5tupleIJPlS6_EEENSE_IJSB_SB_EEENS0_18inequality_wrapperIN6hipcub16HIPCUB_304000_NS8EqualityEEESF_JS6_EEE10hipError_tPvRmT3_T4_T5_T6_T7_T9_mT8_P12ihipStream_tbDpT10_ENKUlT_T0_E_clISt17integral_constantIbLb1EES15_IbLb0EEEEDaS11_S12_EUlS11_E_NS1_11comp_targetILNS1_3genE5ELNS1_11target_archE942ELNS1_3gpuE9ELNS1_3repE0EEENS1_30default_config_static_selectorELNS0_4arch9wavefront6targetE1EEEvT1_, .Lfunc_end243-_ZN7rocprim17ROCPRIM_400000_NS6detail17trampoline_kernelINS0_14default_configENS1_25partition_config_selectorILNS1_17partition_subalgoE8ElNS0_10empty_typeEbEEZZNS1_14partition_implILS5_8ELb0ES3_jPKlPS6_PKS6_NS0_5tupleIJPlS6_EEENSE_IJSB_SB_EEENS0_18inequality_wrapperIN6hipcub16HIPCUB_304000_NS8EqualityEEESF_JS6_EEE10hipError_tPvRmT3_T4_T5_T6_T7_T9_mT8_P12ihipStream_tbDpT10_ENKUlT_T0_E_clISt17integral_constantIbLb1EES15_IbLb0EEEEDaS11_S12_EUlS11_E_NS1_11comp_targetILNS1_3genE5ELNS1_11target_archE942ELNS1_3gpuE9ELNS1_3repE0EEENS1_30default_config_static_selectorELNS0_4arch9wavefront6targetE1EEEvT1_
                                        ; -- End function
	.section	.AMDGPU.csdata,"",@progbits
; Kernel info:
; codeLenInByte = 5488
; NumSgprs: 46
; NumVgprs: 53
; NumAgprs: 0
; TotalNumVgprs: 53
; ScratchSize: 0
; MemoryBound: 0
; FloatMode: 240
; IeeeMode: 1
; LDSByteSize: 28680 bytes/workgroup (compile time only)
; SGPRBlocks: 5
; VGPRBlocks: 6
; NumSGPRsForWavesPerEU: 46
; NumVGPRsForWavesPerEU: 53
; AccumOffset: 56
; Occupancy: 4
; WaveLimiterHint : 1
; COMPUTE_PGM_RSRC2:SCRATCH_EN: 0
; COMPUTE_PGM_RSRC2:USER_SGPR: 2
; COMPUTE_PGM_RSRC2:TRAP_HANDLER: 0
; COMPUTE_PGM_RSRC2:TGID_X_EN: 1
; COMPUTE_PGM_RSRC2:TGID_Y_EN: 0
; COMPUTE_PGM_RSRC2:TGID_Z_EN: 0
; COMPUTE_PGM_RSRC2:TIDIG_COMP_CNT: 0
; COMPUTE_PGM_RSRC3_GFX90A:ACCUM_OFFSET: 13
; COMPUTE_PGM_RSRC3_GFX90A:TG_SPLIT: 0
	.section	.text._ZN7rocprim17ROCPRIM_400000_NS6detail17trampoline_kernelINS0_14default_configENS1_25partition_config_selectorILNS1_17partition_subalgoE8ElNS0_10empty_typeEbEEZZNS1_14partition_implILS5_8ELb0ES3_jPKlPS6_PKS6_NS0_5tupleIJPlS6_EEENSE_IJSB_SB_EEENS0_18inequality_wrapperIN6hipcub16HIPCUB_304000_NS8EqualityEEESF_JS6_EEE10hipError_tPvRmT3_T4_T5_T6_T7_T9_mT8_P12ihipStream_tbDpT10_ENKUlT_T0_E_clISt17integral_constantIbLb1EES15_IbLb0EEEEDaS11_S12_EUlS11_E_NS1_11comp_targetILNS1_3genE4ELNS1_11target_archE910ELNS1_3gpuE8ELNS1_3repE0EEENS1_30default_config_static_selectorELNS0_4arch9wavefront6targetE1EEEvT1_,"axG",@progbits,_ZN7rocprim17ROCPRIM_400000_NS6detail17trampoline_kernelINS0_14default_configENS1_25partition_config_selectorILNS1_17partition_subalgoE8ElNS0_10empty_typeEbEEZZNS1_14partition_implILS5_8ELb0ES3_jPKlPS6_PKS6_NS0_5tupleIJPlS6_EEENSE_IJSB_SB_EEENS0_18inequality_wrapperIN6hipcub16HIPCUB_304000_NS8EqualityEEESF_JS6_EEE10hipError_tPvRmT3_T4_T5_T6_T7_T9_mT8_P12ihipStream_tbDpT10_ENKUlT_T0_E_clISt17integral_constantIbLb1EES15_IbLb0EEEEDaS11_S12_EUlS11_E_NS1_11comp_targetILNS1_3genE4ELNS1_11target_archE910ELNS1_3gpuE8ELNS1_3repE0EEENS1_30default_config_static_selectorELNS0_4arch9wavefront6targetE1EEEvT1_,comdat
	.protected	_ZN7rocprim17ROCPRIM_400000_NS6detail17trampoline_kernelINS0_14default_configENS1_25partition_config_selectorILNS1_17partition_subalgoE8ElNS0_10empty_typeEbEEZZNS1_14partition_implILS5_8ELb0ES3_jPKlPS6_PKS6_NS0_5tupleIJPlS6_EEENSE_IJSB_SB_EEENS0_18inequality_wrapperIN6hipcub16HIPCUB_304000_NS8EqualityEEESF_JS6_EEE10hipError_tPvRmT3_T4_T5_T6_T7_T9_mT8_P12ihipStream_tbDpT10_ENKUlT_T0_E_clISt17integral_constantIbLb1EES15_IbLb0EEEEDaS11_S12_EUlS11_E_NS1_11comp_targetILNS1_3genE4ELNS1_11target_archE910ELNS1_3gpuE8ELNS1_3repE0EEENS1_30default_config_static_selectorELNS0_4arch9wavefront6targetE1EEEvT1_ ; -- Begin function _ZN7rocprim17ROCPRIM_400000_NS6detail17trampoline_kernelINS0_14default_configENS1_25partition_config_selectorILNS1_17partition_subalgoE8ElNS0_10empty_typeEbEEZZNS1_14partition_implILS5_8ELb0ES3_jPKlPS6_PKS6_NS0_5tupleIJPlS6_EEENSE_IJSB_SB_EEENS0_18inequality_wrapperIN6hipcub16HIPCUB_304000_NS8EqualityEEESF_JS6_EEE10hipError_tPvRmT3_T4_T5_T6_T7_T9_mT8_P12ihipStream_tbDpT10_ENKUlT_T0_E_clISt17integral_constantIbLb1EES15_IbLb0EEEEDaS11_S12_EUlS11_E_NS1_11comp_targetILNS1_3genE4ELNS1_11target_archE910ELNS1_3gpuE8ELNS1_3repE0EEENS1_30default_config_static_selectorELNS0_4arch9wavefront6targetE1EEEvT1_
	.globl	_ZN7rocprim17ROCPRIM_400000_NS6detail17trampoline_kernelINS0_14default_configENS1_25partition_config_selectorILNS1_17partition_subalgoE8ElNS0_10empty_typeEbEEZZNS1_14partition_implILS5_8ELb0ES3_jPKlPS6_PKS6_NS0_5tupleIJPlS6_EEENSE_IJSB_SB_EEENS0_18inequality_wrapperIN6hipcub16HIPCUB_304000_NS8EqualityEEESF_JS6_EEE10hipError_tPvRmT3_T4_T5_T6_T7_T9_mT8_P12ihipStream_tbDpT10_ENKUlT_T0_E_clISt17integral_constantIbLb1EES15_IbLb0EEEEDaS11_S12_EUlS11_E_NS1_11comp_targetILNS1_3genE4ELNS1_11target_archE910ELNS1_3gpuE8ELNS1_3repE0EEENS1_30default_config_static_selectorELNS0_4arch9wavefront6targetE1EEEvT1_
	.p2align	8
	.type	_ZN7rocprim17ROCPRIM_400000_NS6detail17trampoline_kernelINS0_14default_configENS1_25partition_config_selectorILNS1_17partition_subalgoE8ElNS0_10empty_typeEbEEZZNS1_14partition_implILS5_8ELb0ES3_jPKlPS6_PKS6_NS0_5tupleIJPlS6_EEENSE_IJSB_SB_EEENS0_18inequality_wrapperIN6hipcub16HIPCUB_304000_NS8EqualityEEESF_JS6_EEE10hipError_tPvRmT3_T4_T5_T6_T7_T9_mT8_P12ihipStream_tbDpT10_ENKUlT_T0_E_clISt17integral_constantIbLb1EES15_IbLb0EEEEDaS11_S12_EUlS11_E_NS1_11comp_targetILNS1_3genE4ELNS1_11target_archE910ELNS1_3gpuE8ELNS1_3repE0EEENS1_30default_config_static_selectorELNS0_4arch9wavefront6targetE1EEEvT1_,@function
_ZN7rocprim17ROCPRIM_400000_NS6detail17trampoline_kernelINS0_14default_configENS1_25partition_config_selectorILNS1_17partition_subalgoE8ElNS0_10empty_typeEbEEZZNS1_14partition_implILS5_8ELb0ES3_jPKlPS6_PKS6_NS0_5tupleIJPlS6_EEENSE_IJSB_SB_EEENS0_18inequality_wrapperIN6hipcub16HIPCUB_304000_NS8EqualityEEESF_JS6_EEE10hipError_tPvRmT3_T4_T5_T6_T7_T9_mT8_P12ihipStream_tbDpT10_ENKUlT_T0_E_clISt17integral_constantIbLb1EES15_IbLb0EEEEDaS11_S12_EUlS11_E_NS1_11comp_targetILNS1_3genE4ELNS1_11target_archE910ELNS1_3gpuE8ELNS1_3repE0EEENS1_30default_config_static_selectorELNS0_4arch9wavefront6targetE1EEEvT1_: ; @_ZN7rocprim17ROCPRIM_400000_NS6detail17trampoline_kernelINS0_14default_configENS1_25partition_config_selectorILNS1_17partition_subalgoE8ElNS0_10empty_typeEbEEZZNS1_14partition_implILS5_8ELb0ES3_jPKlPS6_PKS6_NS0_5tupleIJPlS6_EEENSE_IJSB_SB_EEENS0_18inequality_wrapperIN6hipcub16HIPCUB_304000_NS8EqualityEEESF_JS6_EEE10hipError_tPvRmT3_T4_T5_T6_T7_T9_mT8_P12ihipStream_tbDpT10_ENKUlT_T0_E_clISt17integral_constantIbLb1EES15_IbLb0EEEEDaS11_S12_EUlS11_E_NS1_11comp_targetILNS1_3genE4ELNS1_11target_archE910ELNS1_3gpuE8ELNS1_3repE0EEENS1_30default_config_static_selectorELNS0_4arch9wavefront6targetE1EEEvT1_
; %bb.0:
	.section	.rodata,"a",@progbits
	.p2align	6, 0x0
	.amdhsa_kernel _ZN7rocprim17ROCPRIM_400000_NS6detail17trampoline_kernelINS0_14default_configENS1_25partition_config_selectorILNS1_17partition_subalgoE8ElNS0_10empty_typeEbEEZZNS1_14partition_implILS5_8ELb0ES3_jPKlPS6_PKS6_NS0_5tupleIJPlS6_EEENSE_IJSB_SB_EEENS0_18inequality_wrapperIN6hipcub16HIPCUB_304000_NS8EqualityEEESF_JS6_EEE10hipError_tPvRmT3_T4_T5_T6_T7_T9_mT8_P12ihipStream_tbDpT10_ENKUlT_T0_E_clISt17integral_constantIbLb1EES15_IbLb0EEEEDaS11_S12_EUlS11_E_NS1_11comp_targetILNS1_3genE4ELNS1_11target_archE910ELNS1_3gpuE8ELNS1_3repE0EEENS1_30default_config_static_selectorELNS0_4arch9wavefront6targetE1EEEvT1_
		.amdhsa_group_segment_fixed_size 0
		.amdhsa_private_segment_fixed_size 0
		.amdhsa_kernarg_size 112
		.amdhsa_user_sgpr_count 2
		.amdhsa_user_sgpr_dispatch_ptr 0
		.amdhsa_user_sgpr_queue_ptr 0
		.amdhsa_user_sgpr_kernarg_segment_ptr 1
		.amdhsa_user_sgpr_dispatch_id 0
		.amdhsa_user_sgpr_kernarg_preload_length 0
		.amdhsa_user_sgpr_kernarg_preload_offset 0
		.amdhsa_user_sgpr_private_segment_size 0
		.amdhsa_uses_dynamic_stack 0
		.amdhsa_enable_private_segment 0
		.amdhsa_system_sgpr_workgroup_id_x 1
		.amdhsa_system_sgpr_workgroup_id_y 0
		.amdhsa_system_sgpr_workgroup_id_z 0
		.amdhsa_system_sgpr_workgroup_info 0
		.amdhsa_system_vgpr_workitem_id 0
		.amdhsa_next_free_vgpr 1
		.amdhsa_next_free_sgpr 0
		.amdhsa_accum_offset 4
		.amdhsa_reserve_vcc 0
		.amdhsa_float_round_mode_32 0
		.amdhsa_float_round_mode_16_64 0
		.amdhsa_float_denorm_mode_32 3
		.amdhsa_float_denorm_mode_16_64 3
		.amdhsa_dx10_clamp 1
		.amdhsa_ieee_mode 1
		.amdhsa_fp16_overflow 0
		.amdhsa_tg_split 0
		.amdhsa_exception_fp_ieee_invalid_op 0
		.amdhsa_exception_fp_denorm_src 0
		.amdhsa_exception_fp_ieee_div_zero 0
		.amdhsa_exception_fp_ieee_overflow 0
		.amdhsa_exception_fp_ieee_underflow 0
		.amdhsa_exception_fp_ieee_inexact 0
		.amdhsa_exception_int_div_zero 0
	.end_amdhsa_kernel
	.section	.text._ZN7rocprim17ROCPRIM_400000_NS6detail17trampoline_kernelINS0_14default_configENS1_25partition_config_selectorILNS1_17partition_subalgoE8ElNS0_10empty_typeEbEEZZNS1_14partition_implILS5_8ELb0ES3_jPKlPS6_PKS6_NS0_5tupleIJPlS6_EEENSE_IJSB_SB_EEENS0_18inequality_wrapperIN6hipcub16HIPCUB_304000_NS8EqualityEEESF_JS6_EEE10hipError_tPvRmT3_T4_T5_T6_T7_T9_mT8_P12ihipStream_tbDpT10_ENKUlT_T0_E_clISt17integral_constantIbLb1EES15_IbLb0EEEEDaS11_S12_EUlS11_E_NS1_11comp_targetILNS1_3genE4ELNS1_11target_archE910ELNS1_3gpuE8ELNS1_3repE0EEENS1_30default_config_static_selectorELNS0_4arch9wavefront6targetE1EEEvT1_,"axG",@progbits,_ZN7rocprim17ROCPRIM_400000_NS6detail17trampoline_kernelINS0_14default_configENS1_25partition_config_selectorILNS1_17partition_subalgoE8ElNS0_10empty_typeEbEEZZNS1_14partition_implILS5_8ELb0ES3_jPKlPS6_PKS6_NS0_5tupleIJPlS6_EEENSE_IJSB_SB_EEENS0_18inequality_wrapperIN6hipcub16HIPCUB_304000_NS8EqualityEEESF_JS6_EEE10hipError_tPvRmT3_T4_T5_T6_T7_T9_mT8_P12ihipStream_tbDpT10_ENKUlT_T0_E_clISt17integral_constantIbLb1EES15_IbLb0EEEEDaS11_S12_EUlS11_E_NS1_11comp_targetILNS1_3genE4ELNS1_11target_archE910ELNS1_3gpuE8ELNS1_3repE0EEENS1_30default_config_static_selectorELNS0_4arch9wavefront6targetE1EEEvT1_,comdat
.Lfunc_end244:
	.size	_ZN7rocprim17ROCPRIM_400000_NS6detail17trampoline_kernelINS0_14default_configENS1_25partition_config_selectorILNS1_17partition_subalgoE8ElNS0_10empty_typeEbEEZZNS1_14partition_implILS5_8ELb0ES3_jPKlPS6_PKS6_NS0_5tupleIJPlS6_EEENSE_IJSB_SB_EEENS0_18inequality_wrapperIN6hipcub16HIPCUB_304000_NS8EqualityEEESF_JS6_EEE10hipError_tPvRmT3_T4_T5_T6_T7_T9_mT8_P12ihipStream_tbDpT10_ENKUlT_T0_E_clISt17integral_constantIbLb1EES15_IbLb0EEEEDaS11_S12_EUlS11_E_NS1_11comp_targetILNS1_3genE4ELNS1_11target_archE910ELNS1_3gpuE8ELNS1_3repE0EEENS1_30default_config_static_selectorELNS0_4arch9wavefront6targetE1EEEvT1_, .Lfunc_end244-_ZN7rocprim17ROCPRIM_400000_NS6detail17trampoline_kernelINS0_14default_configENS1_25partition_config_selectorILNS1_17partition_subalgoE8ElNS0_10empty_typeEbEEZZNS1_14partition_implILS5_8ELb0ES3_jPKlPS6_PKS6_NS0_5tupleIJPlS6_EEENSE_IJSB_SB_EEENS0_18inequality_wrapperIN6hipcub16HIPCUB_304000_NS8EqualityEEESF_JS6_EEE10hipError_tPvRmT3_T4_T5_T6_T7_T9_mT8_P12ihipStream_tbDpT10_ENKUlT_T0_E_clISt17integral_constantIbLb1EES15_IbLb0EEEEDaS11_S12_EUlS11_E_NS1_11comp_targetILNS1_3genE4ELNS1_11target_archE910ELNS1_3gpuE8ELNS1_3repE0EEENS1_30default_config_static_selectorELNS0_4arch9wavefront6targetE1EEEvT1_
                                        ; -- End function
	.section	.AMDGPU.csdata,"",@progbits
; Kernel info:
; codeLenInByte = 0
; NumSgprs: 6
; NumVgprs: 0
; NumAgprs: 0
; TotalNumVgprs: 0
; ScratchSize: 0
; MemoryBound: 0
; FloatMode: 240
; IeeeMode: 1
; LDSByteSize: 0 bytes/workgroup (compile time only)
; SGPRBlocks: 0
; VGPRBlocks: 0
; NumSGPRsForWavesPerEU: 6
; NumVGPRsForWavesPerEU: 1
; AccumOffset: 4
; Occupancy: 8
; WaveLimiterHint : 0
; COMPUTE_PGM_RSRC2:SCRATCH_EN: 0
; COMPUTE_PGM_RSRC2:USER_SGPR: 2
; COMPUTE_PGM_RSRC2:TRAP_HANDLER: 0
; COMPUTE_PGM_RSRC2:TGID_X_EN: 1
; COMPUTE_PGM_RSRC2:TGID_Y_EN: 0
; COMPUTE_PGM_RSRC2:TGID_Z_EN: 0
; COMPUTE_PGM_RSRC2:TIDIG_COMP_CNT: 0
; COMPUTE_PGM_RSRC3_GFX90A:ACCUM_OFFSET: 0
; COMPUTE_PGM_RSRC3_GFX90A:TG_SPLIT: 0
	.section	.text._ZN7rocprim17ROCPRIM_400000_NS6detail17trampoline_kernelINS0_14default_configENS1_25partition_config_selectorILNS1_17partition_subalgoE8ElNS0_10empty_typeEbEEZZNS1_14partition_implILS5_8ELb0ES3_jPKlPS6_PKS6_NS0_5tupleIJPlS6_EEENSE_IJSB_SB_EEENS0_18inequality_wrapperIN6hipcub16HIPCUB_304000_NS8EqualityEEESF_JS6_EEE10hipError_tPvRmT3_T4_T5_T6_T7_T9_mT8_P12ihipStream_tbDpT10_ENKUlT_T0_E_clISt17integral_constantIbLb1EES15_IbLb0EEEEDaS11_S12_EUlS11_E_NS1_11comp_targetILNS1_3genE3ELNS1_11target_archE908ELNS1_3gpuE7ELNS1_3repE0EEENS1_30default_config_static_selectorELNS0_4arch9wavefront6targetE1EEEvT1_,"axG",@progbits,_ZN7rocprim17ROCPRIM_400000_NS6detail17trampoline_kernelINS0_14default_configENS1_25partition_config_selectorILNS1_17partition_subalgoE8ElNS0_10empty_typeEbEEZZNS1_14partition_implILS5_8ELb0ES3_jPKlPS6_PKS6_NS0_5tupleIJPlS6_EEENSE_IJSB_SB_EEENS0_18inequality_wrapperIN6hipcub16HIPCUB_304000_NS8EqualityEEESF_JS6_EEE10hipError_tPvRmT3_T4_T5_T6_T7_T9_mT8_P12ihipStream_tbDpT10_ENKUlT_T0_E_clISt17integral_constantIbLb1EES15_IbLb0EEEEDaS11_S12_EUlS11_E_NS1_11comp_targetILNS1_3genE3ELNS1_11target_archE908ELNS1_3gpuE7ELNS1_3repE0EEENS1_30default_config_static_selectorELNS0_4arch9wavefront6targetE1EEEvT1_,comdat
	.protected	_ZN7rocprim17ROCPRIM_400000_NS6detail17trampoline_kernelINS0_14default_configENS1_25partition_config_selectorILNS1_17partition_subalgoE8ElNS0_10empty_typeEbEEZZNS1_14partition_implILS5_8ELb0ES3_jPKlPS6_PKS6_NS0_5tupleIJPlS6_EEENSE_IJSB_SB_EEENS0_18inequality_wrapperIN6hipcub16HIPCUB_304000_NS8EqualityEEESF_JS6_EEE10hipError_tPvRmT3_T4_T5_T6_T7_T9_mT8_P12ihipStream_tbDpT10_ENKUlT_T0_E_clISt17integral_constantIbLb1EES15_IbLb0EEEEDaS11_S12_EUlS11_E_NS1_11comp_targetILNS1_3genE3ELNS1_11target_archE908ELNS1_3gpuE7ELNS1_3repE0EEENS1_30default_config_static_selectorELNS0_4arch9wavefront6targetE1EEEvT1_ ; -- Begin function _ZN7rocprim17ROCPRIM_400000_NS6detail17trampoline_kernelINS0_14default_configENS1_25partition_config_selectorILNS1_17partition_subalgoE8ElNS0_10empty_typeEbEEZZNS1_14partition_implILS5_8ELb0ES3_jPKlPS6_PKS6_NS0_5tupleIJPlS6_EEENSE_IJSB_SB_EEENS0_18inequality_wrapperIN6hipcub16HIPCUB_304000_NS8EqualityEEESF_JS6_EEE10hipError_tPvRmT3_T4_T5_T6_T7_T9_mT8_P12ihipStream_tbDpT10_ENKUlT_T0_E_clISt17integral_constantIbLb1EES15_IbLb0EEEEDaS11_S12_EUlS11_E_NS1_11comp_targetILNS1_3genE3ELNS1_11target_archE908ELNS1_3gpuE7ELNS1_3repE0EEENS1_30default_config_static_selectorELNS0_4arch9wavefront6targetE1EEEvT1_
	.globl	_ZN7rocprim17ROCPRIM_400000_NS6detail17trampoline_kernelINS0_14default_configENS1_25partition_config_selectorILNS1_17partition_subalgoE8ElNS0_10empty_typeEbEEZZNS1_14partition_implILS5_8ELb0ES3_jPKlPS6_PKS6_NS0_5tupleIJPlS6_EEENSE_IJSB_SB_EEENS0_18inequality_wrapperIN6hipcub16HIPCUB_304000_NS8EqualityEEESF_JS6_EEE10hipError_tPvRmT3_T4_T5_T6_T7_T9_mT8_P12ihipStream_tbDpT10_ENKUlT_T0_E_clISt17integral_constantIbLb1EES15_IbLb0EEEEDaS11_S12_EUlS11_E_NS1_11comp_targetILNS1_3genE3ELNS1_11target_archE908ELNS1_3gpuE7ELNS1_3repE0EEENS1_30default_config_static_selectorELNS0_4arch9wavefront6targetE1EEEvT1_
	.p2align	8
	.type	_ZN7rocprim17ROCPRIM_400000_NS6detail17trampoline_kernelINS0_14default_configENS1_25partition_config_selectorILNS1_17partition_subalgoE8ElNS0_10empty_typeEbEEZZNS1_14partition_implILS5_8ELb0ES3_jPKlPS6_PKS6_NS0_5tupleIJPlS6_EEENSE_IJSB_SB_EEENS0_18inequality_wrapperIN6hipcub16HIPCUB_304000_NS8EqualityEEESF_JS6_EEE10hipError_tPvRmT3_T4_T5_T6_T7_T9_mT8_P12ihipStream_tbDpT10_ENKUlT_T0_E_clISt17integral_constantIbLb1EES15_IbLb0EEEEDaS11_S12_EUlS11_E_NS1_11comp_targetILNS1_3genE3ELNS1_11target_archE908ELNS1_3gpuE7ELNS1_3repE0EEENS1_30default_config_static_selectorELNS0_4arch9wavefront6targetE1EEEvT1_,@function
_ZN7rocprim17ROCPRIM_400000_NS6detail17trampoline_kernelINS0_14default_configENS1_25partition_config_selectorILNS1_17partition_subalgoE8ElNS0_10empty_typeEbEEZZNS1_14partition_implILS5_8ELb0ES3_jPKlPS6_PKS6_NS0_5tupleIJPlS6_EEENSE_IJSB_SB_EEENS0_18inequality_wrapperIN6hipcub16HIPCUB_304000_NS8EqualityEEESF_JS6_EEE10hipError_tPvRmT3_T4_T5_T6_T7_T9_mT8_P12ihipStream_tbDpT10_ENKUlT_T0_E_clISt17integral_constantIbLb1EES15_IbLb0EEEEDaS11_S12_EUlS11_E_NS1_11comp_targetILNS1_3genE3ELNS1_11target_archE908ELNS1_3gpuE7ELNS1_3repE0EEENS1_30default_config_static_selectorELNS0_4arch9wavefront6targetE1EEEvT1_: ; @_ZN7rocprim17ROCPRIM_400000_NS6detail17trampoline_kernelINS0_14default_configENS1_25partition_config_selectorILNS1_17partition_subalgoE8ElNS0_10empty_typeEbEEZZNS1_14partition_implILS5_8ELb0ES3_jPKlPS6_PKS6_NS0_5tupleIJPlS6_EEENSE_IJSB_SB_EEENS0_18inequality_wrapperIN6hipcub16HIPCUB_304000_NS8EqualityEEESF_JS6_EEE10hipError_tPvRmT3_T4_T5_T6_T7_T9_mT8_P12ihipStream_tbDpT10_ENKUlT_T0_E_clISt17integral_constantIbLb1EES15_IbLb0EEEEDaS11_S12_EUlS11_E_NS1_11comp_targetILNS1_3genE3ELNS1_11target_archE908ELNS1_3gpuE7ELNS1_3repE0EEENS1_30default_config_static_selectorELNS0_4arch9wavefront6targetE1EEEvT1_
; %bb.0:
	.section	.rodata,"a",@progbits
	.p2align	6, 0x0
	.amdhsa_kernel _ZN7rocprim17ROCPRIM_400000_NS6detail17trampoline_kernelINS0_14default_configENS1_25partition_config_selectorILNS1_17partition_subalgoE8ElNS0_10empty_typeEbEEZZNS1_14partition_implILS5_8ELb0ES3_jPKlPS6_PKS6_NS0_5tupleIJPlS6_EEENSE_IJSB_SB_EEENS0_18inequality_wrapperIN6hipcub16HIPCUB_304000_NS8EqualityEEESF_JS6_EEE10hipError_tPvRmT3_T4_T5_T6_T7_T9_mT8_P12ihipStream_tbDpT10_ENKUlT_T0_E_clISt17integral_constantIbLb1EES15_IbLb0EEEEDaS11_S12_EUlS11_E_NS1_11comp_targetILNS1_3genE3ELNS1_11target_archE908ELNS1_3gpuE7ELNS1_3repE0EEENS1_30default_config_static_selectorELNS0_4arch9wavefront6targetE1EEEvT1_
		.amdhsa_group_segment_fixed_size 0
		.amdhsa_private_segment_fixed_size 0
		.amdhsa_kernarg_size 112
		.amdhsa_user_sgpr_count 2
		.amdhsa_user_sgpr_dispatch_ptr 0
		.amdhsa_user_sgpr_queue_ptr 0
		.amdhsa_user_sgpr_kernarg_segment_ptr 1
		.amdhsa_user_sgpr_dispatch_id 0
		.amdhsa_user_sgpr_kernarg_preload_length 0
		.amdhsa_user_sgpr_kernarg_preload_offset 0
		.amdhsa_user_sgpr_private_segment_size 0
		.amdhsa_uses_dynamic_stack 0
		.amdhsa_enable_private_segment 0
		.amdhsa_system_sgpr_workgroup_id_x 1
		.amdhsa_system_sgpr_workgroup_id_y 0
		.amdhsa_system_sgpr_workgroup_id_z 0
		.amdhsa_system_sgpr_workgroup_info 0
		.amdhsa_system_vgpr_workitem_id 0
		.amdhsa_next_free_vgpr 1
		.amdhsa_next_free_sgpr 0
		.amdhsa_accum_offset 4
		.amdhsa_reserve_vcc 0
		.amdhsa_float_round_mode_32 0
		.amdhsa_float_round_mode_16_64 0
		.amdhsa_float_denorm_mode_32 3
		.amdhsa_float_denorm_mode_16_64 3
		.amdhsa_dx10_clamp 1
		.amdhsa_ieee_mode 1
		.amdhsa_fp16_overflow 0
		.amdhsa_tg_split 0
		.amdhsa_exception_fp_ieee_invalid_op 0
		.amdhsa_exception_fp_denorm_src 0
		.amdhsa_exception_fp_ieee_div_zero 0
		.amdhsa_exception_fp_ieee_overflow 0
		.amdhsa_exception_fp_ieee_underflow 0
		.amdhsa_exception_fp_ieee_inexact 0
		.amdhsa_exception_int_div_zero 0
	.end_amdhsa_kernel
	.section	.text._ZN7rocprim17ROCPRIM_400000_NS6detail17trampoline_kernelINS0_14default_configENS1_25partition_config_selectorILNS1_17partition_subalgoE8ElNS0_10empty_typeEbEEZZNS1_14partition_implILS5_8ELb0ES3_jPKlPS6_PKS6_NS0_5tupleIJPlS6_EEENSE_IJSB_SB_EEENS0_18inequality_wrapperIN6hipcub16HIPCUB_304000_NS8EqualityEEESF_JS6_EEE10hipError_tPvRmT3_T4_T5_T6_T7_T9_mT8_P12ihipStream_tbDpT10_ENKUlT_T0_E_clISt17integral_constantIbLb1EES15_IbLb0EEEEDaS11_S12_EUlS11_E_NS1_11comp_targetILNS1_3genE3ELNS1_11target_archE908ELNS1_3gpuE7ELNS1_3repE0EEENS1_30default_config_static_selectorELNS0_4arch9wavefront6targetE1EEEvT1_,"axG",@progbits,_ZN7rocprim17ROCPRIM_400000_NS6detail17trampoline_kernelINS0_14default_configENS1_25partition_config_selectorILNS1_17partition_subalgoE8ElNS0_10empty_typeEbEEZZNS1_14partition_implILS5_8ELb0ES3_jPKlPS6_PKS6_NS0_5tupleIJPlS6_EEENSE_IJSB_SB_EEENS0_18inequality_wrapperIN6hipcub16HIPCUB_304000_NS8EqualityEEESF_JS6_EEE10hipError_tPvRmT3_T4_T5_T6_T7_T9_mT8_P12ihipStream_tbDpT10_ENKUlT_T0_E_clISt17integral_constantIbLb1EES15_IbLb0EEEEDaS11_S12_EUlS11_E_NS1_11comp_targetILNS1_3genE3ELNS1_11target_archE908ELNS1_3gpuE7ELNS1_3repE0EEENS1_30default_config_static_selectorELNS0_4arch9wavefront6targetE1EEEvT1_,comdat
.Lfunc_end245:
	.size	_ZN7rocprim17ROCPRIM_400000_NS6detail17trampoline_kernelINS0_14default_configENS1_25partition_config_selectorILNS1_17partition_subalgoE8ElNS0_10empty_typeEbEEZZNS1_14partition_implILS5_8ELb0ES3_jPKlPS6_PKS6_NS0_5tupleIJPlS6_EEENSE_IJSB_SB_EEENS0_18inequality_wrapperIN6hipcub16HIPCUB_304000_NS8EqualityEEESF_JS6_EEE10hipError_tPvRmT3_T4_T5_T6_T7_T9_mT8_P12ihipStream_tbDpT10_ENKUlT_T0_E_clISt17integral_constantIbLb1EES15_IbLb0EEEEDaS11_S12_EUlS11_E_NS1_11comp_targetILNS1_3genE3ELNS1_11target_archE908ELNS1_3gpuE7ELNS1_3repE0EEENS1_30default_config_static_selectorELNS0_4arch9wavefront6targetE1EEEvT1_, .Lfunc_end245-_ZN7rocprim17ROCPRIM_400000_NS6detail17trampoline_kernelINS0_14default_configENS1_25partition_config_selectorILNS1_17partition_subalgoE8ElNS0_10empty_typeEbEEZZNS1_14partition_implILS5_8ELb0ES3_jPKlPS6_PKS6_NS0_5tupleIJPlS6_EEENSE_IJSB_SB_EEENS0_18inequality_wrapperIN6hipcub16HIPCUB_304000_NS8EqualityEEESF_JS6_EEE10hipError_tPvRmT3_T4_T5_T6_T7_T9_mT8_P12ihipStream_tbDpT10_ENKUlT_T0_E_clISt17integral_constantIbLb1EES15_IbLb0EEEEDaS11_S12_EUlS11_E_NS1_11comp_targetILNS1_3genE3ELNS1_11target_archE908ELNS1_3gpuE7ELNS1_3repE0EEENS1_30default_config_static_selectorELNS0_4arch9wavefront6targetE1EEEvT1_
                                        ; -- End function
	.section	.AMDGPU.csdata,"",@progbits
; Kernel info:
; codeLenInByte = 0
; NumSgprs: 6
; NumVgprs: 0
; NumAgprs: 0
; TotalNumVgprs: 0
; ScratchSize: 0
; MemoryBound: 0
; FloatMode: 240
; IeeeMode: 1
; LDSByteSize: 0 bytes/workgroup (compile time only)
; SGPRBlocks: 0
; VGPRBlocks: 0
; NumSGPRsForWavesPerEU: 6
; NumVGPRsForWavesPerEU: 1
; AccumOffset: 4
; Occupancy: 8
; WaveLimiterHint : 0
; COMPUTE_PGM_RSRC2:SCRATCH_EN: 0
; COMPUTE_PGM_RSRC2:USER_SGPR: 2
; COMPUTE_PGM_RSRC2:TRAP_HANDLER: 0
; COMPUTE_PGM_RSRC2:TGID_X_EN: 1
; COMPUTE_PGM_RSRC2:TGID_Y_EN: 0
; COMPUTE_PGM_RSRC2:TGID_Z_EN: 0
; COMPUTE_PGM_RSRC2:TIDIG_COMP_CNT: 0
; COMPUTE_PGM_RSRC3_GFX90A:ACCUM_OFFSET: 0
; COMPUTE_PGM_RSRC3_GFX90A:TG_SPLIT: 0
	.section	.text._ZN7rocprim17ROCPRIM_400000_NS6detail17trampoline_kernelINS0_14default_configENS1_25partition_config_selectorILNS1_17partition_subalgoE8ElNS0_10empty_typeEbEEZZNS1_14partition_implILS5_8ELb0ES3_jPKlPS6_PKS6_NS0_5tupleIJPlS6_EEENSE_IJSB_SB_EEENS0_18inequality_wrapperIN6hipcub16HIPCUB_304000_NS8EqualityEEESF_JS6_EEE10hipError_tPvRmT3_T4_T5_T6_T7_T9_mT8_P12ihipStream_tbDpT10_ENKUlT_T0_E_clISt17integral_constantIbLb1EES15_IbLb0EEEEDaS11_S12_EUlS11_E_NS1_11comp_targetILNS1_3genE2ELNS1_11target_archE906ELNS1_3gpuE6ELNS1_3repE0EEENS1_30default_config_static_selectorELNS0_4arch9wavefront6targetE1EEEvT1_,"axG",@progbits,_ZN7rocprim17ROCPRIM_400000_NS6detail17trampoline_kernelINS0_14default_configENS1_25partition_config_selectorILNS1_17partition_subalgoE8ElNS0_10empty_typeEbEEZZNS1_14partition_implILS5_8ELb0ES3_jPKlPS6_PKS6_NS0_5tupleIJPlS6_EEENSE_IJSB_SB_EEENS0_18inequality_wrapperIN6hipcub16HIPCUB_304000_NS8EqualityEEESF_JS6_EEE10hipError_tPvRmT3_T4_T5_T6_T7_T9_mT8_P12ihipStream_tbDpT10_ENKUlT_T0_E_clISt17integral_constantIbLb1EES15_IbLb0EEEEDaS11_S12_EUlS11_E_NS1_11comp_targetILNS1_3genE2ELNS1_11target_archE906ELNS1_3gpuE6ELNS1_3repE0EEENS1_30default_config_static_selectorELNS0_4arch9wavefront6targetE1EEEvT1_,comdat
	.protected	_ZN7rocprim17ROCPRIM_400000_NS6detail17trampoline_kernelINS0_14default_configENS1_25partition_config_selectorILNS1_17partition_subalgoE8ElNS0_10empty_typeEbEEZZNS1_14partition_implILS5_8ELb0ES3_jPKlPS6_PKS6_NS0_5tupleIJPlS6_EEENSE_IJSB_SB_EEENS0_18inequality_wrapperIN6hipcub16HIPCUB_304000_NS8EqualityEEESF_JS6_EEE10hipError_tPvRmT3_T4_T5_T6_T7_T9_mT8_P12ihipStream_tbDpT10_ENKUlT_T0_E_clISt17integral_constantIbLb1EES15_IbLb0EEEEDaS11_S12_EUlS11_E_NS1_11comp_targetILNS1_3genE2ELNS1_11target_archE906ELNS1_3gpuE6ELNS1_3repE0EEENS1_30default_config_static_selectorELNS0_4arch9wavefront6targetE1EEEvT1_ ; -- Begin function _ZN7rocprim17ROCPRIM_400000_NS6detail17trampoline_kernelINS0_14default_configENS1_25partition_config_selectorILNS1_17partition_subalgoE8ElNS0_10empty_typeEbEEZZNS1_14partition_implILS5_8ELb0ES3_jPKlPS6_PKS6_NS0_5tupleIJPlS6_EEENSE_IJSB_SB_EEENS0_18inequality_wrapperIN6hipcub16HIPCUB_304000_NS8EqualityEEESF_JS6_EEE10hipError_tPvRmT3_T4_T5_T6_T7_T9_mT8_P12ihipStream_tbDpT10_ENKUlT_T0_E_clISt17integral_constantIbLb1EES15_IbLb0EEEEDaS11_S12_EUlS11_E_NS1_11comp_targetILNS1_3genE2ELNS1_11target_archE906ELNS1_3gpuE6ELNS1_3repE0EEENS1_30default_config_static_selectorELNS0_4arch9wavefront6targetE1EEEvT1_
	.globl	_ZN7rocprim17ROCPRIM_400000_NS6detail17trampoline_kernelINS0_14default_configENS1_25partition_config_selectorILNS1_17partition_subalgoE8ElNS0_10empty_typeEbEEZZNS1_14partition_implILS5_8ELb0ES3_jPKlPS6_PKS6_NS0_5tupleIJPlS6_EEENSE_IJSB_SB_EEENS0_18inequality_wrapperIN6hipcub16HIPCUB_304000_NS8EqualityEEESF_JS6_EEE10hipError_tPvRmT3_T4_T5_T6_T7_T9_mT8_P12ihipStream_tbDpT10_ENKUlT_T0_E_clISt17integral_constantIbLb1EES15_IbLb0EEEEDaS11_S12_EUlS11_E_NS1_11comp_targetILNS1_3genE2ELNS1_11target_archE906ELNS1_3gpuE6ELNS1_3repE0EEENS1_30default_config_static_selectorELNS0_4arch9wavefront6targetE1EEEvT1_
	.p2align	8
	.type	_ZN7rocprim17ROCPRIM_400000_NS6detail17trampoline_kernelINS0_14default_configENS1_25partition_config_selectorILNS1_17partition_subalgoE8ElNS0_10empty_typeEbEEZZNS1_14partition_implILS5_8ELb0ES3_jPKlPS6_PKS6_NS0_5tupleIJPlS6_EEENSE_IJSB_SB_EEENS0_18inequality_wrapperIN6hipcub16HIPCUB_304000_NS8EqualityEEESF_JS6_EEE10hipError_tPvRmT3_T4_T5_T6_T7_T9_mT8_P12ihipStream_tbDpT10_ENKUlT_T0_E_clISt17integral_constantIbLb1EES15_IbLb0EEEEDaS11_S12_EUlS11_E_NS1_11comp_targetILNS1_3genE2ELNS1_11target_archE906ELNS1_3gpuE6ELNS1_3repE0EEENS1_30default_config_static_selectorELNS0_4arch9wavefront6targetE1EEEvT1_,@function
_ZN7rocprim17ROCPRIM_400000_NS6detail17trampoline_kernelINS0_14default_configENS1_25partition_config_selectorILNS1_17partition_subalgoE8ElNS0_10empty_typeEbEEZZNS1_14partition_implILS5_8ELb0ES3_jPKlPS6_PKS6_NS0_5tupleIJPlS6_EEENSE_IJSB_SB_EEENS0_18inequality_wrapperIN6hipcub16HIPCUB_304000_NS8EqualityEEESF_JS6_EEE10hipError_tPvRmT3_T4_T5_T6_T7_T9_mT8_P12ihipStream_tbDpT10_ENKUlT_T0_E_clISt17integral_constantIbLb1EES15_IbLb0EEEEDaS11_S12_EUlS11_E_NS1_11comp_targetILNS1_3genE2ELNS1_11target_archE906ELNS1_3gpuE6ELNS1_3repE0EEENS1_30default_config_static_selectorELNS0_4arch9wavefront6targetE1EEEvT1_: ; @_ZN7rocprim17ROCPRIM_400000_NS6detail17trampoline_kernelINS0_14default_configENS1_25partition_config_selectorILNS1_17partition_subalgoE8ElNS0_10empty_typeEbEEZZNS1_14partition_implILS5_8ELb0ES3_jPKlPS6_PKS6_NS0_5tupleIJPlS6_EEENSE_IJSB_SB_EEENS0_18inequality_wrapperIN6hipcub16HIPCUB_304000_NS8EqualityEEESF_JS6_EEE10hipError_tPvRmT3_T4_T5_T6_T7_T9_mT8_P12ihipStream_tbDpT10_ENKUlT_T0_E_clISt17integral_constantIbLb1EES15_IbLb0EEEEDaS11_S12_EUlS11_E_NS1_11comp_targetILNS1_3genE2ELNS1_11target_archE906ELNS1_3gpuE6ELNS1_3repE0EEENS1_30default_config_static_selectorELNS0_4arch9wavefront6targetE1EEEvT1_
; %bb.0:
	.section	.rodata,"a",@progbits
	.p2align	6, 0x0
	.amdhsa_kernel _ZN7rocprim17ROCPRIM_400000_NS6detail17trampoline_kernelINS0_14default_configENS1_25partition_config_selectorILNS1_17partition_subalgoE8ElNS0_10empty_typeEbEEZZNS1_14partition_implILS5_8ELb0ES3_jPKlPS6_PKS6_NS0_5tupleIJPlS6_EEENSE_IJSB_SB_EEENS0_18inequality_wrapperIN6hipcub16HIPCUB_304000_NS8EqualityEEESF_JS6_EEE10hipError_tPvRmT3_T4_T5_T6_T7_T9_mT8_P12ihipStream_tbDpT10_ENKUlT_T0_E_clISt17integral_constantIbLb1EES15_IbLb0EEEEDaS11_S12_EUlS11_E_NS1_11comp_targetILNS1_3genE2ELNS1_11target_archE906ELNS1_3gpuE6ELNS1_3repE0EEENS1_30default_config_static_selectorELNS0_4arch9wavefront6targetE1EEEvT1_
		.amdhsa_group_segment_fixed_size 0
		.amdhsa_private_segment_fixed_size 0
		.amdhsa_kernarg_size 112
		.amdhsa_user_sgpr_count 2
		.amdhsa_user_sgpr_dispatch_ptr 0
		.amdhsa_user_sgpr_queue_ptr 0
		.amdhsa_user_sgpr_kernarg_segment_ptr 1
		.amdhsa_user_sgpr_dispatch_id 0
		.amdhsa_user_sgpr_kernarg_preload_length 0
		.amdhsa_user_sgpr_kernarg_preload_offset 0
		.amdhsa_user_sgpr_private_segment_size 0
		.amdhsa_uses_dynamic_stack 0
		.amdhsa_enable_private_segment 0
		.amdhsa_system_sgpr_workgroup_id_x 1
		.amdhsa_system_sgpr_workgroup_id_y 0
		.amdhsa_system_sgpr_workgroup_id_z 0
		.amdhsa_system_sgpr_workgroup_info 0
		.amdhsa_system_vgpr_workitem_id 0
		.amdhsa_next_free_vgpr 1
		.amdhsa_next_free_sgpr 0
		.amdhsa_accum_offset 4
		.amdhsa_reserve_vcc 0
		.amdhsa_float_round_mode_32 0
		.amdhsa_float_round_mode_16_64 0
		.amdhsa_float_denorm_mode_32 3
		.amdhsa_float_denorm_mode_16_64 3
		.amdhsa_dx10_clamp 1
		.amdhsa_ieee_mode 1
		.amdhsa_fp16_overflow 0
		.amdhsa_tg_split 0
		.amdhsa_exception_fp_ieee_invalid_op 0
		.amdhsa_exception_fp_denorm_src 0
		.amdhsa_exception_fp_ieee_div_zero 0
		.amdhsa_exception_fp_ieee_overflow 0
		.amdhsa_exception_fp_ieee_underflow 0
		.amdhsa_exception_fp_ieee_inexact 0
		.amdhsa_exception_int_div_zero 0
	.end_amdhsa_kernel
	.section	.text._ZN7rocprim17ROCPRIM_400000_NS6detail17trampoline_kernelINS0_14default_configENS1_25partition_config_selectorILNS1_17partition_subalgoE8ElNS0_10empty_typeEbEEZZNS1_14partition_implILS5_8ELb0ES3_jPKlPS6_PKS6_NS0_5tupleIJPlS6_EEENSE_IJSB_SB_EEENS0_18inequality_wrapperIN6hipcub16HIPCUB_304000_NS8EqualityEEESF_JS6_EEE10hipError_tPvRmT3_T4_T5_T6_T7_T9_mT8_P12ihipStream_tbDpT10_ENKUlT_T0_E_clISt17integral_constantIbLb1EES15_IbLb0EEEEDaS11_S12_EUlS11_E_NS1_11comp_targetILNS1_3genE2ELNS1_11target_archE906ELNS1_3gpuE6ELNS1_3repE0EEENS1_30default_config_static_selectorELNS0_4arch9wavefront6targetE1EEEvT1_,"axG",@progbits,_ZN7rocprim17ROCPRIM_400000_NS6detail17trampoline_kernelINS0_14default_configENS1_25partition_config_selectorILNS1_17partition_subalgoE8ElNS0_10empty_typeEbEEZZNS1_14partition_implILS5_8ELb0ES3_jPKlPS6_PKS6_NS0_5tupleIJPlS6_EEENSE_IJSB_SB_EEENS0_18inequality_wrapperIN6hipcub16HIPCUB_304000_NS8EqualityEEESF_JS6_EEE10hipError_tPvRmT3_T4_T5_T6_T7_T9_mT8_P12ihipStream_tbDpT10_ENKUlT_T0_E_clISt17integral_constantIbLb1EES15_IbLb0EEEEDaS11_S12_EUlS11_E_NS1_11comp_targetILNS1_3genE2ELNS1_11target_archE906ELNS1_3gpuE6ELNS1_3repE0EEENS1_30default_config_static_selectorELNS0_4arch9wavefront6targetE1EEEvT1_,comdat
.Lfunc_end246:
	.size	_ZN7rocprim17ROCPRIM_400000_NS6detail17trampoline_kernelINS0_14default_configENS1_25partition_config_selectorILNS1_17partition_subalgoE8ElNS0_10empty_typeEbEEZZNS1_14partition_implILS5_8ELb0ES3_jPKlPS6_PKS6_NS0_5tupleIJPlS6_EEENSE_IJSB_SB_EEENS0_18inequality_wrapperIN6hipcub16HIPCUB_304000_NS8EqualityEEESF_JS6_EEE10hipError_tPvRmT3_T4_T5_T6_T7_T9_mT8_P12ihipStream_tbDpT10_ENKUlT_T0_E_clISt17integral_constantIbLb1EES15_IbLb0EEEEDaS11_S12_EUlS11_E_NS1_11comp_targetILNS1_3genE2ELNS1_11target_archE906ELNS1_3gpuE6ELNS1_3repE0EEENS1_30default_config_static_selectorELNS0_4arch9wavefront6targetE1EEEvT1_, .Lfunc_end246-_ZN7rocprim17ROCPRIM_400000_NS6detail17trampoline_kernelINS0_14default_configENS1_25partition_config_selectorILNS1_17partition_subalgoE8ElNS0_10empty_typeEbEEZZNS1_14partition_implILS5_8ELb0ES3_jPKlPS6_PKS6_NS0_5tupleIJPlS6_EEENSE_IJSB_SB_EEENS0_18inequality_wrapperIN6hipcub16HIPCUB_304000_NS8EqualityEEESF_JS6_EEE10hipError_tPvRmT3_T4_T5_T6_T7_T9_mT8_P12ihipStream_tbDpT10_ENKUlT_T0_E_clISt17integral_constantIbLb1EES15_IbLb0EEEEDaS11_S12_EUlS11_E_NS1_11comp_targetILNS1_3genE2ELNS1_11target_archE906ELNS1_3gpuE6ELNS1_3repE0EEENS1_30default_config_static_selectorELNS0_4arch9wavefront6targetE1EEEvT1_
                                        ; -- End function
	.section	.AMDGPU.csdata,"",@progbits
; Kernel info:
; codeLenInByte = 0
; NumSgprs: 6
; NumVgprs: 0
; NumAgprs: 0
; TotalNumVgprs: 0
; ScratchSize: 0
; MemoryBound: 0
; FloatMode: 240
; IeeeMode: 1
; LDSByteSize: 0 bytes/workgroup (compile time only)
; SGPRBlocks: 0
; VGPRBlocks: 0
; NumSGPRsForWavesPerEU: 6
; NumVGPRsForWavesPerEU: 1
; AccumOffset: 4
; Occupancy: 8
; WaveLimiterHint : 0
; COMPUTE_PGM_RSRC2:SCRATCH_EN: 0
; COMPUTE_PGM_RSRC2:USER_SGPR: 2
; COMPUTE_PGM_RSRC2:TRAP_HANDLER: 0
; COMPUTE_PGM_RSRC2:TGID_X_EN: 1
; COMPUTE_PGM_RSRC2:TGID_Y_EN: 0
; COMPUTE_PGM_RSRC2:TGID_Z_EN: 0
; COMPUTE_PGM_RSRC2:TIDIG_COMP_CNT: 0
; COMPUTE_PGM_RSRC3_GFX90A:ACCUM_OFFSET: 0
; COMPUTE_PGM_RSRC3_GFX90A:TG_SPLIT: 0
	.section	.text._ZN7rocprim17ROCPRIM_400000_NS6detail17trampoline_kernelINS0_14default_configENS1_25partition_config_selectorILNS1_17partition_subalgoE8ElNS0_10empty_typeEbEEZZNS1_14partition_implILS5_8ELb0ES3_jPKlPS6_PKS6_NS0_5tupleIJPlS6_EEENSE_IJSB_SB_EEENS0_18inequality_wrapperIN6hipcub16HIPCUB_304000_NS8EqualityEEESF_JS6_EEE10hipError_tPvRmT3_T4_T5_T6_T7_T9_mT8_P12ihipStream_tbDpT10_ENKUlT_T0_E_clISt17integral_constantIbLb1EES15_IbLb0EEEEDaS11_S12_EUlS11_E_NS1_11comp_targetILNS1_3genE10ELNS1_11target_archE1200ELNS1_3gpuE4ELNS1_3repE0EEENS1_30default_config_static_selectorELNS0_4arch9wavefront6targetE1EEEvT1_,"axG",@progbits,_ZN7rocprim17ROCPRIM_400000_NS6detail17trampoline_kernelINS0_14default_configENS1_25partition_config_selectorILNS1_17partition_subalgoE8ElNS0_10empty_typeEbEEZZNS1_14partition_implILS5_8ELb0ES3_jPKlPS6_PKS6_NS0_5tupleIJPlS6_EEENSE_IJSB_SB_EEENS0_18inequality_wrapperIN6hipcub16HIPCUB_304000_NS8EqualityEEESF_JS6_EEE10hipError_tPvRmT3_T4_T5_T6_T7_T9_mT8_P12ihipStream_tbDpT10_ENKUlT_T0_E_clISt17integral_constantIbLb1EES15_IbLb0EEEEDaS11_S12_EUlS11_E_NS1_11comp_targetILNS1_3genE10ELNS1_11target_archE1200ELNS1_3gpuE4ELNS1_3repE0EEENS1_30default_config_static_selectorELNS0_4arch9wavefront6targetE1EEEvT1_,comdat
	.protected	_ZN7rocprim17ROCPRIM_400000_NS6detail17trampoline_kernelINS0_14default_configENS1_25partition_config_selectorILNS1_17partition_subalgoE8ElNS0_10empty_typeEbEEZZNS1_14partition_implILS5_8ELb0ES3_jPKlPS6_PKS6_NS0_5tupleIJPlS6_EEENSE_IJSB_SB_EEENS0_18inequality_wrapperIN6hipcub16HIPCUB_304000_NS8EqualityEEESF_JS6_EEE10hipError_tPvRmT3_T4_T5_T6_T7_T9_mT8_P12ihipStream_tbDpT10_ENKUlT_T0_E_clISt17integral_constantIbLb1EES15_IbLb0EEEEDaS11_S12_EUlS11_E_NS1_11comp_targetILNS1_3genE10ELNS1_11target_archE1200ELNS1_3gpuE4ELNS1_3repE0EEENS1_30default_config_static_selectorELNS0_4arch9wavefront6targetE1EEEvT1_ ; -- Begin function _ZN7rocprim17ROCPRIM_400000_NS6detail17trampoline_kernelINS0_14default_configENS1_25partition_config_selectorILNS1_17partition_subalgoE8ElNS0_10empty_typeEbEEZZNS1_14partition_implILS5_8ELb0ES3_jPKlPS6_PKS6_NS0_5tupleIJPlS6_EEENSE_IJSB_SB_EEENS0_18inequality_wrapperIN6hipcub16HIPCUB_304000_NS8EqualityEEESF_JS6_EEE10hipError_tPvRmT3_T4_T5_T6_T7_T9_mT8_P12ihipStream_tbDpT10_ENKUlT_T0_E_clISt17integral_constantIbLb1EES15_IbLb0EEEEDaS11_S12_EUlS11_E_NS1_11comp_targetILNS1_3genE10ELNS1_11target_archE1200ELNS1_3gpuE4ELNS1_3repE0EEENS1_30default_config_static_selectorELNS0_4arch9wavefront6targetE1EEEvT1_
	.globl	_ZN7rocprim17ROCPRIM_400000_NS6detail17trampoline_kernelINS0_14default_configENS1_25partition_config_selectorILNS1_17partition_subalgoE8ElNS0_10empty_typeEbEEZZNS1_14partition_implILS5_8ELb0ES3_jPKlPS6_PKS6_NS0_5tupleIJPlS6_EEENSE_IJSB_SB_EEENS0_18inequality_wrapperIN6hipcub16HIPCUB_304000_NS8EqualityEEESF_JS6_EEE10hipError_tPvRmT3_T4_T5_T6_T7_T9_mT8_P12ihipStream_tbDpT10_ENKUlT_T0_E_clISt17integral_constantIbLb1EES15_IbLb0EEEEDaS11_S12_EUlS11_E_NS1_11comp_targetILNS1_3genE10ELNS1_11target_archE1200ELNS1_3gpuE4ELNS1_3repE0EEENS1_30default_config_static_selectorELNS0_4arch9wavefront6targetE1EEEvT1_
	.p2align	8
	.type	_ZN7rocprim17ROCPRIM_400000_NS6detail17trampoline_kernelINS0_14default_configENS1_25partition_config_selectorILNS1_17partition_subalgoE8ElNS0_10empty_typeEbEEZZNS1_14partition_implILS5_8ELb0ES3_jPKlPS6_PKS6_NS0_5tupleIJPlS6_EEENSE_IJSB_SB_EEENS0_18inequality_wrapperIN6hipcub16HIPCUB_304000_NS8EqualityEEESF_JS6_EEE10hipError_tPvRmT3_T4_T5_T6_T7_T9_mT8_P12ihipStream_tbDpT10_ENKUlT_T0_E_clISt17integral_constantIbLb1EES15_IbLb0EEEEDaS11_S12_EUlS11_E_NS1_11comp_targetILNS1_3genE10ELNS1_11target_archE1200ELNS1_3gpuE4ELNS1_3repE0EEENS1_30default_config_static_selectorELNS0_4arch9wavefront6targetE1EEEvT1_,@function
_ZN7rocprim17ROCPRIM_400000_NS6detail17trampoline_kernelINS0_14default_configENS1_25partition_config_selectorILNS1_17partition_subalgoE8ElNS0_10empty_typeEbEEZZNS1_14partition_implILS5_8ELb0ES3_jPKlPS6_PKS6_NS0_5tupleIJPlS6_EEENSE_IJSB_SB_EEENS0_18inequality_wrapperIN6hipcub16HIPCUB_304000_NS8EqualityEEESF_JS6_EEE10hipError_tPvRmT3_T4_T5_T6_T7_T9_mT8_P12ihipStream_tbDpT10_ENKUlT_T0_E_clISt17integral_constantIbLb1EES15_IbLb0EEEEDaS11_S12_EUlS11_E_NS1_11comp_targetILNS1_3genE10ELNS1_11target_archE1200ELNS1_3gpuE4ELNS1_3repE0EEENS1_30default_config_static_selectorELNS0_4arch9wavefront6targetE1EEEvT1_: ; @_ZN7rocprim17ROCPRIM_400000_NS6detail17trampoline_kernelINS0_14default_configENS1_25partition_config_selectorILNS1_17partition_subalgoE8ElNS0_10empty_typeEbEEZZNS1_14partition_implILS5_8ELb0ES3_jPKlPS6_PKS6_NS0_5tupleIJPlS6_EEENSE_IJSB_SB_EEENS0_18inequality_wrapperIN6hipcub16HIPCUB_304000_NS8EqualityEEESF_JS6_EEE10hipError_tPvRmT3_T4_T5_T6_T7_T9_mT8_P12ihipStream_tbDpT10_ENKUlT_T0_E_clISt17integral_constantIbLb1EES15_IbLb0EEEEDaS11_S12_EUlS11_E_NS1_11comp_targetILNS1_3genE10ELNS1_11target_archE1200ELNS1_3gpuE4ELNS1_3repE0EEENS1_30default_config_static_selectorELNS0_4arch9wavefront6targetE1EEEvT1_
; %bb.0:
	.section	.rodata,"a",@progbits
	.p2align	6, 0x0
	.amdhsa_kernel _ZN7rocprim17ROCPRIM_400000_NS6detail17trampoline_kernelINS0_14default_configENS1_25partition_config_selectorILNS1_17partition_subalgoE8ElNS0_10empty_typeEbEEZZNS1_14partition_implILS5_8ELb0ES3_jPKlPS6_PKS6_NS0_5tupleIJPlS6_EEENSE_IJSB_SB_EEENS0_18inequality_wrapperIN6hipcub16HIPCUB_304000_NS8EqualityEEESF_JS6_EEE10hipError_tPvRmT3_T4_T5_T6_T7_T9_mT8_P12ihipStream_tbDpT10_ENKUlT_T0_E_clISt17integral_constantIbLb1EES15_IbLb0EEEEDaS11_S12_EUlS11_E_NS1_11comp_targetILNS1_3genE10ELNS1_11target_archE1200ELNS1_3gpuE4ELNS1_3repE0EEENS1_30default_config_static_selectorELNS0_4arch9wavefront6targetE1EEEvT1_
		.amdhsa_group_segment_fixed_size 0
		.amdhsa_private_segment_fixed_size 0
		.amdhsa_kernarg_size 112
		.amdhsa_user_sgpr_count 2
		.amdhsa_user_sgpr_dispatch_ptr 0
		.amdhsa_user_sgpr_queue_ptr 0
		.amdhsa_user_sgpr_kernarg_segment_ptr 1
		.amdhsa_user_sgpr_dispatch_id 0
		.amdhsa_user_sgpr_kernarg_preload_length 0
		.amdhsa_user_sgpr_kernarg_preload_offset 0
		.amdhsa_user_sgpr_private_segment_size 0
		.amdhsa_uses_dynamic_stack 0
		.amdhsa_enable_private_segment 0
		.amdhsa_system_sgpr_workgroup_id_x 1
		.amdhsa_system_sgpr_workgroup_id_y 0
		.amdhsa_system_sgpr_workgroup_id_z 0
		.amdhsa_system_sgpr_workgroup_info 0
		.amdhsa_system_vgpr_workitem_id 0
		.amdhsa_next_free_vgpr 1
		.amdhsa_next_free_sgpr 0
		.amdhsa_accum_offset 4
		.amdhsa_reserve_vcc 0
		.amdhsa_float_round_mode_32 0
		.amdhsa_float_round_mode_16_64 0
		.amdhsa_float_denorm_mode_32 3
		.amdhsa_float_denorm_mode_16_64 3
		.amdhsa_dx10_clamp 1
		.amdhsa_ieee_mode 1
		.amdhsa_fp16_overflow 0
		.amdhsa_tg_split 0
		.amdhsa_exception_fp_ieee_invalid_op 0
		.amdhsa_exception_fp_denorm_src 0
		.amdhsa_exception_fp_ieee_div_zero 0
		.amdhsa_exception_fp_ieee_overflow 0
		.amdhsa_exception_fp_ieee_underflow 0
		.amdhsa_exception_fp_ieee_inexact 0
		.amdhsa_exception_int_div_zero 0
	.end_amdhsa_kernel
	.section	.text._ZN7rocprim17ROCPRIM_400000_NS6detail17trampoline_kernelINS0_14default_configENS1_25partition_config_selectorILNS1_17partition_subalgoE8ElNS0_10empty_typeEbEEZZNS1_14partition_implILS5_8ELb0ES3_jPKlPS6_PKS6_NS0_5tupleIJPlS6_EEENSE_IJSB_SB_EEENS0_18inequality_wrapperIN6hipcub16HIPCUB_304000_NS8EqualityEEESF_JS6_EEE10hipError_tPvRmT3_T4_T5_T6_T7_T9_mT8_P12ihipStream_tbDpT10_ENKUlT_T0_E_clISt17integral_constantIbLb1EES15_IbLb0EEEEDaS11_S12_EUlS11_E_NS1_11comp_targetILNS1_3genE10ELNS1_11target_archE1200ELNS1_3gpuE4ELNS1_3repE0EEENS1_30default_config_static_selectorELNS0_4arch9wavefront6targetE1EEEvT1_,"axG",@progbits,_ZN7rocprim17ROCPRIM_400000_NS6detail17trampoline_kernelINS0_14default_configENS1_25partition_config_selectorILNS1_17partition_subalgoE8ElNS0_10empty_typeEbEEZZNS1_14partition_implILS5_8ELb0ES3_jPKlPS6_PKS6_NS0_5tupleIJPlS6_EEENSE_IJSB_SB_EEENS0_18inequality_wrapperIN6hipcub16HIPCUB_304000_NS8EqualityEEESF_JS6_EEE10hipError_tPvRmT3_T4_T5_T6_T7_T9_mT8_P12ihipStream_tbDpT10_ENKUlT_T0_E_clISt17integral_constantIbLb1EES15_IbLb0EEEEDaS11_S12_EUlS11_E_NS1_11comp_targetILNS1_3genE10ELNS1_11target_archE1200ELNS1_3gpuE4ELNS1_3repE0EEENS1_30default_config_static_selectorELNS0_4arch9wavefront6targetE1EEEvT1_,comdat
.Lfunc_end247:
	.size	_ZN7rocprim17ROCPRIM_400000_NS6detail17trampoline_kernelINS0_14default_configENS1_25partition_config_selectorILNS1_17partition_subalgoE8ElNS0_10empty_typeEbEEZZNS1_14partition_implILS5_8ELb0ES3_jPKlPS6_PKS6_NS0_5tupleIJPlS6_EEENSE_IJSB_SB_EEENS0_18inequality_wrapperIN6hipcub16HIPCUB_304000_NS8EqualityEEESF_JS6_EEE10hipError_tPvRmT3_T4_T5_T6_T7_T9_mT8_P12ihipStream_tbDpT10_ENKUlT_T0_E_clISt17integral_constantIbLb1EES15_IbLb0EEEEDaS11_S12_EUlS11_E_NS1_11comp_targetILNS1_3genE10ELNS1_11target_archE1200ELNS1_3gpuE4ELNS1_3repE0EEENS1_30default_config_static_selectorELNS0_4arch9wavefront6targetE1EEEvT1_, .Lfunc_end247-_ZN7rocprim17ROCPRIM_400000_NS6detail17trampoline_kernelINS0_14default_configENS1_25partition_config_selectorILNS1_17partition_subalgoE8ElNS0_10empty_typeEbEEZZNS1_14partition_implILS5_8ELb0ES3_jPKlPS6_PKS6_NS0_5tupleIJPlS6_EEENSE_IJSB_SB_EEENS0_18inequality_wrapperIN6hipcub16HIPCUB_304000_NS8EqualityEEESF_JS6_EEE10hipError_tPvRmT3_T4_T5_T6_T7_T9_mT8_P12ihipStream_tbDpT10_ENKUlT_T0_E_clISt17integral_constantIbLb1EES15_IbLb0EEEEDaS11_S12_EUlS11_E_NS1_11comp_targetILNS1_3genE10ELNS1_11target_archE1200ELNS1_3gpuE4ELNS1_3repE0EEENS1_30default_config_static_selectorELNS0_4arch9wavefront6targetE1EEEvT1_
                                        ; -- End function
	.section	.AMDGPU.csdata,"",@progbits
; Kernel info:
; codeLenInByte = 0
; NumSgprs: 6
; NumVgprs: 0
; NumAgprs: 0
; TotalNumVgprs: 0
; ScratchSize: 0
; MemoryBound: 0
; FloatMode: 240
; IeeeMode: 1
; LDSByteSize: 0 bytes/workgroup (compile time only)
; SGPRBlocks: 0
; VGPRBlocks: 0
; NumSGPRsForWavesPerEU: 6
; NumVGPRsForWavesPerEU: 1
; AccumOffset: 4
; Occupancy: 8
; WaveLimiterHint : 0
; COMPUTE_PGM_RSRC2:SCRATCH_EN: 0
; COMPUTE_PGM_RSRC2:USER_SGPR: 2
; COMPUTE_PGM_RSRC2:TRAP_HANDLER: 0
; COMPUTE_PGM_RSRC2:TGID_X_EN: 1
; COMPUTE_PGM_RSRC2:TGID_Y_EN: 0
; COMPUTE_PGM_RSRC2:TGID_Z_EN: 0
; COMPUTE_PGM_RSRC2:TIDIG_COMP_CNT: 0
; COMPUTE_PGM_RSRC3_GFX90A:ACCUM_OFFSET: 0
; COMPUTE_PGM_RSRC3_GFX90A:TG_SPLIT: 0
	.section	.text._ZN7rocprim17ROCPRIM_400000_NS6detail17trampoline_kernelINS0_14default_configENS1_25partition_config_selectorILNS1_17partition_subalgoE8ElNS0_10empty_typeEbEEZZNS1_14partition_implILS5_8ELb0ES3_jPKlPS6_PKS6_NS0_5tupleIJPlS6_EEENSE_IJSB_SB_EEENS0_18inequality_wrapperIN6hipcub16HIPCUB_304000_NS8EqualityEEESF_JS6_EEE10hipError_tPvRmT3_T4_T5_T6_T7_T9_mT8_P12ihipStream_tbDpT10_ENKUlT_T0_E_clISt17integral_constantIbLb1EES15_IbLb0EEEEDaS11_S12_EUlS11_E_NS1_11comp_targetILNS1_3genE9ELNS1_11target_archE1100ELNS1_3gpuE3ELNS1_3repE0EEENS1_30default_config_static_selectorELNS0_4arch9wavefront6targetE1EEEvT1_,"axG",@progbits,_ZN7rocprim17ROCPRIM_400000_NS6detail17trampoline_kernelINS0_14default_configENS1_25partition_config_selectorILNS1_17partition_subalgoE8ElNS0_10empty_typeEbEEZZNS1_14partition_implILS5_8ELb0ES3_jPKlPS6_PKS6_NS0_5tupleIJPlS6_EEENSE_IJSB_SB_EEENS0_18inequality_wrapperIN6hipcub16HIPCUB_304000_NS8EqualityEEESF_JS6_EEE10hipError_tPvRmT3_T4_T5_T6_T7_T9_mT8_P12ihipStream_tbDpT10_ENKUlT_T0_E_clISt17integral_constantIbLb1EES15_IbLb0EEEEDaS11_S12_EUlS11_E_NS1_11comp_targetILNS1_3genE9ELNS1_11target_archE1100ELNS1_3gpuE3ELNS1_3repE0EEENS1_30default_config_static_selectorELNS0_4arch9wavefront6targetE1EEEvT1_,comdat
	.protected	_ZN7rocprim17ROCPRIM_400000_NS6detail17trampoline_kernelINS0_14default_configENS1_25partition_config_selectorILNS1_17partition_subalgoE8ElNS0_10empty_typeEbEEZZNS1_14partition_implILS5_8ELb0ES3_jPKlPS6_PKS6_NS0_5tupleIJPlS6_EEENSE_IJSB_SB_EEENS0_18inequality_wrapperIN6hipcub16HIPCUB_304000_NS8EqualityEEESF_JS6_EEE10hipError_tPvRmT3_T4_T5_T6_T7_T9_mT8_P12ihipStream_tbDpT10_ENKUlT_T0_E_clISt17integral_constantIbLb1EES15_IbLb0EEEEDaS11_S12_EUlS11_E_NS1_11comp_targetILNS1_3genE9ELNS1_11target_archE1100ELNS1_3gpuE3ELNS1_3repE0EEENS1_30default_config_static_selectorELNS0_4arch9wavefront6targetE1EEEvT1_ ; -- Begin function _ZN7rocprim17ROCPRIM_400000_NS6detail17trampoline_kernelINS0_14default_configENS1_25partition_config_selectorILNS1_17partition_subalgoE8ElNS0_10empty_typeEbEEZZNS1_14partition_implILS5_8ELb0ES3_jPKlPS6_PKS6_NS0_5tupleIJPlS6_EEENSE_IJSB_SB_EEENS0_18inequality_wrapperIN6hipcub16HIPCUB_304000_NS8EqualityEEESF_JS6_EEE10hipError_tPvRmT3_T4_T5_T6_T7_T9_mT8_P12ihipStream_tbDpT10_ENKUlT_T0_E_clISt17integral_constantIbLb1EES15_IbLb0EEEEDaS11_S12_EUlS11_E_NS1_11comp_targetILNS1_3genE9ELNS1_11target_archE1100ELNS1_3gpuE3ELNS1_3repE0EEENS1_30default_config_static_selectorELNS0_4arch9wavefront6targetE1EEEvT1_
	.globl	_ZN7rocprim17ROCPRIM_400000_NS6detail17trampoline_kernelINS0_14default_configENS1_25partition_config_selectorILNS1_17partition_subalgoE8ElNS0_10empty_typeEbEEZZNS1_14partition_implILS5_8ELb0ES3_jPKlPS6_PKS6_NS0_5tupleIJPlS6_EEENSE_IJSB_SB_EEENS0_18inequality_wrapperIN6hipcub16HIPCUB_304000_NS8EqualityEEESF_JS6_EEE10hipError_tPvRmT3_T4_T5_T6_T7_T9_mT8_P12ihipStream_tbDpT10_ENKUlT_T0_E_clISt17integral_constantIbLb1EES15_IbLb0EEEEDaS11_S12_EUlS11_E_NS1_11comp_targetILNS1_3genE9ELNS1_11target_archE1100ELNS1_3gpuE3ELNS1_3repE0EEENS1_30default_config_static_selectorELNS0_4arch9wavefront6targetE1EEEvT1_
	.p2align	8
	.type	_ZN7rocprim17ROCPRIM_400000_NS6detail17trampoline_kernelINS0_14default_configENS1_25partition_config_selectorILNS1_17partition_subalgoE8ElNS0_10empty_typeEbEEZZNS1_14partition_implILS5_8ELb0ES3_jPKlPS6_PKS6_NS0_5tupleIJPlS6_EEENSE_IJSB_SB_EEENS0_18inequality_wrapperIN6hipcub16HIPCUB_304000_NS8EqualityEEESF_JS6_EEE10hipError_tPvRmT3_T4_T5_T6_T7_T9_mT8_P12ihipStream_tbDpT10_ENKUlT_T0_E_clISt17integral_constantIbLb1EES15_IbLb0EEEEDaS11_S12_EUlS11_E_NS1_11comp_targetILNS1_3genE9ELNS1_11target_archE1100ELNS1_3gpuE3ELNS1_3repE0EEENS1_30default_config_static_selectorELNS0_4arch9wavefront6targetE1EEEvT1_,@function
_ZN7rocprim17ROCPRIM_400000_NS6detail17trampoline_kernelINS0_14default_configENS1_25partition_config_selectorILNS1_17partition_subalgoE8ElNS0_10empty_typeEbEEZZNS1_14partition_implILS5_8ELb0ES3_jPKlPS6_PKS6_NS0_5tupleIJPlS6_EEENSE_IJSB_SB_EEENS0_18inequality_wrapperIN6hipcub16HIPCUB_304000_NS8EqualityEEESF_JS6_EEE10hipError_tPvRmT3_T4_T5_T6_T7_T9_mT8_P12ihipStream_tbDpT10_ENKUlT_T0_E_clISt17integral_constantIbLb1EES15_IbLb0EEEEDaS11_S12_EUlS11_E_NS1_11comp_targetILNS1_3genE9ELNS1_11target_archE1100ELNS1_3gpuE3ELNS1_3repE0EEENS1_30default_config_static_selectorELNS0_4arch9wavefront6targetE1EEEvT1_: ; @_ZN7rocprim17ROCPRIM_400000_NS6detail17trampoline_kernelINS0_14default_configENS1_25partition_config_selectorILNS1_17partition_subalgoE8ElNS0_10empty_typeEbEEZZNS1_14partition_implILS5_8ELb0ES3_jPKlPS6_PKS6_NS0_5tupleIJPlS6_EEENSE_IJSB_SB_EEENS0_18inequality_wrapperIN6hipcub16HIPCUB_304000_NS8EqualityEEESF_JS6_EEE10hipError_tPvRmT3_T4_T5_T6_T7_T9_mT8_P12ihipStream_tbDpT10_ENKUlT_T0_E_clISt17integral_constantIbLb1EES15_IbLb0EEEEDaS11_S12_EUlS11_E_NS1_11comp_targetILNS1_3genE9ELNS1_11target_archE1100ELNS1_3gpuE3ELNS1_3repE0EEENS1_30default_config_static_selectorELNS0_4arch9wavefront6targetE1EEEvT1_
; %bb.0:
	.section	.rodata,"a",@progbits
	.p2align	6, 0x0
	.amdhsa_kernel _ZN7rocprim17ROCPRIM_400000_NS6detail17trampoline_kernelINS0_14default_configENS1_25partition_config_selectorILNS1_17partition_subalgoE8ElNS0_10empty_typeEbEEZZNS1_14partition_implILS5_8ELb0ES3_jPKlPS6_PKS6_NS0_5tupleIJPlS6_EEENSE_IJSB_SB_EEENS0_18inequality_wrapperIN6hipcub16HIPCUB_304000_NS8EqualityEEESF_JS6_EEE10hipError_tPvRmT3_T4_T5_T6_T7_T9_mT8_P12ihipStream_tbDpT10_ENKUlT_T0_E_clISt17integral_constantIbLb1EES15_IbLb0EEEEDaS11_S12_EUlS11_E_NS1_11comp_targetILNS1_3genE9ELNS1_11target_archE1100ELNS1_3gpuE3ELNS1_3repE0EEENS1_30default_config_static_selectorELNS0_4arch9wavefront6targetE1EEEvT1_
		.amdhsa_group_segment_fixed_size 0
		.amdhsa_private_segment_fixed_size 0
		.amdhsa_kernarg_size 112
		.amdhsa_user_sgpr_count 2
		.amdhsa_user_sgpr_dispatch_ptr 0
		.amdhsa_user_sgpr_queue_ptr 0
		.amdhsa_user_sgpr_kernarg_segment_ptr 1
		.amdhsa_user_sgpr_dispatch_id 0
		.amdhsa_user_sgpr_kernarg_preload_length 0
		.amdhsa_user_sgpr_kernarg_preload_offset 0
		.amdhsa_user_sgpr_private_segment_size 0
		.amdhsa_uses_dynamic_stack 0
		.amdhsa_enable_private_segment 0
		.amdhsa_system_sgpr_workgroup_id_x 1
		.amdhsa_system_sgpr_workgroup_id_y 0
		.amdhsa_system_sgpr_workgroup_id_z 0
		.amdhsa_system_sgpr_workgroup_info 0
		.amdhsa_system_vgpr_workitem_id 0
		.amdhsa_next_free_vgpr 1
		.amdhsa_next_free_sgpr 0
		.amdhsa_accum_offset 4
		.amdhsa_reserve_vcc 0
		.amdhsa_float_round_mode_32 0
		.amdhsa_float_round_mode_16_64 0
		.amdhsa_float_denorm_mode_32 3
		.amdhsa_float_denorm_mode_16_64 3
		.amdhsa_dx10_clamp 1
		.amdhsa_ieee_mode 1
		.amdhsa_fp16_overflow 0
		.amdhsa_tg_split 0
		.amdhsa_exception_fp_ieee_invalid_op 0
		.amdhsa_exception_fp_denorm_src 0
		.amdhsa_exception_fp_ieee_div_zero 0
		.amdhsa_exception_fp_ieee_overflow 0
		.amdhsa_exception_fp_ieee_underflow 0
		.amdhsa_exception_fp_ieee_inexact 0
		.amdhsa_exception_int_div_zero 0
	.end_amdhsa_kernel
	.section	.text._ZN7rocprim17ROCPRIM_400000_NS6detail17trampoline_kernelINS0_14default_configENS1_25partition_config_selectorILNS1_17partition_subalgoE8ElNS0_10empty_typeEbEEZZNS1_14partition_implILS5_8ELb0ES3_jPKlPS6_PKS6_NS0_5tupleIJPlS6_EEENSE_IJSB_SB_EEENS0_18inequality_wrapperIN6hipcub16HIPCUB_304000_NS8EqualityEEESF_JS6_EEE10hipError_tPvRmT3_T4_T5_T6_T7_T9_mT8_P12ihipStream_tbDpT10_ENKUlT_T0_E_clISt17integral_constantIbLb1EES15_IbLb0EEEEDaS11_S12_EUlS11_E_NS1_11comp_targetILNS1_3genE9ELNS1_11target_archE1100ELNS1_3gpuE3ELNS1_3repE0EEENS1_30default_config_static_selectorELNS0_4arch9wavefront6targetE1EEEvT1_,"axG",@progbits,_ZN7rocprim17ROCPRIM_400000_NS6detail17trampoline_kernelINS0_14default_configENS1_25partition_config_selectorILNS1_17partition_subalgoE8ElNS0_10empty_typeEbEEZZNS1_14partition_implILS5_8ELb0ES3_jPKlPS6_PKS6_NS0_5tupleIJPlS6_EEENSE_IJSB_SB_EEENS0_18inequality_wrapperIN6hipcub16HIPCUB_304000_NS8EqualityEEESF_JS6_EEE10hipError_tPvRmT3_T4_T5_T6_T7_T9_mT8_P12ihipStream_tbDpT10_ENKUlT_T0_E_clISt17integral_constantIbLb1EES15_IbLb0EEEEDaS11_S12_EUlS11_E_NS1_11comp_targetILNS1_3genE9ELNS1_11target_archE1100ELNS1_3gpuE3ELNS1_3repE0EEENS1_30default_config_static_selectorELNS0_4arch9wavefront6targetE1EEEvT1_,comdat
.Lfunc_end248:
	.size	_ZN7rocprim17ROCPRIM_400000_NS6detail17trampoline_kernelINS0_14default_configENS1_25partition_config_selectorILNS1_17partition_subalgoE8ElNS0_10empty_typeEbEEZZNS1_14partition_implILS5_8ELb0ES3_jPKlPS6_PKS6_NS0_5tupleIJPlS6_EEENSE_IJSB_SB_EEENS0_18inequality_wrapperIN6hipcub16HIPCUB_304000_NS8EqualityEEESF_JS6_EEE10hipError_tPvRmT3_T4_T5_T6_T7_T9_mT8_P12ihipStream_tbDpT10_ENKUlT_T0_E_clISt17integral_constantIbLb1EES15_IbLb0EEEEDaS11_S12_EUlS11_E_NS1_11comp_targetILNS1_3genE9ELNS1_11target_archE1100ELNS1_3gpuE3ELNS1_3repE0EEENS1_30default_config_static_selectorELNS0_4arch9wavefront6targetE1EEEvT1_, .Lfunc_end248-_ZN7rocprim17ROCPRIM_400000_NS6detail17trampoline_kernelINS0_14default_configENS1_25partition_config_selectorILNS1_17partition_subalgoE8ElNS0_10empty_typeEbEEZZNS1_14partition_implILS5_8ELb0ES3_jPKlPS6_PKS6_NS0_5tupleIJPlS6_EEENSE_IJSB_SB_EEENS0_18inequality_wrapperIN6hipcub16HIPCUB_304000_NS8EqualityEEESF_JS6_EEE10hipError_tPvRmT3_T4_T5_T6_T7_T9_mT8_P12ihipStream_tbDpT10_ENKUlT_T0_E_clISt17integral_constantIbLb1EES15_IbLb0EEEEDaS11_S12_EUlS11_E_NS1_11comp_targetILNS1_3genE9ELNS1_11target_archE1100ELNS1_3gpuE3ELNS1_3repE0EEENS1_30default_config_static_selectorELNS0_4arch9wavefront6targetE1EEEvT1_
                                        ; -- End function
	.section	.AMDGPU.csdata,"",@progbits
; Kernel info:
; codeLenInByte = 0
; NumSgprs: 6
; NumVgprs: 0
; NumAgprs: 0
; TotalNumVgprs: 0
; ScratchSize: 0
; MemoryBound: 0
; FloatMode: 240
; IeeeMode: 1
; LDSByteSize: 0 bytes/workgroup (compile time only)
; SGPRBlocks: 0
; VGPRBlocks: 0
; NumSGPRsForWavesPerEU: 6
; NumVGPRsForWavesPerEU: 1
; AccumOffset: 4
; Occupancy: 8
; WaveLimiterHint : 0
; COMPUTE_PGM_RSRC2:SCRATCH_EN: 0
; COMPUTE_PGM_RSRC2:USER_SGPR: 2
; COMPUTE_PGM_RSRC2:TRAP_HANDLER: 0
; COMPUTE_PGM_RSRC2:TGID_X_EN: 1
; COMPUTE_PGM_RSRC2:TGID_Y_EN: 0
; COMPUTE_PGM_RSRC2:TGID_Z_EN: 0
; COMPUTE_PGM_RSRC2:TIDIG_COMP_CNT: 0
; COMPUTE_PGM_RSRC3_GFX90A:ACCUM_OFFSET: 0
; COMPUTE_PGM_RSRC3_GFX90A:TG_SPLIT: 0
	.section	.text._ZN7rocprim17ROCPRIM_400000_NS6detail17trampoline_kernelINS0_14default_configENS1_25partition_config_selectorILNS1_17partition_subalgoE8ElNS0_10empty_typeEbEEZZNS1_14partition_implILS5_8ELb0ES3_jPKlPS6_PKS6_NS0_5tupleIJPlS6_EEENSE_IJSB_SB_EEENS0_18inequality_wrapperIN6hipcub16HIPCUB_304000_NS8EqualityEEESF_JS6_EEE10hipError_tPvRmT3_T4_T5_T6_T7_T9_mT8_P12ihipStream_tbDpT10_ENKUlT_T0_E_clISt17integral_constantIbLb1EES15_IbLb0EEEEDaS11_S12_EUlS11_E_NS1_11comp_targetILNS1_3genE8ELNS1_11target_archE1030ELNS1_3gpuE2ELNS1_3repE0EEENS1_30default_config_static_selectorELNS0_4arch9wavefront6targetE1EEEvT1_,"axG",@progbits,_ZN7rocprim17ROCPRIM_400000_NS6detail17trampoline_kernelINS0_14default_configENS1_25partition_config_selectorILNS1_17partition_subalgoE8ElNS0_10empty_typeEbEEZZNS1_14partition_implILS5_8ELb0ES3_jPKlPS6_PKS6_NS0_5tupleIJPlS6_EEENSE_IJSB_SB_EEENS0_18inequality_wrapperIN6hipcub16HIPCUB_304000_NS8EqualityEEESF_JS6_EEE10hipError_tPvRmT3_T4_T5_T6_T7_T9_mT8_P12ihipStream_tbDpT10_ENKUlT_T0_E_clISt17integral_constantIbLb1EES15_IbLb0EEEEDaS11_S12_EUlS11_E_NS1_11comp_targetILNS1_3genE8ELNS1_11target_archE1030ELNS1_3gpuE2ELNS1_3repE0EEENS1_30default_config_static_selectorELNS0_4arch9wavefront6targetE1EEEvT1_,comdat
	.protected	_ZN7rocprim17ROCPRIM_400000_NS6detail17trampoline_kernelINS0_14default_configENS1_25partition_config_selectorILNS1_17partition_subalgoE8ElNS0_10empty_typeEbEEZZNS1_14partition_implILS5_8ELb0ES3_jPKlPS6_PKS6_NS0_5tupleIJPlS6_EEENSE_IJSB_SB_EEENS0_18inequality_wrapperIN6hipcub16HIPCUB_304000_NS8EqualityEEESF_JS6_EEE10hipError_tPvRmT3_T4_T5_T6_T7_T9_mT8_P12ihipStream_tbDpT10_ENKUlT_T0_E_clISt17integral_constantIbLb1EES15_IbLb0EEEEDaS11_S12_EUlS11_E_NS1_11comp_targetILNS1_3genE8ELNS1_11target_archE1030ELNS1_3gpuE2ELNS1_3repE0EEENS1_30default_config_static_selectorELNS0_4arch9wavefront6targetE1EEEvT1_ ; -- Begin function _ZN7rocprim17ROCPRIM_400000_NS6detail17trampoline_kernelINS0_14default_configENS1_25partition_config_selectorILNS1_17partition_subalgoE8ElNS0_10empty_typeEbEEZZNS1_14partition_implILS5_8ELb0ES3_jPKlPS6_PKS6_NS0_5tupleIJPlS6_EEENSE_IJSB_SB_EEENS0_18inequality_wrapperIN6hipcub16HIPCUB_304000_NS8EqualityEEESF_JS6_EEE10hipError_tPvRmT3_T4_T5_T6_T7_T9_mT8_P12ihipStream_tbDpT10_ENKUlT_T0_E_clISt17integral_constantIbLb1EES15_IbLb0EEEEDaS11_S12_EUlS11_E_NS1_11comp_targetILNS1_3genE8ELNS1_11target_archE1030ELNS1_3gpuE2ELNS1_3repE0EEENS1_30default_config_static_selectorELNS0_4arch9wavefront6targetE1EEEvT1_
	.globl	_ZN7rocprim17ROCPRIM_400000_NS6detail17trampoline_kernelINS0_14default_configENS1_25partition_config_selectorILNS1_17partition_subalgoE8ElNS0_10empty_typeEbEEZZNS1_14partition_implILS5_8ELb0ES3_jPKlPS6_PKS6_NS0_5tupleIJPlS6_EEENSE_IJSB_SB_EEENS0_18inequality_wrapperIN6hipcub16HIPCUB_304000_NS8EqualityEEESF_JS6_EEE10hipError_tPvRmT3_T4_T5_T6_T7_T9_mT8_P12ihipStream_tbDpT10_ENKUlT_T0_E_clISt17integral_constantIbLb1EES15_IbLb0EEEEDaS11_S12_EUlS11_E_NS1_11comp_targetILNS1_3genE8ELNS1_11target_archE1030ELNS1_3gpuE2ELNS1_3repE0EEENS1_30default_config_static_selectorELNS0_4arch9wavefront6targetE1EEEvT1_
	.p2align	8
	.type	_ZN7rocprim17ROCPRIM_400000_NS6detail17trampoline_kernelINS0_14default_configENS1_25partition_config_selectorILNS1_17partition_subalgoE8ElNS0_10empty_typeEbEEZZNS1_14partition_implILS5_8ELb0ES3_jPKlPS6_PKS6_NS0_5tupleIJPlS6_EEENSE_IJSB_SB_EEENS0_18inequality_wrapperIN6hipcub16HIPCUB_304000_NS8EqualityEEESF_JS6_EEE10hipError_tPvRmT3_T4_T5_T6_T7_T9_mT8_P12ihipStream_tbDpT10_ENKUlT_T0_E_clISt17integral_constantIbLb1EES15_IbLb0EEEEDaS11_S12_EUlS11_E_NS1_11comp_targetILNS1_3genE8ELNS1_11target_archE1030ELNS1_3gpuE2ELNS1_3repE0EEENS1_30default_config_static_selectorELNS0_4arch9wavefront6targetE1EEEvT1_,@function
_ZN7rocprim17ROCPRIM_400000_NS6detail17trampoline_kernelINS0_14default_configENS1_25partition_config_selectorILNS1_17partition_subalgoE8ElNS0_10empty_typeEbEEZZNS1_14partition_implILS5_8ELb0ES3_jPKlPS6_PKS6_NS0_5tupleIJPlS6_EEENSE_IJSB_SB_EEENS0_18inequality_wrapperIN6hipcub16HIPCUB_304000_NS8EqualityEEESF_JS6_EEE10hipError_tPvRmT3_T4_T5_T6_T7_T9_mT8_P12ihipStream_tbDpT10_ENKUlT_T0_E_clISt17integral_constantIbLb1EES15_IbLb0EEEEDaS11_S12_EUlS11_E_NS1_11comp_targetILNS1_3genE8ELNS1_11target_archE1030ELNS1_3gpuE2ELNS1_3repE0EEENS1_30default_config_static_selectorELNS0_4arch9wavefront6targetE1EEEvT1_: ; @_ZN7rocprim17ROCPRIM_400000_NS6detail17trampoline_kernelINS0_14default_configENS1_25partition_config_selectorILNS1_17partition_subalgoE8ElNS0_10empty_typeEbEEZZNS1_14partition_implILS5_8ELb0ES3_jPKlPS6_PKS6_NS0_5tupleIJPlS6_EEENSE_IJSB_SB_EEENS0_18inequality_wrapperIN6hipcub16HIPCUB_304000_NS8EqualityEEESF_JS6_EEE10hipError_tPvRmT3_T4_T5_T6_T7_T9_mT8_P12ihipStream_tbDpT10_ENKUlT_T0_E_clISt17integral_constantIbLb1EES15_IbLb0EEEEDaS11_S12_EUlS11_E_NS1_11comp_targetILNS1_3genE8ELNS1_11target_archE1030ELNS1_3gpuE2ELNS1_3repE0EEENS1_30default_config_static_selectorELNS0_4arch9wavefront6targetE1EEEvT1_
; %bb.0:
	.section	.rodata,"a",@progbits
	.p2align	6, 0x0
	.amdhsa_kernel _ZN7rocprim17ROCPRIM_400000_NS6detail17trampoline_kernelINS0_14default_configENS1_25partition_config_selectorILNS1_17partition_subalgoE8ElNS0_10empty_typeEbEEZZNS1_14partition_implILS5_8ELb0ES3_jPKlPS6_PKS6_NS0_5tupleIJPlS6_EEENSE_IJSB_SB_EEENS0_18inequality_wrapperIN6hipcub16HIPCUB_304000_NS8EqualityEEESF_JS6_EEE10hipError_tPvRmT3_T4_T5_T6_T7_T9_mT8_P12ihipStream_tbDpT10_ENKUlT_T0_E_clISt17integral_constantIbLb1EES15_IbLb0EEEEDaS11_S12_EUlS11_E_NS1_11comp_targetILNS1_3genE8ELNS1_11target_archE1030ELNS1_3gpuE2ELNS1_3repE0EEENS1_30default_config_static_selectorELNS0_4arch9wavefront6targetE1EEEvT1_
		.amdhsa_group_segment_fixed_size 0
		.amdhsa_private_segment_fixed_size 0
		.amdhsa_kernarg_size 112
		.amdhsa_user_sgpr_count 2
		.amdhsa_user_sgpr_dispatch_ptr 0
		.amdhsa_user_sgpr_queue_ptr 0
		.amdhsa_user_sgpr_kernarg_segment_ptr 1
		.amdhsa_user_sgpr_dispatch_id 0
		.amdhsa_user_sgpr_kernarg_preload_length 0
		.amdhsa_user_sgpr_kernarg_preload_offset 0
		.amdhsa_user_sgpr_private_segment_size 0
		.amdhsa_uses_dynamic_stack 0
		.amdhsa_enable_private_segment 0
		.amdhsa_system_sgpr_workgroup_id_x 1
		.amdhsa_system_sgpr_workgroup_id_y 0
		.amdhsa_system_sgpr_workgroup_id_z 0
		.amdhsa_system_sgpr_workgroup_info 0
		.amdhsa_system_vgpr_workitem_id 0
		.amdhsa_next_free_vgpr 1
		.amdhsa_next_free_sgpr 0
		.amdhsa_accum_offset 4
		.amdhsa_reserve_vcc 0
		.amdhsa_float_round_mode_32 0
		.amdhsa_float_round_mode_16_64 0
		.amdhsa_float_denorm_mode_32 3
		.amdhsa_float_denorm_mode_16_64 3
		.amdhsa_dx10_clamp 1
		.amdhsa_ieee_mode 1
		.amdhsa_fp16_overflow 0
		.amdhsa_tg_split 0
		.amdhsa_exception_fp_ieee_invalid_op 0
		.amdhsa_exception_fp_denorm_src 0
		.amdhsa_exception_fp_ieee_div_zero 0
		.amdhsa_exception_fp_ieee_overflow 0
		.amdhsa_exception_fp_ieee_underflow 0
		.amdhsa_exception_fp_ieee_inexact 0
		.amdhsa_exception_int_div_zero 0
	.end_amdhsa_kernel
	.section	.text._ZN7rocprim17ROCPRIM_400000_NS6detail17trampoline_kernelINS0_14default_configENS1_25partition_config_selectorILNS1_17partition_subalgoE8ElNS0_10empty_typeEbEEZZNS1_14partition_implILS5_8ELb0ES3_jPKlPS6_PKS6_NS0_5tupleIJPlS6_EEENSE_IJSB_SB_EEENS0_18inequality_wrapperIN6hipcub16HIPCUB_304000_NS8EqualityEEESF_JS6_EEE10hipError_tPvRmT3_T4_T5_T6_T7_T9_mT8_P12ihipStream_tbDpT10_ENKUlT_T0_E_clISt17integral_constantIbLb1EES15_IbLb0EEEEDaS11_S12_EUlS11_E_NS1_11comp_targetILNS1_3genE8ELNS1_11target_archE1030ELNS1_3gpuE2ELNS1_3repE0EEENS1_30default_config_static_selectorELNS0_4arch9wavefront6targetE1EEEvT1_,"axG",@progbits,_ZN7rocprim17ROCPRIM_400000_NS6detail17trampoline_kernelINS0_14default_configENS1_25partition_config_selectorILNS1_17partition_subalgoE8ElNS0_10empty_typeEbEEZZNS1_14partition_implILS5_8ELb0ES3_jPKlPS6_PKS6_NS0_5tupleIJPlS6_EEENSE_IJSB_SB_EEENS0_18inequality_wrapperIN6hipcub16HIPCUB_304000_NS8EqualityEEESF_JS6_EEE10hipError_tPvRmT3_T4_T5_T6_T7_T9_mT8_P12ihipStream_tbDpT10_ENKUlT_T0_E_clISt17integral_constantIbLb1EES15_IbLb0EEEEDaS11_S12_EUlS11_E_NS1_11comp_targetILNS1_3genE8ELNS1_11target_archE1030ELNS1_3gpuE2ELNS1_3repE0EEENS1_30default_config_static_selectorELNS0_4arch9wavefront6targetE1EEEvT1_,comdat
.Lfunc_end249:
	.size	_ZN7rocprim17ROCPRIM_400000_NS6detail17trampoline_kernelINS0_14default_configENS1_25partition_config_selectorILNS1_17partition_subalgoE8ElNS0_10empty_typeEbEEZZNS1_14partition_implILS5_8ELb0ES3_jPKlPS6_PKS6_NS0_5tupleIJPlS6_EEENSE_IJSB_SB_EEENS0_18inequality_wrapperIN6hipcub16HIPCUB_304000_NS8EqualityEEESF_JS6_EEE10hipError_tPvRmT3_T4_T5_T6_T7_T9_mT8_P12ihipStream_tbDpT10_ENKUlT_T0_E_clISt17integral_constantIbLb1EES15_IbLb0EEEEDaS11_S12_EUlS11_E_NS1_11comp_targetILNS1_3genE8ELNS1_11target_archE1030ELNS1_3gpuE2ELNS1_3repE0EEENS1_30default_config_static_selectorELNS0_4arch9wavefront6targetE1EEEvT1_, .Lfunc_end249-_ZN7rocprim17ROCPRIM_400000_NS6detail17trampoline_kernelINS0_14default_configENS1_25partition_config_selectorILNS1_17partition_subalgoE8ElNS0_10empty_typeEbEEZZNS1_14partition_implILS5_8ELb0ES3_jPKlPS6_PKS6_NS0_5tupleIJPlS6_EEENSE_IJSB_SB_EEENS0_18inequality_wrapperIN6hipcub16HIPCUB_304000_NS8EqualityEEESF_JS6_EEE10hipError_tPvRmT3_T4_T5_T6_T7_T9_mT8_P12ihipStream_tbDpT10_ENKUlT_T0_E_clISt17integral_constantIbLb1EES15_IbLb0EEEEDaS11_S12_EUlS11_E_NS1_11comp_targetILNS1_3genE8ELNS1_11target_archE1030ELNS1_3gpuE2ELNS1_3repE0EEENS1_30default_config_static_selectorELNS0_4arch9wavefront6targetE1EEEvT1_
                                        ; -- End function
	.section	.AMDGPU.csdata,"",@progbits
; Kernel info:
; codeLenInByte = 0
; NumSgprs: 6
; NumVgprs: 0
; NumAgprs: 0
; TotalNumVgprs: 0
; ScratchSize: 0
; MemoryBound: 0
; FloatMode: 240
; IeeeMode: 1
; LDSByteSize: 0 bytes/workgroup (compile time only)
; SGPRBlocks: 0
; VGPRBlocks: 0
; NumSGPRsForWavesPerEU: 6
; NumVGPRsForWavesPerEU: 1
; AccumOffset: 4
; Occupancy: 8
; WaveLimiterHint : 0
; COMPUTE_PGM_RSRC2:SCRATCH_EN: 0
; COMPUTE_PGM_RSRC2:USER_SGPR: 2
; COMPUTE_PGM_RSRC2:TRAP_HANDLER: 0
; COMPUTE_PGM_RSRC2:TGID_X_EN: 1
; COMPUTE_PGM_RSRC2:TGID_Y_EN: 0
; COMPUTE_PGM_RSRC2:TGID_Z_EN: 0
; COMPUTE_PGM_RSRC2:TIDIG_COMP_CNT: 0
; COMPUTE_PGM_RSRC3_GFX90A:ACCUM_OFFSET: 0
; COMPUTE_PGM_RSRC3_GFX90A:TG_SPLIT: 0
	.section	.text._ZN7rocprim17ROCPRIM_400000_NS6detail17trampoline_kernelINS0_14default_configENS1_25partition_config_selectorILNS1_17partition_subalgoE8ElNS0_10empty_typeEbEEZZNS1_14partition_implILS5_8ELb0ES3_jPKlPS6_PKS6_NS0_5tupleIJPlS6_EEENSE_IJSB_SB_EEENS0_18inequality_wrapperIN6hipcub16HIPCUB_304000_NS8EqualityEEESF_JS6_EEE10hipError_tPvRmT3_T4_T5_T6_T7_T9_mT8_P12ihipStream_tbDpT10_ENKUlT_T0_E_clISt17integral_constantIbLb0EES15_IbLb1EEEEDaS11_S12_EUlS11_E_NS1_11comp_targetILNS1_3genE0ELNS1_11target_archE4294967295ELNS1_3gpuE0ELNS1_3repE0EEENS1_30default_config_static_selectorELNS0_4arch9wavefront6targetE1EEEvT1_,"axG",@progbits,_ZN7rocprim17ROCPRIM_400000_NS6detail17trampoline_kernelINS0_14default_configENS1_25partition_config_selectorILNS1_17partition_subalgoE8ElNS0_10empty_typeEbEEZZNS1_14partition_implILS5_8ELb0ES3_jPKlPS6_PKS6_NS0_5tupleIJPlS6_EEENSE_IJSB_SB_EEENS0_18inequality_wrapperIN6hipcub16HIPCUB_304000_NS8EqualityEEESF_JS6_EEE10hipError_tPvRmT3_T4_T5_T6_T7_T9_mT8_P12ihipStream_tbDpT10_ENKUlT_T0_E_clISt17integral_constantIbLb0EES15_IbLb1EEEEDaS11_S12_EUlS11_E_NS1_11comp_targetILNS1_3genE0ELNS1_11target_archE4294967295ELNS1_3gpuE0ELNS1_3repE0EEENS1_30default_config_static_selectorELNS0_4arch9wavefront6targetE1EEEvT1_,comdat
	.protected	_ZN7rocprim17ROCPRIM_400000_NS6detail17trampoline_kernelINS0_14default_configENS1_25partition_config_selectorILNS1_17partition_subalgoE8ElNS0_10empty_typeEbEEZZNS1_14partition_implILS5_8ELb0ES3_jPKlPS6_PKS6_NS0_5tupleIJPlS6_EEENSE_IJSB_SB_EEENS0_18inequality_wrapperIN6hipcub16HIPCUB_304000_NS8EqualityEEESF_JS6_EEE10hipError_tPvRmT3_T4_T5_T6_T7_T9_mT8_P12ihipStream_tbDpT10_ENKUlT_T0_E_clISt17integral_constantIbLb0EES15_IbLb1EEEEDaS11_S12_EUlS11_E_NS1_11comp_targetILNS1_3genE0ELNS1_11target_archE4294967295ELNS1_3gpuE0ELNS1_3repE0EEENS1_30default_config_static_selectorELNS0_4arch9wavefront6targetE1EEEvT1_ ; -- Begin function _ZN7rocprim17ROCPRIM_400000_NS6detail17trampoline_kernelINS0_14default_configENS1_25partition_config_selectorILNS1_17partition_subalgoE8ElNS0_10empty_typeEbEEZZNS1_14partition_implILS5_8ELb0ES3_jPKlPS6_PKS6_NS0_5tupleIJPlS6_EEENSE_IJSB_SB_EEENS0_18inequality_wrapperIN6hipcub16HIPCUB_304000_NS8EqualityEEESF_JS6_EEE10hipError_tPvRmT3_T4_T5_T6_T7_T9_mT8_P12ihipStream_tbDpT10_ENKUlT_T0_E_clISt17integral_constantIbLb0EES15_IbLb1EEEEDaS11_S12_EUlS11_E_NS1_11comp_targetILNS1_3genE0ELNS1_11target_archE4294967295ELNS1_3gpuE0ELNS1_3repE0EEENS1_30default_config_static_selectorELNS0_4arch9wavefront6targetE1EEEvT1_
	.globl	_ZN7rocprim17ROCPRIM_400000_NS6detail17trampoline_kernelINS0_14default_configENS1_25partition_config_selectorILNS1_17partition_subalgoE8ElNS0_10empty_typeEbEEZZNS1_14partition_implILS5_8ELb0ES3_jPKlPS6_PKS6_NS0_5tupleIJPlS6_EEENSE_IJSB_SB_EEENS0_18inequality_wrapperIN6hipcub16HIPCUB_304000_NS8EqualityEEESF_JS6_EEE10hipError_tPvRmT3_T4_T5_T6_T7_T9_mT8_P12ihipStream_tbDpT10_ENKUlT_T0_E_clISt17integral_constantIbLb0EES15_IbLb1EEEEDaS11_S12_EUlS11_E_NS1_11comp_targetILNS1_3genE0ELNS1_11target_archE4294967295ELNS1_3gpuE0ELNS1_3repE0EEENS1_30default_config_static_selectorELNS0_4arch9wavefront6targetE1EEEvT1_
	.p2align	8
	.type	_ZN7rocprim17ROCPRIM_400000_NS6detail17trampoline_kernelINS0_14default_configENS1_25partition_config_selectorILNS1_17partition_subalgoE8ElNS0_10empty_typeEbEEZZNS1_14partition_implILS5_8ELb0ES3_jPKlPS6_PKS6_NS0_5tupleIJPlS6_EEENSE_IJSB_SB_EEENS0_18inequality_wrapperIN6hipcub16HIPCUB_304000_NS8EqualityEEESF_JS6_EEE10hipError_tPvRmT3_T4_T5_T6_T7_T9_mT8_P12ihipStream_tbDpT10_ENKUlT_T0_E_clISt17integral_constantIbLb0EES15_IbLb1EEEEDaS11_S12_EUlS11_E_NS1_11comp_targetILNS1_3genE0ELNS1_11target_archE4294967295ELNS1_3gpuE0ELNS1_3repE0EEENS1_30default_config_static_selectorELNS0_4arch9wavefront6targetE1EEEvT1_,@function
_ZN7rocprim17ROCPRIM_400000_NS6detail17trampoline_kernelINS0_14default_configENS1_25partition_config_selectorILNS1_17partition_subalgoE8ElNS0_10empty_typeEbEEZZNS1_14partition_implILS5_8ELb0ES3_jPKlPS6_PKS6_NS0_5tupleIJPlS6_EEENSE_IJSB_SB_EEENS0_18inequality_wrapperIN6hipcub16HIPCUB_304000_NS8EqualityEEESF_JS6_EEE10hipError_tPvRmT3_T4_T5_T6_T7_T9_mT8_P12ihipStream_tbDpT10_ENKUlT_T0_E_clISt17integral_constantIbLb0EES15_IbLb1EEEEDaS11_S12_EUlS11_E_NS1_11comp_targetILNS1_3genE0ELNS1_11target_archE4294967295ELNS1_3gpuE0ELNS1_3repE0EEENS1_30default_config_static_selectorELNS0_4arch9wavefront6targetE1EEEvT1_: ; @_ZN7rocprim17ROCPRIM_400000_NS6detail17trampoline_kernelINS0_14default_configENS1_25partition_config_selectorILNS1_17partition_subalgoE8ElNS0_10empty_typeEbEEZZNS1_14partition_implILS5_8ELb0ES3_jPKlPS6_PKS6_NS0_5tupleIJPlS6_EEENSE_IJSB_SB_EEENS0_18inequality_wrapperIN6hipcub16HIPCUB_304000_NS8EqualityEEESF_JS6_EEE10hipError_tPvRmT3_T4_T5_T6_T7_T9_mT8_P12ihipStream_tbDpT10_ENKUlT_T0_E_clISt17integral_constantIbLb0EES15_IbLb1EEEEDaS11_S12_EUlS11_E_NS1_11comp_targetILNS1_3genE0ELNS1_11target_archE4294967295ELNS1_3gpuE0ELNS1_3repE0EEENS1_30default_config_static_selectorELNS0_4arch9wavefront6targetE1EEEvT1_
; %bb.0:
	.section	.rodata,"a",@progbits
	.p2align	6, 0x0
	.amdhsa_kernel _ZN7rocprim17ROCPRIM_400000_NS6detail17trampoline_kernelINS0_14default_configENS1_25partition_config_selectorILNS1_17partition_subalgoE8ElNS0_10empty_typeEbEEZZNS1_14partition_implILS5_8ELb0ES3_jPKlPS6_PKS6_NS0_5tupleIJPlS6_EEENSE_IJSB_SB_EEENS0_18inequality_wrapperIN6hipcub16HIPCUB_304000_NS8EqualityEEESF_JS6_EEE10hipError_tPvRmT3_T4_T5_T6_T7_T9_mT8_P12ihipStream_tbDpT10_ENKUlT_T0_E_clISt17integral_constantIbLb0EES15_IbLb1EEEEDaS11_S12_EUlS11_E_NS1_11comp_targetILNS1_3genE0ELNS1_11target_archE4294967295ELNS1_3gpuE0ELNS1_3repE0EEENS1_30default_config_static_selectorELNS0_4arch9wavefront6targetE1EEEvT1_
		.amdhsa_group_segment_fixed_size 0
		.amdhsa_private_segment_fixed_size 0
		.amdhsa_kernarg_size 128
		.amdhsa_user_sgpr_count 2
		.amdhsa_user_sgpr_dispatch_ptr 0
		.amdhsa_user_sgpr_queue_ptr 0
		.amdhsa_user_sgpr_kernarg_segment_ptr 1
		.amdhsa_user_sgpr_dispatch_id 0
		.amdhsa_user_sgpr_kernarg_preload_length 0
		.amdhsa_user_sgpr_kernarg_preload_offset 0
		.amdhsa_user_sgpr_private_segment_size 0
		.amdhsa_uses_dynamic_stack 0
		.amdhsa_enable_private_segment 0
		.amdhsa_system_sgpr_workgroup_id_x 1
		.amdhsa_system_sgpr_workgroup_id_y 0
		.amdhsa_system_sgpr_workgroup_id_z 0
		.amdhsa_system_sgpr_workgroup_info 0
		.amdhsa_system_vgpr_workitem_id 0
		.amdhsa_next_free_vgpr 1
		.amdhsa_next_free_sgpr 0
		.amdhsa_accum_offset 4
		.amdhsa_reserve_vcc 0
		.amdhsa_float_round_mode_32 0
		.amdhsa_float_round_mode_16_64 0
		.amdhsa_float_denorm_mode_32 3
		.amdhsa_float_denorm_mode_16_64 3
		.amdhsa_dx10_clamp 1
		.amdhsa_ieee_mode 1
		.amdhsa_fp16_overflow 0
		.amdhsa_tg_split 0
		.amdhsa_exception_fp_ieee_invalid_op 0
		.amdhsa_exception_fp_denorm_src 0
		.amdhsa_exception_fp_ieee_div_zero 0
		.amdhsa_exception_fp_ieee_overflow 0
		.amdhsa_exception_fp_ieee_underflow 0
		.amdhsa_exception_fp_ieee_inexact 0
		.amdhsa_exception_int_div_zero 0
	.end_amdhsa_kernel
	.section	.text._ZN7rocprim17ROCPRIM_400000_NS6detail17trampoline_kernelINS0_14default_configENS1_25partition_config_selectorILNS1_17partition_subalgoE8ElNS0_10empty_typeEbEEZZNS1_14partition_implILS5_8ELb0ES3_jPKlPS6_PKS6_NS0_5tupleIJPlS6_EEENSE_IJSB_SB_EEENS0_18inequality_wrapperIN6hipcub16HIPCUB_304000_NS8EqualityEEESF_JS6_EEE10hipError_tPvRmT3_T4_T5_T6_T7_T9_mT8_P12ihipStream_tbDpT10_ENKUlT_T0_E_clISt17integral_constantIbLb0EES15_IbLb1EEEEDaS11_S12_EUlS11_E_NS1_11comp_targetILNS1_3genE0ELNS1_11target_archE4294967295ELNS1_3gpuE0ELNS1_3repE0EEENS1_30default_config_static_selectorELNS0_4arch9wavefront6targetE1EEEvT1_,"axG",@progbits,_ZN7rocprim17ROCPRIM_400000_NS6detail17trampoline_kernelINS0_14default_configENS1_25partition_config_selectorILNS1_17partition_subalgoE8ElNS0_10empty_typeEbEEZZNS1_14partition_implILS5_8ELb0ES3_jPKlPS6_PKS6_NS0_5tupleIJPlS6_EEENSE_IJSB_SB_EEENS0_18inequality_wrapperIN6hipcub16HIPCUB_304000_NS8EqualityEEESF_JS6_EEE10hipError_tPvRmT3_T4_T5_T6_T7_T9_mT8_P12ihipStream_tbDpT10_ENKUlT_T0_E_clISt17integral_constantIbLb0EES15_IbLb1EEEEDaS11_S12_EUlS11_E_NS1_11comp_targetILNS1_3genE0ELNS1_11target_archE4294967295ELNS1_3gpuE0ELNS1_3repE0EEENS1_30default_config_static_selectorELNS0_4arch9wavefront6targetE1EEEvT1_,comdat
.Lfunc_end250:
	.size	_ZN7rocprim17ROCPRIM_400000_NS6detail17trampoline_kernelINS0_14default_configENS1_25partition_config_selectorILNS1_17partition_subalgoE8ElNS0_10empty_typeEbEEZZNS1_14partition_implILS5_8ELb0ES3_jPKlPS6_PKS6_NS0_5tupleIJPlS6_EEENSE_IJSB_SB_EEENS0_18inequality_wrapperIN6hipcub16HIPCUB_304000_NS8EqualityEEESF_JS6_EEE10hipError_tPvRmT3_T4_T5_T6_T7_T9_mT8_P12ihipStream_tbDpT10_ENKUlT_T0_E_clISt17integral_constantIbLb0EES15_IbLb1EEEEDaS11_S12_EUlS11_E_NS1_11comp_targetILNS1_3genE0ELNS1_11target_archE4294967295ELNS1_3gpuE0ELNS1_3repE0EEENS1_30default_config_static_selectorELNS0_4arch9wavefront6targetE1EEEvT1_, .Lfunc_end250-_ZN7rocprim17ROCPRIM_400000_NS6detail17trampoline_kernelINS0_14default_configENS1_25partition_config_selectorILNS1_17partition_subalgoE8ElNS0_10empty_typeEbEEZZNS1_14partition_implILS5_8ELb0ES3_jPKlPS6_PKS6_NS0_5tupleIJPlS6_EEENSE_IJSB_SB_EEENS0_18inequality_wrapperIN6hipcub16HIPCUB_304000_NS8EqualityEEESF_JS6_EEE10hipError_tPvRmT3_T4_T5_T6_T7_T9_mT8_P12ihipStream_tbDpT10_ENKUlT_T0_E_clISt17integral_constantIbLb0EES15_IbLb1EEEEDaS11_S12_EUlS11_E_NS1_11comp_targetILNS1_3genE0ELNS1_11target_archE4294967295ELNS1_3gpuE0ELNS1_3repE0EEENS1_30default_config_static_selectorELNS0_4arch9wavefront6targetE1EEEvT1_
                                        ; -- End function
	.section	.AMDGPU.csdata,"",@progbits
; Kernel info:
; codeLenInByte = 0
; NumSgprs: 6
; NumVgprs: 0
; NumAgprs: 0
; TotalNumVgprs: 0
; ScratchSize: 0
; MemoryBound: 0
; FloatMode: 240
; IeeeMode: 1
; LDSByteSize: 0 bytes/workgroup (compile time only)
; SGPRBlocks: 0
; VGPRBlocks: 0
; NumSGPRsForWavesPerEU: 6
; NumVGPRsForWavesPerEU: 1
; AccumOffset: 4
; Occupancy: 8
; WaveLimiterHint : 0
; COMPUTE_PGM_RSRC2:SCRATCH_EN: 0
; COMPUTE_PGM_RSRC2:USER_SGPR: 2
; COMPUTE_PGM_RSRC2:TRAP_HANDLER: 0
; COMPUTE_PGM_RSRC2:TGID_X_EN: 1
; COMPUTE_PGM_RSRC2:TGID_Y_EN: 0
; COMPUTE_PGM_RSRC2:TGID_Z_EN: 0
; COMPUTE_PGM_RSRC2:TIDIG_COMP_CNT: 0
; COMPUTE_PGM_RSRC3_GFX90A:ACCUM_OFFSET: 0
; COMPUTE_PGM_RSRC3_GFX90A:TG_SPLIT: 0
	.section	.text._ZN7rocprim17ROCPRIM_400000_NS6detail17trampoline_kernelINS0_14default_configENS1_25partition_config_selectorILNS1_17partition_subalgoE8ElNS0_10empty_typeEbEEZZNS1_14partition_implILS5_8ELb0ES3_jPKlPS6_PKS6_NS0_5tupleIJPlS6_EEENSE_IJSB_SB_EEENS0_18inequality_wrapperIN6hipcub16HIPCUB_304000_NS8EqualityEEESF_JS6_EEE10hipError_tPvRmT3_T4_T5_T6_T7_T9_mT8_P12ihipStream_tbDpT10_ENKUlT_T0_E_clISt17integral_constantIbLb0EES15_IbLb1EEEEDaS11_S12_EUlS11_E_NS1_11comp_targetILNS1_3genE5ELNS1_11target_archE942ELNS1_3gpuE9ELNS1_3repE0EEENS1_30default_config_static_selectorELNS0_4arch9wavefront6targetE1EEEvT1_,"axG",@progbits,_ZN7rocprim17ROCPRIM_400000_NS6detail17trampoline_kernelINS0_14default_configENS1_25partition_config_selectorILNS1_17partition_subalgoE8ElNS0_10empty_typeEbEEZZNS1_14partition_implILS5_8ELb0ES3_jPKlPS6_PKS6_NS0_5tupleIJPlS6_EEENSE_IJSB_SB_EEENS0_18inequality_wrapperIN6hipcub16HIPCUB_304000_NS8EqualityEEESF_JS6_EEE10hipError_tPvRmT3_T4_T5_T6_T7_T9_mT8_P12ihipStream_tbDpT10_ENKUlT_T0_E_clISt17integral_constantIbLb0EES15_IbLb1EEEEDaS11_S12_EUlS11_E_NS1_11comp_targetILNS1_3genE5ELNS1_11target_archE942ELNS1_3gpuE9ELNS1_3repE0EEENS1_30default_config_static_selectorELNS0_4arch9wavefront6targetE1EEEvT1_,comdat
	.protected	_ZN7rocprim17ROCPRIM_400000_NS6detail17trampoline_kernelINS0_14default_configENS1_25partition_config_selectorILNS1_17partition_subalgoE8ElNS0_10empty_typeEbEEZZNS1_14partition_implILS5_8ELb0ES3_jPKlPS6_PKS6_NS0_5tupleIJPlS6_EEENSE_IJSB_SB_EEENS0_18inequality_wrapperIN6hipcub16HIPCUB_304000_NS8EqualityEEESF_JS6_EEE10hipError_tPvRmT3_T4_T5_T6_T7_T9_mT8_P12ihipStream_tbDpT10_ENKUlT_T0_E_clISt17integral_constantIbLb0EES15_IbLb1EEEEDaS11_S12_EUlS11_E_NS1_11comp_targetILNS1_3genE5ELNS1_11target_archE942ELNS1_3gpuE9ELNS1_3repE0EEENS1_30default_config_static_selectorELNS0_4arch9wavefront6targetE1EEEvT1_ ; -- Begin function _ZN7rocprim17ROCPRIM_400000_NS6detail17trampoline_kernelINS0_14default_configENS1_25partition_config_selectorILNS1_17partition_subalgoE8ElNS0_10empty_typeEbEEZZNS1_14partition_implILS5_8ELb0ES3_jPKlPS6_PKS6_NS0_5tupleIJPlS6_EEENSE_IJSB_SB_EEENS0_18inequality_wrapperIN6hipcub16HIPCUB_304000_NS8EqualityEEESF_JS6_EEE10hipError_tPvRmT3_T4_T5_T6_T7_T9_mT8_P12ihipStream_tbDpT10_ENKUlT_T0_E_clISt17integral_constantIbLb0EES15_IbLb1EEEEDaS11_S12_EUlS11_E_NS1_11comp_targetILNS1_3genE5ELNS1_11target_archE942ELNS1_3gpuE9ELNS1_3repE0EEENS1_30default_config_static_selectorELNS0_4arch9wavefront6targetE1EEEvT1_
	.globl	_ZN7rocprim17ROCPRIM_400000_NS6detail17trampoline_kernelINS0_14default_configENS1_25partition_config_selectorILNS1_17partition_subalgoE8ElNS0_10empty_typeEbEEZZNS1_14partition_implILS5_8ELb0ES3_jPKlPS6_PKS6_NS0_5tupleIJPlS6_EEENSE_IJSB_SB_EEENS0_18inequality_wrapperIN6hipcub16HIPCUB_304000_NS8EqualityEEESF_JS6_EEE10hipError_tPvRmT3_T4_T5_T6_T7_T9_mT8_P12ihipStream_tbDpT10_ENKUlT_T0_E_clISt17integral_constantIbLb0EES15_IbLb1EEEEDaS11_S12_EUlS11_E_NS1_11comp_targetILNS1_3genE5ELNS1_11target_archE942ELNS1_3gpuE9ELNS1_3repE0EEENS1_30default_config_static_selectorELNS0_4arch9wavefront6targetE1EEEvT1_
	.p2align	8
	.type	_ZN7rocprim17ROCPRIM_400000_NS6detail17trampoline_kernelINS0_14default_configENS1_25partition_config_selectorILNS1_17partition_subalgoE8ElNS0_10empty_typeEbEEZZNS1_14partition_implILS5_8ELb0ES3_jPKlPS6_PKS6_NS0_5tupleIJPlS6_EEENSE_IJSB_SB_EEENS0_18inequality_wrapperIN6hipcub16HIPCUB_304000_NS8EqualityEEESF_JS6_EEE10hipError_tPvRmT3_T4_T5_T6_T7_T9_mT8_P12ihipStream_tbDpT10_ENKUlT_T0_E_clISt17integral_constantIbLb0EES15_IbLb1EEEEDaS11_S12_EUlS11_E_NS1_11comp_targetILNS1_3genE5ELNS1_11target_archE942ELNS1_3gpuE9ELNS1_3repE0EEENS1_30default_config_static_selectorELNS0_4arch9wavefront6targetE1EEEvT1_,@function
_ZN7rocprim17ROCPRIM_400000_NS6detail17trampoline_kernelINS0_14default_configENS1_25partition_config_selectorILNS1_17partition_subalgoE8ElNS0_10empty_typeEbEEZZNS1_14partition_implILS5_8ELb0ES3_jPKlPS6_PKS6_NS0_5tupleIJPlS6_EEENSE_IJSB_SB_EEENS0_18inequality_wrapperIN6hipcub16HIPCUB_304000_NS8EqualityEEESF_JS6_EEE10hipError_tPvRmT3_T4_T5_T6_T7_T9_mT8_P12ihipStream_tbDpT10_ENKUlT_T0_E_clISt17integral_constantIbLb0EES15_IbLb1EEEEDaS11_S12_EUlS11_E_NS1_11comp_targetILNS1_3genE5ELNS1_11target_archE942ELNS1_3gpuE9ELNS1_3repE0EEENS1_30default_config_static_selectorELNS0_4arch9wavefront6targetE1EEEvT1_: ; @_ZN7rocprim17ROCPRIM_400000_NS6detail17trampoline_kernelINS0_14default_configENS1_25partition_config_selectorILNS1_17partition_subalgoE8ElNS0_10empty_typeEbEEZZNS1_14partition_implILS5_8ELb0ES3_jPKlPS6_PKS6_NS0_5tupleIJPlS6_EEENSE_IJSB_SB_EEENS0_18inequality_wrapperIN6hipcub16HIPCUB_304000_NS8EqualityEEESF_JS6_EEE10hipError_tPvRmT3_T4_T5_T6_T7_T9_mT8_P12ihipStream_tbDpT10_ENKUlT_T0_E_clISt17integral_constantIbLb0EES15_IbLb1EEEEDaS11_S12_EUlS11_E_NS1_11comp_targetILNS1_3genE5ELNS1_11target_archE942ELNS1_3gpuE9ELNS1_3repE0EEENS1_30default_config_static_selectorELNS0_4arch9wavefront6targetE1EEEvT1_
; %bb.0:
	s_load_dwordx2 s[24:25], s[0:1], 0x28
	s_load_dwordx4 s[20:23], s[0:1], 0x40
	s_load_dwordx2 s[8:9], s[0:1], 0x50
	s_load_dwordx2 s[30:31], s[0:1], 0x60
	v_cmp_ne_u32_e64 s[2:3], 0, v0
	v_cmp_eq_u32_e64 s[18:19], 0, v0
	s_and_saveexec_b64 s[4:5], s[18:19]
	s_cbranch_execz .LBB251_4
; %bb.1:
	s_mov_b64 s[10:11], exec
	v_mbcnt_lo_u32_b32 v1, s10, 0
	v_mbcnt_hi_u32_b32 v1, s11, v1
	v_cmp_eq_u32_e32 vcc, 0, v1
                                        ; implicit-def: $vgpr2
	s_and_saveexec_b64 s[6:7], vcc
	s_cbranch_execz .LBB251_3
; %bb.2:
	s_load_dwordx2 s[12:13], s[0:1], 0x70
	s_bcnt1_i32_b64 s10, s[10:11]
	v_mov_b32_e32 v2, 0
	v_mov_b32_e32 v3, s10
	s_waitcnt lgkmcnt(0)
	global_atomic_add v2, v2, v3, s[12:13] sc0
.LBB251_3:
	s_or_b64 exec, exec, s[6:7]
	s_waitcnt vmcnt(0)
	v_readfirstlane_b32 s6, v2
	v_mov_b32_e32 v2, 0
	s_nop 0
	v_add_u32_e32 v1, s6, v1
	ds_write_b32 v2, v1
.LBB251_4:
	s_or_b64 exec, exec, s[4:5]
	v_mov_b32_e32 v3, 0
	s_load_dwordx4 s[4:7], s[0:1], 0x8
	s_load_dword s10, s[0:1], 0x68
	s_waitcnt lgkmcnt(0)
	s_barrier
	ds_read_b32 v1, v3
	s_waitcnt lgkmcnt(0)
	s_barrier
	global_load_dwordx2 v[4:5], v3, s[22:23]
	s_lshl_b64 s[12:13], s[6:7], 3
	v_mov_b32_e32 v7, s9
	s_mul_i32 s9, s10, 0xe00
	s_add_u32 s4, s4, s12
	s_addc_u32 s5, s5, s13
	s_add_i32 s12, s9, s6
	s_add_i32 s10, s10, -1
	s_sub_i32 s36, s8, s12
	v_mov_b32_e32 v6, s8
	s_add_u32 s8, s6, s9
	s_addc_u32 s9, s7, 0
	v_readfirstlane_b32 s33, v1
	s_cmp_eq_u32 s33, s10
	s_movk_i32 s11, 0xe00
	v_cmp_ge_u64_e32 vcc, s[8:9], v[6:7]
	s_cselect_b64 s[26:27], -1, 0
	v_mul_lo_u32 v2, v1, s11
	s_and_b64 s[14:15], vcc, s[26:27]
	v_lshlrev_b64 v[6:7], 3, v[2:3]
	s_xor_b64 s[28:29], s[14:15], -1
	s_mov_b64 s[0:1], -1
	v_lshl_add_u64 v[18:19], s[4:5], 0, v[6:7]
	s_and_b64 vcc, exec, s[28:29]
	s_waitcnt vmcnt(0)
	v_readfirstlane_b32 s22, v4
	v_readfirstlane_b32 s23, v5
	s_cbranch_vccz .LBB251_6
; %bb.5:
	v_lshlrev_b32_e32 v2, 3, v0
	v_lshl_add_u64 v[4:5], v[18:19], 0, v[2:3]
	v_add_co_u32_e32 v8, vcc, 0x1000, v4
	v_readfirstlane_b32 s0, v18
	s_nop 0
	v_addc_co_u32_e32 v9, vcc, 0, v5, vcc
	v_add_co_u32_e32 v10, vcc, 0x2000, v4
	v_readfirstlane_b32 s1, v19
	s_nop 0
	v_addc_co_u32_e32 v11, vcc, 0, v5, vcc
	v_add_co_u32_e32 v12, vcc, 0x3000, v4
	s_nop 1
	v_addc_co_u32_e32 v13, vcc, 0, v5, vcc
	v_add_co_u32_e32 v14, vcc, 0x4000, v4
	global_load_dwordx2 v[6:7], v2, s[0:1]
	s_nop 0
	v_addc_co_u32_e32 v15, vcc, 0, v5, vcc
	global_load_dwordx2 v[16:17], v[8:9], off
	global_load_dwordx2 v[20:21], v[10:11], off
	;; [unrolled: 1-line block ×4, first 2 shown]
	v_add_co_u32_e32 v8, vcc, 0x5000, v4
	s_mov_b64 s[0:1], 0
	s_nop 0
	v_addc_co_u32_e32 v9, vcc, 0, v5, vcc
	v_add_co_u32_e32 v4, vcc, 0x6000, v4
	global_load_dwordx2 v[8:9], v[8:9], off
	s_nop 0
	v_addc_co_u32_e32 v5, vcc, 0, v5, vcc
	global_load_dwordx2 v[4:5], v[4:5], off
	s_waitcnt vmcnt(5)
	ds_write2st64_b64 v2, v[6:7], v[16:17] offset1:8
	s_waitcnt vmcnt(3)
	ds_write2st64_b64 v2, v[20:21], v[22:23] offset0:16 offset1:24
	s_waitcnt vmcnt(1)
	ds_write2st64_b64 v2, v[24:25], v[8:9] offset0:32 offset1:40
	s_waitcnt vmcnt(0)
	ds_write_b64 v2, v[4:5] offset:24576
	s_waitcnt lgkmcnt(0)
	s_barrier
.LBB251_6:
	s_andn2_b64 vcc, exec, s[0:1]
	s_addk_i32 s36, 0xe00
	s_cbranch_vccnz .LBB251_22
; %bb.7:
	v_cmp_gt_u32_e32 vcc, s36, v0
                                        ; implicit-def: $vgpr2_vgpr3_vgpr4_vgpr5_vgpr6_vgpr7_vgpr8_vgpr9_vgpr10_vgpr11_vgpr12_vgpr13_vgpr14_vgpr15_vgpr16_vgpr17
	s_and_saveexec_b64 s[0:1], vcc
	s_cbranch_execz .LBB251_9
; %bb.8:
	v_lshlrev_b32_e32 v1, 3, v0
	v_readfirstlane_b32 s4, v18
	v_readfirstlane_b32 s5, v19
	s_nop 4
	global_load_dwordx2 v[2:3], v1, s[4:5]
.LBB251_9:
	s_or_b64 exec, exec, s[0:1]
	v_or_b32_e32 v1, 0x200, v0
	v_cmp_gt_u32_e32 vcc, s36, v1
	s_and_saveexec_b64 s[0:1], vcc
	s_cbranch_execz .LBB251_11
; %bb.10:
	v_lshlrev_b32_e32 v1, 3, v1
	v_readfirstlane_b32 s4, v18
	v_readfirstlane_b32 s5, v19
	s_nop 4
	global_load_dwordx2 v[4:5], v1, s[4:5]
.LBB251_11:
	s_or_b64 exec, exec, s[0:1]
	v_or_b32_e32 v1, 0x400, v0
	v_cmp_gt_u32_e32 vcc, s36, v1
	;; [unrolled: 12-line block ×6, first 2 shown]
	s_and_saveexec_b64 s[0:1], vcc
	s_cbranch_execz .LBB251_21
; %bb.20:
	v_lshlrev_b32_e32 v1, 3, v1
	v_readfirstlane_b32 s4, v18
	v_readfirstlane_b32 s5, v19
	s_nop 4
	global_load_dwordx2 v[14:15], v1, s[4:5]
.LBB251_21:
	s_or_b64 exec, exec, s[0:1]
	v_lshlrev_b32_e32 v1, 3, v0
	s_waitcnt vmcnt(0)
	ds_write2st64_b64 v1, v[2:3], v[4:5] offset1:8
	ds_write2st64_b64 v1, v[6:7], v[8:9] offset0:16 offset1:24
	ds_write2st64_b64 v1, v[10:11], v[12:13] offset0:32 offset1:40
	ds_write_b64 v1, v[14:15] offset:24576
	s_waitcnt lgkmcnt(0)
	s_barrier
.LBB251_22:
	v_mul_u32_u24_e32 v20, 7, v0
	v_lshlrev_b32_e32 v1, 3, v20
	ds_read2_b64 v[10:13], v1 offset1:1
	ds_read2_b64 v[6:9], v1 offset0:2 offset1:3
	ds_read2_b64 v[2:5], v1 offset0:4 offset1:5
	ds_read_b64 v[14:15], v1 offset:48
	s_cmp_lg_u32 s33, 0
	s_cselect_b64 s[16:17], -1, 0
	s_cmp_lg_u64 s[6:7], 0
	s_cselect_b64 s[0:1], -1, 0
	s_or_b64 s[0:1], s[0:1], s[16:17]
	v_mad_u32_u24 v22, v0, 7, 1
	v_mad_u32_u24 v21, v0, 7, 2
	;; [unrolled: 1-line block ×6, first 2 shown]
	s_mov_b64 s[34:35], 0
	s_and_b64 vcc, exec, s[0:1]
	s_waitcnt lgkmcnt(0)
	s_barrier
	s_cbranch_vccz .LBB251_27
; %bb.23:
	global_load_dwordx2 v[16:17], v[18:19], off offset:-8
	v_lshlrev_b32_e32 v30, 3, v0
	s_and_b64 vcc, exec, s[28:29]
	ds_write_b64 v30, v[14:15]
	s_cbranch_vccz .LBB251_29
; %bb.24:
	s_waitcnt vmcnt(0)
	v_mov_b64_e32 v[18:19], v[16:17]
	s_waitcnt lgkmcnt(0)
	s_barrier
	s_and_saveexec_b64 s[0:1], s[2:3]
	s_cbranch_execz .LBB251_26
; %bb.25:
	v_add_u32_e32 v18, -8, v30
	ds_read_b64 v[18:19], v18
.LBB251_26:
	s_or_b64 exec, exec, s[0:1]
	v_cmp_ne_u64_e32 vcc, v[4:5], v[14:15]
	s_waitcnt lgkmcnt(0)
	v_cmp_ne_u64_e64 s[0:1], v[18:19], v[10:11]
	v_cndmask_b32_e64 v29, 0, 1, vcc
	v_cmp_ne_u64_e32 vcc, v[2:3], v[4:5]
	s_nop 1
	v_cndmask_b32_e64 v27, 0, 1, vcc
	v_cmp_ne_u64_e32 vcc, v[8:9], v[2:3]
	s_nop 1
	;; [unrolled: 3-line block ×3, first 2 shown]
	v_cndmask_b32_e64 v31, 0, 1, vcc
	v_cmp_ne_u64_e32 vcc, v[12:13], v[6:7]
	v_lshlrev_b16_e32 v18, 8, v31
	s_nop 0
	v_cndmask_b32_e64 v32, 0, 1, vcc
	v_cmp_ne_u64_e32 vcc, v[10:11], v[12:13]
	v_or_b32_sdwa v18, v32, v18 dst_sel:WORD_1 dst_unused:UNUSED_PAD src0_sel:DWORD src1_sel:DWORD
	s_nop 0
	v_cndmask_b32_e64 v33, 0, 1, vcc
	v_lshlrev_b16_e32 v19, 8, v33
	v_or_b32_e32 v18, v19, v18
	s_branch .LBB251_33
.LBB251_27:
                                        ; implicit-def: $sgpr0_sgpr1
                                        ; implicit-def: $vgpr29
                                        ; implicit-def: $vgpr27
                                        ; implicit-def: $vgpr28
                                        ; implicit-def: $vgpr18
	s_branch .LBB251_34
.LBB251_28:
                                        ; implicit-def: $vgpr16_vgpr17
	s_and_saveexec_b64 s[2:3], s[34:35]
	s_cbranch_execnz .LBB251_42
	s_branch .LBB251_43
.LBB251_29:
                                        ; implicit-def: $sgpr0_sgpr1
                                        ; implicit-def: $vgpr29
                                        ; implicit-def: $vgpr27
                                        ; implicit-def: $vgpr28
                                        ; implicit-def: $vgpr18
	s_cbranch_execz .LBB251_33
; %bb.30:
	s_waitcnt lgkmcnt(0)
	s_barrier
	s_and_saveexec_b64 s[0:1], s[2:3]
	s_cbranch_execz .LBB251_32
; %bb.31:
	s_waitcnt vmcnt(0)
	v_add_u32_e32 v16, -8, v30
	ds_read_b64 v[16:17], v16
.LBB251_32:
	s_or_b64 exec, exec, s[0:1]
	v_cmp_gt_u32_e32 vcc, s36, v24
	v_cmp_ne_u64_e64 s[0:1], v[4:5], v[14:15]
	s_and_b64 s[0:1], vcc, s[0:1]
	v_cmp_gt_u32_e32 vcc, s36, v26
	v_cndmask_b32_e64 v29, 0, 1, s[0:1]
	v_cmp_ne_u64_e64 s[0:1], v[2:3], v[4:5]
	s_and_b64 s[0:1], vcc, s[0:1]
	v_cmp_gt_u32_e32 vcc, s36, v23
	v_cndmask_b32_e64 v27, 0, 1, s[0:1]
	;; [unrolled: 4-line block ×6, first 2 shown]
	s_waitcnt vmcnt(0) lgkmcnt(0)
	v_cmp_ne_u64_e64 s[0:1], v[16:17], v[10:11]
	v_lshlrev_b16_e32 v16, 8, v18
	v_or_b32_sdwa v16, v19, v16 dst_sel:WORD_1 dst_unused:UNUSED_PAD src0_sel:DWORD src1_sel:DWORD
	v_lshlrev_b16_e32 v17, 8, v30
	s_and_b64 s[0:1], vcc, s[0:1]
	v_or_b32_e32 v18, v17, v16
.LBB251_33:
	s_mov_b64 s[34:35], -1
	s_cbranch_execnz .LBB251_28
.LBB251_34:
	s_movk_i32 s0, 0xffd0
	v_mad_i32_i24 v19, v0, s0, v1
	s_and_b64 vcc, exec, s[28:29]
	v_cmp_ne_u64_e64 s[0:1], v[4:5], v[14:15]
	v_cmp_ne_u64_e64 s[4:5], v[2:3], v[4:5]
	v_cmp_ne_u64_e64 s[6:7], v[8:9], v[2:3]
	v_cmp_ne_u64_e64 s[8:9], v[6:7], v[8:9]
	v_cmp_ne_u64_e64 s[10:11], v[12:13], v[6:7]
	v_cmp_ne_u64_e64 s[12:13], v[10:11], v[12:13]
	ds_write_b64 v19, v[14:15]
	s_cbranch_vccz .LBB251_38
; %bb.35:
	v_cndmask_b32_e64 v27, 0, 1, s[4:5]
	s_waitcnt vmcnt(0)
	v_cndmask_b32_e64 v16, 0, 1, s[8:9]
	v_cndmask_b32_e64 v28, 0, 1, s[6:7]
	;; [unrolled: 1-line block ×4, first 2 shown]
	v_lshlrev_b16_e32 v17, 8, v27
	v_lshlrev_b16_e32 v16, 8, v16
	v_or_b32_e32 v17, v28, v17
	v_or_b32_sdwa v16, v18, v16 dst_sel:WORD_1 dst_unused:UNUSED_PAD src0_sel:DWORD src1_sel:DWORD
	v_lshlrev_b16_e32 v18, 8, v30
	v_and_b32_e32 v17, 0xffff, v17
	v_cndmask_b32_e64 v29, 0, 1, s[0:1]
	v_or_b32_e32 v18, 1, v18
	v_lshl_or_b32 v17, v29, 16, v17
	v_or_b32_sdwa v16, v18, v16 dst_sel:DWORD dst_unused:UNUSED_PAD src0_sel:WORD_0 src1_sel:DWORD
	s_waitcnt lgkmcnt(0)
	s_barrier
	s_waitcnt lgkmcnt(0)
                                        ; implicit-def: $sgpr0_sgpr1
                                        ; implicit-def: $vgpr18
	s_and_saveexec_b64 s[4:5], s[2:3]
	s_xor_b64 s[4:5], exec, s[4:5]
	s_cbranch_execz .LBB251_37
; %bb.36:
	v_add_u32_e32 v17, -8, v19
	ds_read_b64 v[30:31], v17
	s_mov_b32 s0, 0x3020104
	v_perm_b32 v18, v16, v16, s0
	s_or_b64 s[34:35], s[34:35], exec
                                        ; implicit-def: $vgpr16_vgpr17
	s_waitcnt lgkmcnt(0)
	v_cmp_ne_u64_e32 vcc, v[30:31], v[10:11]
	s_and_b64 s[0:1], vcc, exec
.LBB251_37:
	s_or_b64 exec, exec, s[4:5]
	s_branch .LBB251_41
.LBB251_38:
                                        ; implicit-def: $sgpr0_sgpr1
                                        ; implicit-def: $vgpr29
                                        ; implicit-def: $vgpr27
                                        ; implicit-def: $vgpr28
                                        ; implicit-def: $vgpr18
                                        ; implicit-def: $vgpr16_vgpr17
	s_cbranch_execz .LBB251_41
; %bb.39:
	v_cmp_gt_u32_e64 s[4:5], s36, v26
	v_cmp_ne_u64_e64 s[6:7], v[2:3], v[4:5]
	s_and_b64 s[4:5], s[4:5], s[6:7]
	v_cndmask_b32_e64 v27, 0, 1, s[4:5]
	v_cmp_gt_u32_e64 s[4:5], s36, v23
	v_cmp_ne_u64_e64 s[6:7], v[8:9], v[2:3]
	s_and_b64 s[4:5], s[4:5], s[6:7]
	v_cndmask_b32_e64 v28, 0, 1, s[4:5]
	v_cmp_gt_u32_e64 s[4:5], s36, v25
	v_cmp_ne_u64_e64 s[6:7], v[6:7], v[8:9]
	s_and_b64 s[4:5], s[4:5], s[6:7]
	s_waitcnt vmcnt(0)
	v_cndmask_b32_e64 v16, 0, 1, s[4:5]
	v_cmp_gt_u32_e64 s[4:5], s36, v21
	v_cmp_ne_u64_e64 s[6:7], v[12:13], v[6:7]
	s_and_b64 s[4:5], s[4:5], s[6:7]
	v_cndmask_b32_e64 v18, 0, 1, s[4:5]
	v_cmp_gt_u32_e64 s[4:5], s36, v22
	v_cmp_ne_u64_e64 s[6:7], v[10:11], v[12:13]
	s_and_b64 s[4:5], s[4:5], s[6:7]
	v_cmp_gt_u32_e32 vcc, s36, v24
	v_cmp_ne_u64_e64 s[0:1], v[4:5], v[14:15]
	v_cndmask_b32_e64 v30, 0, 1, s[4:5]
	v_lshlrev_b16_e32 v17, 8, v27
	v_lshlrev_b16_e32 v16, 8, v16
	v_or_b32_e32 v17, v28, v17
	s_and_b64 s[0:1], vcc, s[0:1]
	v_or_b32_sdwa v16, v18, v16 dst_sel:WORD_1 dst_unused:UNUSED_PAD src0_sel:DWORD src1_sel:DWORD
	v_lshlrev_b16_e32 v18, 8, v30
	v_and_b32_e32 v17, 0xffff, v17
	v_cndmask_b32_e64 v29, 0, 1, s[0:1]
	v_or_b32_e32 v18, 1, v18
	v_lshl_or_b32 v17, v29, 16, v17
	v_or_b32_sdwa v16, v18, v16 dst_sel:DWORD dst_unused:UNUSED_PAD src0_sel:WORD_0 src1_sel:DWORD
	s_waitcnt lgkmcnt(0)
	s_barrier
	s_waitcnt lgkmcnt(0)
                                        ; implicit-def: $sgpr0_sgpr1
                                        ; implicit-def: $vgpr18
	s_and_saveexec_b64 s[4:5], s[2:3]
	s_cbranch_execz .LBB251_127
; %bb.40:
	v_add_u32_e32 v17, -8, v19
	ds_read_b64 v[30:31], v17
	s_mov_b32 s0, 0x3020104
	v_cmp_gt_u32_e32 vcc, s36, v20
	v_perm_b32 v18, v16, v16, s0
	s_or_b64 s[34:35], s[34:35], exec
	s_waitcnt lgkmcnt(0)
	v_cmp_ne_u64_e64 s[0:1], v[30:31], v[10:11]
	s_and_b64 s[0:1], vcc, s[0:1]
	s_and_b64 s[0:1], s[0:1], exec
                                        ; implicit-def: $vgpr16_vgpr17
	s_or_b64 exec, exec, s[4:5]
.LBB251_41:
	s_and_saveexec_b64 s[2:3], s[34:35]
	s_cbranch_execz .LBB251_43
.LBB251_42:
	s_waitcnt vmcnt(0)
	v_lshlrev_b16_e32 v17, 8, v27
	v_and_b32_e32 v19, 0xff, v29
	v_or_b32_sdwa v17, v28, v17 dst_sel:DWORD dst_unused:UNUSED_PAD src0_sel:BYTE_0 src1_sel:DWORD
	v_lshlrev_b32_e32 v19, 16, v19
	v_cndmask_b32_e64 v16, 0, 1, s[0:1]
	s_movk_i32 s0, 0xff
	v_or_b32_sdwa v17, v17, v19 dst_sel:DWORD dst_unused:UNUSED_PAD src0_sel:WORD_0 src1_sel:DWORD
	v_lshrrev_b32_e32 v19, 24, v18
	v_lshlrev_b16_e32 v19, 8, v19
	v_and_b32_sdwa v27, v18, s0 dst_sel:DWORD dst_unused:UNUSED_PAD src0_sel:WORD_1 src1_sel:DWORD
	v_or_b32_sdwa v19, v27, v19 dst_sel:WORD_1 dst_unused:UNUSED_PAD src0_sel:DWORD src1_sel:DWORD
	v_mov_b32_e32 v27, 8
	v_lshrrev_b32_sdwa v18, v27, v18 dst_sel:BYTE_1 dst_unused:UNUSED_PAD src0_sel:DWORD src1_sel:DWORD
	s_nop 0
	v_or_b32_e32 v16, v16, v18
	v_or_b32_sdwa v16, v16, v19 dst_sel:DWORD dst_unused:UNUSED_PAD src0_sel:WORD_0 src1_sel:DWORD
.LBB251_43:
	s_or_b64 exec, exec, s[2:3]
	s_andn2_b64 vcc, exec, s[14:15]
	s_cbranch_vccnz .LBB251_45
; %bb.44:
	s_waitcnt vmcnt(0)
	v_and_b32_e32 v18, 0xffff0000, v16
	v_cmp_gt_u32_e32 vcc, s36, v20
	s_mov_b32 s0, 0x40c0100
	s_nop 0
	v_cndmask_b32_e32 v18, v18, v16, vcc
	v_and_b32_e32 v18, 0xffff00ff, v18
	v_cmp_gt_u32_e32 vcc, s36, v22
	s_nop 1
	v_cndmask_b32_e32 v18, v18, v16, vcc
	v_lshrrev_b32_e32 v19, 24, v18
	v_perm_b32 v18, v19, v18, s0
	v_cmp_gt_u32_e32 vcc, s36, v21
	v_and_b32_e32 v19, 0xffffff00, v17
	s_nop 0
	v_cndmask_b32_e32 v18, v18, v16, vcc
	v_and_b32_e32 v18, 0xffffff, v18
	v_cmp_gt_u32_e32 vcc, s36, v25
	s_nop 1
	v_cndmask_b32_e32 v18, v18, v16, vcc
	v_cmp_gt_u32_e32 vcc, s36, v23
	s_nop 1
	v_cndmask_b32_e32 v19, v19, v17, vcc
	v_and_b32_e32 v19, 0xffff00ff, v19
	v_cndmask_b32_e32 v18, v18, v16, vcc
	v_cmp_gt_u32_e32 vcc, s36, v26
	s_nop 1
	v_cndmask_b32_e32 v19, v19, v17, vcc
	v_lshrrev_b32_e32 v20, 24, v19
	v_cndmask_b32_e32 v18, v18, v16, vcc
	v_perm_b32 v19, v20, v19, s0
	v_cmp_gt_u32_e32 vcc, s36, v24
	s_mov_b32 s0, 0x3020104
	s_nop 0
	v_cndmask_b32_e32 v16, v18, v16, vcc
	v_cndmask_b32_e32 v17, v19, v17, vcc
	v_mov_b32_e32 v18, 8
	v_lshrrev_b32_sdwa v18, v18, v17 dst_sel:BYTE_1 dst_unused:UNUSED_PAD src0_sel:DWORD src1_sel:DWORD
	v_perm_b32 v16, v16, v16, s0
	v_or_b32_sdwa v18, v17, v18 dst_sel:DWORD dst_unused:UNUSED_PAD src0_sel:BYTE_0 src1_sel:DWORD
	v_and_b32_e32 v18, 0xffff, v18
	v_bfe_u32 v17, v17, 16, 8
	v_lshl_or_b32 v17, v17, 16, v18
.LBB251_45:
	s_waitcnt vmcnt(0)
	v_and_b32_e32 v29, 0xff, v16
	v_bfe_u32 v31, v16, 8, 8
	v_bfe_u32 v33, v16, 16, 8
	v_alignbit_b32 v18, v17, v16, 24
	v_and_b32_e32 v35, 0xff, v18
	v_and_b32_e32 v36, 0xff, v17
	v_add3_u32 v19, v31, v29, v33
	v_bfe_u32 v37, v17, 8, 8
	v_bfe_u32 v18, v17, 16, 8
	v_add3_u32 v19, v19, v35, v36
	v_add3_u32 v40, v19, v37, v18
	v_mbcnt_lo_u32_b32 v18, -1, 0
	v_mbcnt_hi_u32_b32 v38, -1, v18
	v_and_b32_e32 v18, 15, v38
	v_cmp_eq_u32_e64 s[14:15], 0, v18
	v_cmp_lt_u32_e64 s[12:13], 1, v18
	v_cmp_lt_u32_e64 s[10:11], 3, v18
	;; [unrolled: 1-line block ×3, first 2 shown]
	v_and_b32_e32 v18, 16, v38
	v_cmp_eq_u32_e64 s[6:7], 0, v18
	v_or_b32_e32 v18, 63, v0
	v_cmp_lt_u32_e64 s[2:3], 31, v38
	v_lshrrev_b32_e32 v39, 6, v0
	v_cmp_eq_u32_e64 s[4:5], v18, v0
	s_and_b64 vcc, exec, s[16:17]
	s_waitcnt lgkmcnt(0)
	s_barrier
	s_cbranch_vccz .LBB251_72
; %bb.46:
	v_mov_b32_dpp v18, v40 row_shr:1 row_mask:0xf bank_mask:0xf
	v_cndmask_b32_e64 v18, v18, 0, s[14:15]
	v_add_u32_e32 v18, v18, v40
	s_nop 1
	v_mov_b32_dpp v19, v18 row_shr:2 row_mask:0xf bank_mask:0xf
	v_cndmask_b32_e64 v19, 0, v19, s[12:13]
	v_add_u32_e32 v18, v18, v19
	s_nop 1
	;; [unrolled: 4-line block ×4, first 2 shown]
	v_mov_b32_dpp v19, v18 row_bcast:15 row_mask:0xf bank_mask:0xf
	v_cndmask_b32_e64 v19, v19, 0, s[6:7]
	v_add_u32_e32 v18, v18, v19
	s_nop 1
	v_mov_b32_dpp v19, v18 row_bcast:31 row_mask:0xf bank_mask:0xf
	v_cndmask_b32_e64 v19, 0, v19, s[2:3]
	v_add_u32_e32 v18, v18, v19
	s_and_saveexec_b64 s[0:1], s[4:5]
	s_cbranch_execz .LBB251_48
; %bb.47:
	v_lshlrev_b32_e32 v19, 2, v39
	ds_write_b32 v19, v18
.LBB251_48:
	s_or_b64 exec, exec, s[0:1]
	v_cmp_gt_u32_e32 vcc, 8, v0
	s_waitcnt lgkmcnt(0)
	s_barrier
	s_and_saveexec_b64 s[0:1], vcc
	s_cbranch_execz .LBB251_50
; %bb.49:
	v_lshlrev_b32_e32 v19, 2, v0
	ds_read_b32 v20, v19
	v_and_b32_e32 v21, 7, v38
	v_cmp_ne_u32_e32 vcc, 0, v21
	s_waitcnt lgkmcnt(0)
	v_mov_b32_dpp v22, v20 row_shr:1 row_mask:0xf bank_mask:0xf
	v_cndmask_b32_e32 v22, 0, v22, vcc
	v_add_u32_e32 v20, v22, v20
	v_cmp_lt_u32_e32 vcc, 1, v21
	s_nop 0
	v_mov_b32_dpp v22, v20 row_shr:2 row_mask:0xf bank_mask:0xf
	v_cndmask_b32_e32 v22, 0, v22, vcc
	v_add_u32_e32 v20, v20, v22
	v_cmp_lt_u32_e32 vcc, 3, v21
	s_nop 0
	v_mov_b32_dpp v22, v20 row_shr:4 row_mask:0xf bank_mask:0xf
	v_cndmask_b32_e32 v21, 0, v22, vcc
	v_add_u32_e32 v20, v20, v21
	ds_write_b32 v19, v20
.LBB251_50:
	s_or_b64 exec, exec, s[0:1]
	v_cmp_gt_u32_e32 vcc, 64, v0
	v_cmp_lt_u32_e64 s[0:1], 63, v0
	s_waitcnt lgkmcnt(0)
	s_barrier
	s_waitcnt lgkmcnt(0)
                                        ; implicit-def: $vgpr28
	s_and_saveexec_b64 s[16:17], s[0:1]
	s_cbranch_execz .LBB251_52
; %bb.51:
	v_lshl_add_u32 v19, v39, 2, -4
	ds_read_b32 v28, v19
	s_waitcnt lgkmcnt(0)
	v_add_u32_e32 v18, v28, v18
.LBB251_52:
	s_or_b64 exec, exec, s[16:17]
	v_add_u32_e32 v19, -1, v38
	v_and_b32_e32 v20, 64, v38
	v_cmp_lt_i32_e64 s[0:1], v19, v20
	v_cmp_eq_u32_e64 s[16:17], 0, v38
	s_nop 0
	v_cndmask_b32_e64 v19, v19, v38, s[0:1]
	v_lshlrev_b32_e32 v19, 2, v19
	ds_bpermute_b32 v30, v19, v18
	s_and_saveexec_b64 s[0:1], vcc
	s_cbranch_execz .LBB251_71
; %bb.53:
	v_mov_b32_e32 v25, 0
	ds_read_b32 v18, v25 offset:28
	s_and_saveexec_b64 s[34:35], s[16:17]
	s_cbranch_execz .LBB251_55
; %bb.54:
	s_add_i32 s36, s33, 64
	s_mov_b32 s37, 0
	s_lshl_b64 s[36:37], s[36:37], 3
	s_add_u32 s36, s30, s36
	v_mov_b32_e32 v19, 1
	s_addc_u32 s37, s31, s37
	s_waitcnt lgkmcnt(0)
	global_store_dwordx2 v25, v[18:19], s[36:37] sc1
.LBB251_55:
	s_or_b64 exec, exec, s[34:35]
	v_xad_u32 v20, v38, -1, s33
	v_add_u32_e32 v24, 64, v20
	v_lshl_add_u64 v[26:27], v[24:25], 3, s[30:31]
	global_load_dwordx2 v[22:23], v[26:27], off sc1
	s_waitcnt vmcnt(0)
	v_cmp_eq_u16_sdwa s[36:37], v23, v25 src0_sel:BYTE_0 src1_sel:DWORD
	s_and_saveexec_b64 s[34:35], s[36:37]
	s_cbranch_execz .LBB251_59
; %bb.56:
	s_mov_b64 s[36:37], 0
	v_mov_b32_e32 v19, 0
.LBB251_57:                             ; =>This Inner Loop Header: Depth=1
	global_load_dwordx2 v[22:23], v[26:27], off sc1
	s_waitcnt vmcnt(0)
	v_cmp_ne_u16_sdwa s[38:39], v23, v19 src0_sel:BYTE_0 src1_sel:DWORD
	s_or_b64 s[36:37], s[38:39], s[36:37]
	s_andn2_b64 exec, exec, s[36:37]
	s_cbranch_execnz .LBB251_57
; %bb.58:
	s_or_b64 exec, exec, s[36:37]
.LBB251_59:
	s_or_b64 exec, exec, s[34:35]
	v_and_b32_e32 v34, 63, v38
	v_mov_b32_e32 v32, 2
	v_cmp_ne_u32_e32 vcc, 63, v34
	v_cmp_eq_u16_sdwa s[34:35], v23, v32 src0_sel:BYTE_0 src1_sel:DWORD
	v_lshlrev_b64 v[24:25], v38, -1
	v_addc_co_u32_e32 v26, vcc, 0, v38, vcc
	v_and_b32_e32 v19, s35, v25
	v_lshlrev_b32_e32 v41, 2, v26
	v_or_b32_e32 v19, 0x80000000, v19
	ds_bpermute_b32 v26, v41, v22
	v_and_b32_e32 v21, s34, v24
	v_ffbl_b32_e32 v19, v19
	v_add_u32_e32 v19, 32, v19
	v_ffbl_b32_e32 v21, v21
	v_min_u32_e32 v19, v21, v19
	v_cmp_lt_u32_e32 vcc, v34, v19
	v_add_u32_e32 v43, 2, v34
	v_add_u32_e32 v45, 4, v34
	s_waitcnt lgkmcnt(0)
	v_cndmask_b32_e32 v21, 0, v26, vcc
	v_cmp_gt_u32_e32 vcc, 62, v34
	v_add_u32_e32 v21, v21, v22
	v_add_u32_e32 v47, 8, v34
	v_cndmask_b32_e64 v22, 0, 1, vcc
	v_lshlrev_b32_e32 v22, 1, v22
	v_add_lshl_u32 v42, v22, v38, 2
	ds_bpermute_b32 v22, v42, v21
	v_cmp_le_u32_e32 vcc, v43, v19
	v_add_u32_e32 v49, 16, v34
	v_add_u32_e32 v51, 32, v34
	s_waitcnt lgkmcnt(0)
	v_cndmask_b32_e32 v22, 0, v22, vcc
	v_cmp_gt_u32_e32 vcc, 60, v34
	v_add_u32_e32 v21, v21, v22
	s_nop 0
	v_cndmask_b32_e64 v22, 0, 1, vcc
	v_lshlrev_b32_e32 v22, 2, v22
	v_add_lshl_u32 v44, v22, v38, 2
	ds_bpermute_b32 v22, v44, v21
	v_cmp_le_u32_e32 vcc, v45, v19
	s_waitcnt lgkmcnt(0)
	s_nop 0
	v_cndmask_b32_e32 v22, 0, v22, vcc
	v_cmp_gt_u32_e32 vcc, 56, v34
	v_add_u32_e32 v21, v21, v22
	s_nop 0
	v_cndmask_b32_e64 v22, 0, 1, vcc
	v_lshlrev_b32_e32 v22, 3, v22
	v_add_lshl_u32 v46, v22, v38, 2
	ds_bpermute_b32 v22, v46, v21
	v_cmp_le_u32_e32 vcc, v47, v19
	s_waitcnt lgkmcnt(0)
	s_nop 0
	;; [unrolled: 11-line block ×4, first 2 shown]
	v_cndmask_b32_e32 v19, 0, v22, vcc
	v_add_u32_e32 v22, v21, v19
	v_mov_b32_e32 v21, 0
	s_branch .LBB251_61
.LBB251_60:                             ;   in Loop: Header=BB251_61 Depth=1
	s_or_b64 exec, exec, s[34:35]
	v_cmp_eq_u16_sdwa s[34:35], v23, v32 src0_sel:BYTE_0 src1_sel:DWORD
	ds_bpermute_b32 v52, v41, v22
	v_subrev_u32_e32 v20, 64, v20
	v_and_b32_e32 v26, s35, v25
	v_or_b32_e32 v26, 0x80000000, v26
	v_and_b32_e32 v27, s34, v24
	v_ffbl_b32_e32 v26, v26
	v_add_u32_e32 v26, 32, v26
	v_ffbl_b32_e32 v27, v27
	v_min_u32_e32 v26, v27, v26
	v_cmp_lt_u32_e32 vcc, v34, v26
	s_waitcnt lgkmcnt(0)
	s_nop 0
	v_cndmask_b32_e32 v27, 0, v52, vcc
	v_add_u32_e32 v22, v27, v22
	ds_bpermute_b32 v27, v42, v22
	v_cmp_le_u32_e32 vcc, v43, v26
	s_waitcnt lgkmcnt(0)
	s_nop 0
	v_cndmask_b32_e32 v27, 0, v27, vcc
	v_add_u32_e32 v22, v22, v27
	ds_bpermute_b32 v27, v44, v22
	v_cmp_le_u32_e32 vcc, v45, v26
	;; [unrolled: 6-line block ×5, first 2 shown]
	s_waitcnt lgkmcnt(0)
	s_nop 0
	v_cndmask_b32_e32 v26, 0, v27, vcc
	v_add3_u32 v22, v26, v19, v22
.LBB251_61:                             ; =>This Loop Header: Depth=1
                                        ;     Child Loop BB251_64 Depth 2
	v_cmp_ne_u16_sdwa s[34:35], v23, v32 src0_sel:BYTE_0 src1_sel:DWORD
	s_nop 1
	v_cndmask_b32_e64 v19, 0, 1, s[34:35]
	;;#ASMSTART
	;;#ASMEND
	s_nop 0
	v_cmp_ne_u32_e32 vcc, 0, v19
	s_cmp_lg_u64 vcc, exec
	v_mov_b32_e32 v19, v22
	s_cbranch_scc1 .LBB251_66
; %bb.62:                               ;   in Loop: Header=BB251_61 Depth=1
	v_lshl_add_u64 v[26:27], v[20:21], 3, s[30:31]
	global_load_dwordx2 v[22:23], v[26:27], off sc1
	s_waitcnt vmcnt(0)
	v_cmp_eq_u16_sdwa s[36:37], v23, v21 src0_sel:BYTE_0 src1_sel:DWORD
	s_and_saveexec_b64 s[34:35], s[36:37]
	s_cbranch_execz .LBB251_60
; %bb.63:                               ;   in Loop: Header=BB251_61 Depth=1
	s_mov_b64 s[36:37], 0
.LBB251_64:                             ;   Parent Loop BB251_61 Depth=1
                                        ; =>  This Inner Loop Header: Depth=2
	global_load_dwordx2 v[22:23], v[26:27], off sc1
	s_waitcnt vmcnt(0)
	v_cmp_ne_u16_sdwa s[38:39], v23, v21 src0_sel:BYTE_0 src1_sel:DWORD
	s_or_b64 s[36:37], s[38:39], s[36:37]
	s_andn2_b64 exec, exec, s[36:37]
	s_cbranch_execnz .LBB251_64
; %bb.65:                               ;   in Loop: Header=BB251_61 Depth=1
	s_or_b64 exec, exec, s[36:37]
	s_branch .LBB251_60
.LBB251_66:                             ;   in Loop: Header=BB251_61 Depth=1
                                        ; implicit-def: $vgpr22
                                        ; implicit-def: $vgpr23
	s_cbranch_execz .LBB251_61
; %bb.67:
	s_and_saveexec_b64 s[34:35], s[16:17]
	s_cbranch_execz .LBB251_69
; %bb.68:
	s_add_i32 s36, s33, 64
	s_mov_b32 s37, 0
	s_lshl_b64 s[36:37], s[36:37], 3
	s_add_u32 s36, s30, s36
	v_add_u32_e32 v20, v19, v18
	v_mov_b32_e32 v21, 2
	s_addc_u32 s37, s31, s37
	v_mov_b32_e32 v22, 0
	global_store_dwordx2 v22, v[20:21], s[36:37] sc1
	ds_write_b64 v22, v[18:19] offset:28672
.LBB251_69:
	s_or_b64 exec, exec, s[34:35]
	s_and_b64 exec, exec, s[18:19]
	s_cbranch_execz .LBB251_71
; %bb.70:
	v_mov_b32_e32 v18, 0
	ds_write_b32 v18, v19 offset:28
.LBB251_71:
	s_or_b64 exec, exec, s[0:1]
	v_mov_b32_e32 v18, 0
	s_waitcnt lgkmcnt(0)
	s_barrier
	ds_read_b32 v19, v18 offset:28
	v_cndmask_b32_e64 v20, v30, v28, s[16:17]
	v_cndmask_b32_e64 v20, v20, 0, s[18:19]
	s_waitcnt lgkmcnt(0)
	s_barrier
	v_add_u32_e32 v34, v19, v20
	v_add_u32_e32 v32, v34, v29
	;; [unrolled: 1-line block ×3, first 2 shown]
	ds_read_b64 v[18:19], v18 offset:28672
	v_add_u32_e32 v28, v30, v33
	v_add_u32_e32 v26, v28, v35
	;; [unrolled: 1-line block ×4, first 2 shown]
	v_lshrrev_b64 v[20:21], 24, v[16:17]
	s_branch .LBB251_82
.LBB251_72:
                                        ; implicit-def: $vgpr19
                                        ; implicit-def: $vgpr22
                                        ; implicit-def: $vgpr24
                                        ; implicit-def: $vgpr26
                                        ; implicit-def: $vgpr28
                                        ; implicit-def: $vgpr30
                                        ; implicit-def: $vgpr32
                                        ; implicit-def: $vgpr34
	v_lshrrev_b64 v[20:21], 24, v[16:17]
	s_cbranch_execz .LBB251_82
; %bb.73:
	s_waitcnt lgkmcnt(0)
	v_mov_b32_dpp v18, v40 row_shr:1 row_mask:0xf bank_mask:0xf
	v_cndmask_b32_e64 v18, v18, 0, s[14:15]
	v_add_u32_e32 v18, v18, v40
	s_nop 1
	v_mov_b32_dpp v19, v18 row_shr:2 row_mask:0xf bank_mask:0xf
	v_cndmask_b32_e64 v19, 0, v19, s[12:13]
	v_add_u32_e32 v18, v18, v19
	s_nop 1
	v_mov_b32_dpp v19, v18 row_shr:4 row_mask:0xf bank_mask:0xf
	v_cndmask_b32_e64 v19, 0, v19, s[10:11]
	v_add_u32_e32 v18, v18, v19
	s_nop 1
	v_mov_b32_dpp v19, v18 row_shr:8 row_mask:0xf bank_mask:0xf
	v_cndmask_b32_e64 v19, 0, v19, s[8:9]
	v_add_u32_e32 v18, v18, v19
	s_nop 1
	v_mov_b32_dpp v19, v18 row_bcast:15 row_mask:0xf bank_mask:0xf
	v_cndmask_b32_e64 v19, v19, 0, s[6:7]
	v_add_u32_e32 v18, v18, v19
	s_nop 1
	v_mov_b32_dpp v19, v18 row_bcast:31 row_mask:0xf bank_mask:0xf
	v_cndmask_b32_e64 v19, 0, v19, s[2:3]
	v_add_u32_e32 v18, v18, v19
	s_and_saveexec_b64 s[0:1], s[4:5]
	s_cbranch_execz .LBB251_75
; %bb.74:
	v_lshlrev_b32_e32 v19, 2, v39
	ds_write_b32 v19, v18
.LBB251_75:
	s_or_b64 exec, exec, s[0:1]
	v_cmp_gt_u32_e32 vcc, 8, v0
	s_waitcnt lgkmcnt(0)
	s_barrier
	s_and_saveexec_b64 s[0:1], vcc
	s_cbranch_execz .LBB251_77
; %bb.76:
	s_movk_i32 s2, 0xffcc
	v_mad_i32_i24 v1, v0, s2, v1
	ds_read_b32 v19, v1
	v_and_b32_e32 v21, 7, v38
	v_cmp_ne_u32_e32 vcc, 0, v21
	s_waitcnt lgkmcnt(0)
	v_mov_b32_dpp v22, v19 row_shr:1 row_mask:0xf bank_mask:0xf
	v_cndmask_b32_e32 v22, 0, v22, vcc
	v_add_u32_e32 v19, v22, v19
	v_cmp_lt_u32_e32 vcc, 1, v21
	s_nop 0
	v_mov_b32_dpp v22, v19 row_shr:2 row_mask:0xf bank_mask:0xf
	v_cndmask_b32_e32 v22, 0, v22, vcc
	v_add_u32_e32 v19, v19, v22
	v_cmp_lt_u32_e32 vcc, 3, v21
	s_nop 0
	v_mov_b32_dpp v22, v19 row_shr:4 row_mask:0xf bank_mask:0xf
	v_cndmask_b32_e32 v21, 0, v22, vcc
	v_add_u32_e32 v19, v19, v21
	ds_write_b32 v1, v19
.LBB251_77:
	s_or_b64 exec, exec, s[0:1]
	v_cmp_lt_u32_e32 vcc, 63, v0
	v_mov_b32_e32 v19, 0
	v_mov_b32_e32 v1, 0
	s_waitcnt lgkmcnt(0)
	s_barrier
	s_and_saveexec_b64 s[0:1], vcc
	s_cbranch_execz .LBB251_79
; %bb.78:
	v_lshl_add_u32 v1, v39, 2, -4
	ds_read_b32 v1, v1
.LBB251_79:
	s_or_b64 exec, exec, s[0:1]
	v_add_u32_e32 v21, -1, v38
	v_and_b32_e32 v22, 64, v38
	v_cmp_lt_i32_e32 vcc, v21, v22
	s_waitcnt lgkmcnt(0)
	v_add_u32_e32 v18, v1, v18
	v_cndmask_b32_e32 v21, v21, v38, vcc
	v_lshlrev_b32_e32 v21, 2, v21
	ds_bpermute_b32 v21, v21, v18
	ds_read_b32 v18, v19 offset:28
	s_and_saveexec_b64 s[0:1], s[18:19]
	s_cbranch_execz .LBB251_81
; %bb.80:
	v_mov_b32_e32 v22, 0
	v_mov_b32_e32 v19, 2
	s_waitcnt lgkmcnt(0)
	global_store_dwordx2 v22, v[18:19], s[30:31] offset:512 sc1
.LBB251_81:
	s_or_b64 exec, exec, s[0:1]
	v_cmp_eq_u32_e32 vcc, 0, v38
	v_mov_b32_e32 v19, 0
	s_waitcnt lgkmcnt(0)
	v_cndmask_b32_e32 v1, v21, v1, vcc
	v_cndmask_b32_e64 v34, v1, 0, s[18:19]
	v_add_u32_e32 v32, v34, v29
	v_add_u32_e32 v30, v32, v31
	;; [unrolled: 1-line block ×6, first 2 shown]
	s_barrier
.LBB251_82:
	s_movk_i32 s0, 0x201
	s_waitcnt lgkmcnt(0)
	v_cmp_gt_u32_e32 vcc, s0, v18
	v_lshrrev_b32_e32 v21, 8, v16
	v_lshrrev_b32_e32 v1, 8, v17
	s_mov_b64 s[0:1], -1
	s_cbranch_vccnz .LBB251_86
; %bb.83:
	s_and_b64 vcc, exec, s[0:1]
	s_cbranch_vccnz .LBB251_108
.LBB251_84:
	s_and_b64 s[0:1], s[18:19], s[26:27]
	s_and_saveexec_b64 s[2:3], s[0:1]
	s_cbranch_execnz .LBB251_126
.LBB251_85:
	s_endpgm
.LBB251_86:
	v_add_u32_e32 v23, v19, v18
	v_cmp_lt_u32_e32 vcc, v34, v23
	s_or_b64 s[2:3], s[28:29], vcc
	s_and_saveexec_b64 s[0:1], s[2:3]
	s_cbranch_execz .LBB251_89
; %bb.87:
	v_and_b32_e32 v25, 1, v16
	v_cmp_eq_u32_e32 vcc, 1, v25
	s_and_b64 exec, exec, vcc
	s_cbranch_execz .LBB251_89
; %bb.88:
	s_lshl_b64 s[2:3], s[22:23], 3
	s_add_u32 s2, s24, s2
	s_addc_u32 s3, s25, s3
	v_mov_b32_e32 v35, 0
	v_lshl_add_u64 v[36:37], v[34:35], 3, s[2:3]
	global_store_dwordx2 v[36:37], v[10:11], off
.LBB251_89:
	s_or_b64 exec, exec, s[0:1]
	v_cmp_lt_u32_e32 vcc, v32, v23
	s_or_b64 s[2:3], s[28:29], vcc
	s_and_saveexec_b64 s[0:1], s[2:3]
	s_cbranch_execz .LBB251_92
; %bb.90:
	v_and_b32_e32 v25, 1, v21
	v_cmp_eq_u32_e32 vcc, 1, v25
	s_and_b64 exec, exec, vcc
	s_cbranch_execz .LBB251_92
; %bb.91:
	s_lshl_b64 s[2:3], s[22:23], 3
	s_add_u32 s2, s24, s2
	s_addc_u32 s3, s25, s3
	v_mov_b32_e32 v33, 0
	v_lshl_add_u64 v[36:37], v[32:33], 3, s[2:3]
	global_store_dwordx2 v[36:37], v[12:13], off
.LBB251_92:
	s_or_b64 exec, exec, s[0:1]
	v_cmp_lt_u32_e32 vcc, v30, v23
	s_or_b64 s[2:3], s[28:29], vcc
	s_and_saveexec_b64 s[0:1], s[2:3]
	s_cbranch_execz .LBB251_95
; %bb.93:
	v_mov_b32_e32 v25, 1
	v_and_b32_sdwa v25, v25, v16 dst_sel:DWORD dst_unused:UNUSED_PAD src0_sel:DWORD src1_sel:WORD_1
	v_cmp_eq_u32_e32 vcc, 1, v25
	s_and_b64 exec, exec, vcc
	s_cbranch_execz .LBB251_95
; %bb.94:
	s_lshl_b64 s[2:3], s[22:23], 3
	s_add_u32 s2, s24, s2
	s_addc_u32 s3, s25, s3
	v_mov_b32_e32 v31, 0
	v_lshl_add_u64 v[36:37], v[30:31], 3, s[2:3]
	global_store_dwordx2 v[36:37], v[6:7], off
.LBB251_95:
	s_or_b64 exec, exec, s[0:1]
	v_cmp_lt_u32_e32 vcc, v28, v23
	s_or_b64 s[2:3], s[28:29], vcc
	s_and_saveexec_b64 s[0:1], s[2:3]
	s_cbranch_execz .LBB251_98
; %bb.96:
	v_and_b32_e32 v25, 1, v20
	v_cmp_eq_u32_e32 vcc, 1, v25
	s_and_b64 exec, exec, vcc
	s_cbranch_execz .LBB251_98
; %bb.97:
	s_lshl_b64 s[2:3], s[22:23], 3
	s_add_u32 s2, s24, s2
	s_addc_u32 s3, s25, s3
	v_mov_b32_e32 v29, 0
	v_lshl_add_u64 v[36:37], v[28:29], 3, s[2:3]
	global_store_dwordx2 v[36:37], v[8:9], off
.LBB251_98:
	s_or_b64 exec, exec, s[0:1]
	v_cmp_lt_u32_e32 vcc, v26, v23
	s_or_b64 s[2:3], s[28:29], vcc
	s_and_saveexec_b64 s[0:1], s[2:3]
	s_cbranch_execz .LBB251_101
; %bb.99:
	v_and_b32_e32 v25, 1, v17
	v_cmp_eq_u32_e32 vcc, 1, v25
	s_and_b64 exec, exec, vcc
	s_cbranch_execz .LBB251_101
; %bb.100:
	s_lshl_b64 s[2:3], s[22:23], 3
	s_add_u32 s2, s24, s2
	s_addc_u32 s3, s25, s3
	v_mov_b32_e32 v27, 0
	v_lshl_add_u64 v[36:37], v[26:27], 3, s[2:3]
	global_store_dwordx2 v[36:37], v[2:3], off
.LBB251_101:
	;; [unrolled: 18-line block ×3, first 2 shown]
	s_or_b64 exec, exec, s[0:1]
	v_cmp_lt_u32_e32 vcc, v22, v23
	s_or_b64 s[2:3], s[28:29], vcc
	s_and_saveexec_b64 s[0:1], s[2:3]
	s_cbranch_execz .LBB251_107
; %bb.105:
	v_mov_b32_e32 v23, 1
	v_and_b32_sdwa v23, v23, v17 dst_sel:DWORD dst_unused:UNUSED_PAD src0_sel:DWORD src1_sel:WORD_1
	v_cmp_eq_u32_e32 vcc, 1, v23
	s_and_b64 exec, exec, vcc
	s_cbranch_execz .LBB251_107
; %bb.106:
	s_lshl_b64 s[2:3], s[22:23], 3
	s_add_u32 s2, s24, s2
	s_addc_u32 s3, s25, s3
	v_mov_b32_e32 v23, 0
	v_lshl_add_u64 v[36:37], v[22:23], 3, s[2:3]
	global_store_dwordx2 v[36:37], v[14:15], off
.LBB251_107:
	s_or_b64 exec, exec, s[0:1]
	s_branch .LBB251_84
.LBB251_108:
	v_and_b32_e32 v23, 1, v16
	v_cmp_eq_u32_e32 vcc, 1, v23
	s_and_saveexec_b64 s[0:1], vcc
	s_cbranch_execz .LBB251_110
; %bb.109:
	v_sub_u32_e32 v23, v34, v19
	v_lshlrev_b32_e32 v23, 3, v23
	ds_write_b64 v23, v[10:11]
.LBB251_110:
	s_or_b64 exec, exec, s[0:1]
	v_and_b32_e32 v10, 1, v21
	v_cmp_eq_u32_e32 vcc, 1, v10
	s_and_saveexec_b64 s[0:1], vcc
	s_cbranch_execz .LBB251_112
; %bb.111:
	v_sub_u32_e32 v10, v32, v19
	v_lshlrev_b32_e32 v10, 3, v10
	ds_write_b64 v10, v[12:13]
.LBB251_112:
	s_or_b64 exec, exec, s[0:1]
	v_mov_b32_e32 v10, 1
	v_and_b32_sdwa v10, v10, v16 dst_sel:DWORD dst_unused:UNUSED_PAD src0_sel:DWORD src1_sel:WORD_1
	v_cmp_eq_u32_e32 vcc, 1, v10
	s_and_saveexec_b64 s[0:1], vcc
	s_cbranch_execz .LBB251_114
; %bb.113:
	v_sub_u32_e32 v10, v30, v19
	v_lshlrev_b32_e32 v10, 3, v10
	ds_write_b64 v10, v[6:7]
.LBB251_114:
	s_or_b64 exec, exec, s[0:1]
	v_and_b32_e32 v6, 1, v20
	v_cmp_eq_u32_e32 vcc, 1, v6
	s_and_saveexec_b64 s[0:1], vcc
	s_cbranch_execz .LBB251_116
; %bb.115:
	v_sub_u32_e32 v6, v28, v19
	v_lshlrev_b32_e32 v6, 3, v6
	ds_write_b64 v6, v[8:9]
.LBB251_116:
	s_or_b64 exec, exec, s[0:1]
	v_and_b32_e32 v6, 1, v17
	;; [unrolled: 10-line block ×3, first 2 shown]
	v_cmp_eq_u32_e32 vcc, 1, v1
	s_and_saveexec_b64 s[0:1], vcc
	s_cbranch_execz .LBB251_120
; %bb.119:
	v_sub_u32_e32 v1, v24, v19
	v_lshlrev_b32_e32 v1, 3, v1
	ds_write_b64 v1, v[4:5]
.LBB251_120:
	s_or_b64 exec, exec, s[0:1]
	v_mov_b32_e32 v1, 1
	v_and_b32_sdwa v1, v1, v17 dst_sel:DWORD dst_unused:UNUSED_PAD src0_sel:DWORD src1_sel:WORD_1
	v_cmp_eq_u32_e32 vcc, 1, v1
	s_and_saveexec_b64 s[0:1], vcc
	s_cbranch_execz .LBB251_122
; %bb.121:
	v_sub_u32_e32 v1, v22, v19
	v_lshlrev_b32_e32 v1, 3, v1
	ds_write_b64 v1, v[14:15]
.LBB251_122:
	s_or_b64 exec, exec, s[0:1]
	v_cmp_lt_u32_e32 vcc, v0, v18
	s_waitcnt lgkmcnt(0)
	s_barrier
	s_and_saveexec_b64 s[0:1], vcc
	s_cbranch_execz .LBB251_125
; %bb.123:
	v_mov_b32_e32 v5, 0
	v_mov_b32_e32 v4, v19
	s_lshl_b64 s[2:3], s[22:23], 3
	v_lshlrev_b64 v[6:7], 3, v[4:5]
	v_lshl_add_u64 v[6:7], s[2:3], 0, v[6:7]
	v_lshlrev_b32_e32 v2, 3, v0
	v_mov_b32_e32 v3, v5
	v_lshl_add_u64 v[4:5], s[24:25], 0, v[6:7]
	v_lshl_add_u64 v[4:5], v[4:5], 0, v[2:3]
	s_mov_b64 s[2:3], 0
	s_mov_b64 s[4:5], 0x1000
.LBB251_124:                            ; =>This Inner Loop Header: Depth=1
	ds_read_b64 v[6:7], v2
	v_add_u32_e32 v0, 0x200, v0
	v_cmp_ge_u32_e32 vcc, v0, v18
	v_add_u32_e32 v2, 0x1000, v2
	s_or_b64 s[2:3], vcc, s[2:3]
	s_waitcnt lgkmcnt(0)
	global_store_dwordx2 v[4:5], v[6:7], off
	v_lshl_add_u64 v[4:5], v[4:5], 0, s[4:5]
	s_andn2_b64 exec, exec, s[2:3]
	s_cbranch_execnz .LBB251_124
.LBB251_125:
	s_or_b64 exec, exec, s[0:1]
	s_and_b64 s[0:1], s[18:19], s[26:27]
	s_and_saveexec_b64 s[2:3], s[0:1]
	s_cbranch_execz .LBB251_85
.LBB251_126:
	v_mov_b32_e32 v1, 0
	v_mov_b32_e32 v0, v18
	v_lshl_add_u64 v[2:3], s[22:23], 0, v[0:1]
	v_mov_b32_e32 v0, v19
	v_lshl_add_u64 v[2:3], v[2:3], 0, v[0:1]
	global_store_dwordx2 v1, v[2:3], s[20:21]
	s_endpgm
.LBB251_127:
	s_or_b64 exec, exec, s[4:5]
	s_and_saveexec_b64 s[2:3], s[34:35]
	s_cbranch_execnz .LBB251_42
	s_branch .LBB251_43
	.section	.rodata,"a",@progbits
	.p2align	6, 0x0
	.amdhsa_kernel _ZN7rocprim17ROCPRIM_400000_NS6detail17trampoline_kernelINS0_14default_configENS1_25partition_config_selectorILNS1_17partition_subalgoE8ElNS0_10empty_typeEbEEZZNS1_14partition_implILS5_8ELb0ES3_jPKlPS6_PKS6_NS0_5tupleIJPlS6_EEENSE_IJSB_SB_EEENS0_18inequality_wrapperIN6hipcub16HIPCUB_304000_NS8EqualityEEESF_JS6_EEE10hipError_tPvRmT3_T4_T5_T6_T7_T9_mT8_P12ihipStream_tbDpT10_ENKUlT_T0_E_clISt17integral_constantIbLb0EES15_IbLb1EEEEDaS11_S12_EUlS11_E_NS1_11comp_targetILNS1_3genE5ELNS1_11target_archE942ELNS1_3gpuE9ELNS1_3repE0EEENS1_30default_config_static_selectorELNS0_4arch9wavefront6targetE1EEEvT1_
		.amdhsa_group_segment_fixed_size 28680
		.amdhsa_private_segment_fixed_size 0
		.amdhsa_kernarg_size 128
		.amdhsa_user_sgpr_count 2
		.amdhsa_user_sgpr_dispatch_ptr 0
		.amdhsa_user_sgpr_queue_ptr 0
		.amdhsa_user_sgpr_kernarg_segment_ptr 1
		.amdhsa_user_sgpr_dispatch_id 0
		.amdhsa_user_sgpr_kernarg_preload_length 0
		.amdhsa_user_sgpr_kernarg_preload_offset 0
		.amdhsa_user_sgpr_private_segment_size 0
		.amdhsa_uses_dynamic_stack 0
		.amdhsa_enable_private_segment 0
		.amdhsa_system_sgpr_workgroup_id_x 1
		.amdhsa_system_sgpr_workgroup_id_y 0
		.amdhsa_system_sgpr_workgroup_id_z 0
		.amdhsa_system_sgpr_workgroup_info 0
		.amdhsa_system_vgpr_workitem_id 0
		.amdhsa_next_free_vgpr 53
		.amdhsa_next_free_sgpr 40
		.amdhsa_accum_offset 56
		.amdhsa_reserve_vcc 1
		.amdhsa_float_round_mode_32 0
		.amdhsa_float_round_mode_16_64 0
		.amdhsa_float_denorm_mode_32 3
		.amdhsa_float_denorm_mode_16_64 3
		.amdhsa_dx10_clamp 1
		.amdhsa_ieee_mode 1
		.amdhsa_fp16_overflow 0
		.amdhsa_tg_split 0
		.amdhsa_exception_fp_ieee_invalid_op 0
		.amdhsa_exception_fp_denorm_src 0
		.amdhsa_exception_fp_ieee_div_zero 0
		.amdhsa_exception_fp_ieee_overflow 0
		.amdhsa_exception_fp_ieee_underflow 0
		.amdhsa_exception_fp_ieee_inexact 0
		.amdhsa_exception_int_div_zero 0
	.end_amdhsa_kernel
	.section	.text._ZN7rocprim17ROCPRIM_400000_NS6detail17trampoline_kernelINS0_14default_configENS1_25partition_config_selectorILNS1_17partition_subalgoE8ElNS0_10empty_typeEbEEZZNS1_14partition_implILS5_8ELb0ES3_jPKlPS6_PKS6_NS0_5tupleIJPlS6_EEENSE_IJSB_SB_EEENS0_18inequality_wrapperIN6hipcub16HIPCUB_304000_NS8EqualityEEESF_JS6_EEE10hipError_tPvRmT3_T4_T5_T6_T7_T9_mT8_P12ihipStream_tbDpT10_ENKUlT_T0_E_clISt17integral_constantIbLb0EES15_IbLb1EEEEDaS11_S12_EUlS11_E_NS1_11comp_targetILNS1_3genE5ELNS1_11target_archE942ELNS1_3gpuE9ELNS1_3repE0EEENS1_30default_config_static_selectorELNS0_4arch9wavefront6targetE1EEEvT1_,"axG",@progbits,_ZN7rocprim17ROCPRIM_400000_NS6detail17trampoline_kernelINS0_14default_configENS1_25partition_config_selectorILNS1_17partition_subalgoE8ElNS0_10empty_typeEbEEZZNS1_14partition_implILS5_8ELb0ES3_jPKlPS6_PKS6_NS0_5tupleIJPlS6_EEENSE_IJSB_SB_EEENS0_18inequality_wrapperIN6hipcub16HIPCUB_304000_NS8EqualityEEESF_JS6_EEE10hipError_tPvRmT3_T4_T5_T6_T7_T9_mT8_P12ihipStream_tbDpT10_ENKUlT_T0_E_clISt17integral_constantIbLb0EES15_IbLb1EEEEDaS11_S12_EUlS11_E_NS1_11comp_targetILNS1_3genE5ELNS1_11target_archE942ELNS1_3gpuE9ELNS1_3repE0EEENS1_30default_config_static_selectorELNS0_4arch9wavefront6targetE1EEEvT1_,comdat
.Lfunc_end251:
	.size	_ZN7rocprim17ROCPRIM_400000_NS6detail17trampoline_kernelINS0_14default_configENS1_25partition_config_selectorILNS1_17partition_subalgoE8ElNS0_10empty_typeEbEEZZNS1_14partition_implILS5_8ELb0ES3_jPKlPS6_PKS6_NS0_5tupleIJPlS6_EEENSE_IJSB_SB_EEENS0_18inequality_wrapperIN6hipcub16HIPCUB_304000_NS8EqualityEEESF_JS6_EEE10hipError_tPvRmT3_T4_T5_T6_T7_T9_mT8_P12ihipStream_tbDpT10_ENKUlT_T0_E_clISt17integral_constantIbLb0EES15_IbLb1EEEEDaS11_S12_EUlS11_E_NS1_11comp_targetILNS1_3genE5ELNS1_11target_archE942ELNS1_3gpuE9ELNS1_3repE0EEENS1_30default_config_static_selectorELNS0_4arch9wavefront6targetE1EEEvT1_, .Lfunc_end251-_ZN7rocprim17ROCPRIM_400000_NS6detail17trampoline_kernelINS0_14default_configENS1_25partition_config_selectorILNS1_17partition_subalgoE8ElNS0_10empty_typeEbEEZZNS1_14partition_implILS5_8ELb0ES3_jPKlPS6_PKS6_NS0_5tupleIJPlS6_EEENSE_IJSB_SB_EEENS0_18inequality_wrapperIN6hipcub16HIPCUB_304000_NS8EqualityEEESF_JS6_EEE10hipError_tPvRmT3_T4_T5_T6_T7_T9_mT8_P12ihipStream_tbDpT10_ENKUlT_T0_E_clISt17integral_constantIbLb0EES15_IbLb1EEEEDaS11_S12_EUlS11_E_NS1_11comp_targetILNS1_3genE5ELNS1_11target_archE942ELNS1_3gpuE9ELNS1_3repE0EEENS1_30default_config_static_selectorELNS0_4arch9wavefront6targetE1EEEvT1_
                                        ; -- End function
	.section	.AMDGPU.csdata,"",@progbits
; Kernel info:
; codeLenInByte = 5620
; NumSgprs: 46
; NumVgprs: 53
; NumAgprs: 0
; TotalNumVgprs: 53
; ScratchSize: 0
; MemoryBound: 0
; FloatMode: 240
; IeeeMode: 1
; LDSByteSize: 28680 bytes/workgroup (compile time only)
; SGPRBlocks: 5
; VGPRBlocks: 6
; NumSGPRsForWavesPerEU: 46
; NumVGPRsForWavesPerEU: 53
; AccumOffset: 56
; Occupancy: 4
; WaveLimiterHint : 1
; COMPUTE_PGM_RSRC2:SCRATCH_EN: 0
; COMPUTE_PGM_RSRC2:USER_SGPR: 2
; COMPUTE_PGM_RSRC2:TRAP_HANDLER: 0
; COMPUTE_PGM_RSRC2:TGID_X_EN: 1
; COMPUTE_PGM_RSRC2:TGID_Y_EN: 0
; COMPUTE_PGM_RSRC2:TGID_Z_EN: 0
; COMPUTE_PGM_RSRC2:TIDIG_COMP_CNT: 0
; COMPUTE_PGM_RSRC3_GFX90A:ACCUM_OFFSET: 13
; COMPUTE_PGM_RSRC3_GFX90A:TG_SPLIT: 0
	.section	.text._ZN7rocprim17ROCPRIM_400000_NS6detail17trampoline_kernelINS0_14default_configENS1_25partition_config_selectorILNS1_17partition_subalgoE8ElNS0_10empty_typeEbEEZZNS1_14partition_implILS5_8ELb0ES3_jPKlPS6_PKS6_NS0_5tupleIJPlS6_EEENSE_IJSB_SB_EEENS0_18inequality_wrapperIN6hipcub16HIPCUB_304000_NS8EqualityEEESF_JS6_EEE10hipError_tPvRmT3_T4_T5_T6_T7_T9_mT8_P12ihipStream_tbDpT10_ENKUlT_T0_E_clISt17integral_constantIbLb0EES15_IbLb1EEEEDaS11_S12_EUlS11_E_NS1_11comp_targetILNS1_3genE4ELNS1_11target_archE910ELNS1_3gpuE8ELNS1_3repE0EEENS1_30default_config_static_selectorELNS0_4arch9wavefront6targetE1EEEvT1_,"axG",@progbits,_ZN7rocprim17ROCPRIM_400000_NS6detail17trampoline_kernelINS0_14default_configENS1_25partition_config_selectorILNS1_17partition_subalgoE8ElNS0_10empty_typeEbEEZZNS1_14partition_implILS5_8ELb0ES3_jPKlPS6_PKS6_NS0_5tupleIJPlS6_EEENSE_IJSB_SB_EEENS0_18inequality_wrapperIN6hipcub16HIPCUB_304000_NS8EqualityEEESF_JS6_EEE10hipError_tPvRmT3_T4_T5_T6_T7_T9_mT8_P12ihipStream_tbDpT10_ENKUlT_T0_E_clISt17integral_constantIbLb0EES15_IbLb1EEEEDaS11_S12_EUlS11_E_NS1_11comp_targetILNS1_3genE4ELNS1_11target_archE910ELNS1_3gpuE8ELNS1_3repE0EEENS1_30default_config_static_selectorELNS0_4arch9wavefront6targetE1EEEvT1_,comdat
	.protected	_ZN7rocprim17ROCPRIM_400000_NS6detail17trampoline_kernelINS0_14default_configENS1_25partition_config_selectorILNS1_17partition_subalgoE8ElNS0_10empty_typeEbEEZZNS1_14partition_implILS5_8ELb0ES3_jPKlPS6_PKS6_NS0_5tupleIJPlS6_EEENSE_IJSB_SB_EEENS0_18inequality_wrapperIN6hipcub16HIPCUB_304000_NS8EqualityEEESF_JS6_EEE10hipError_tPvRmT3_T4_T5_T6_T7_T9_mT8_P12ihipStream_tbDpT10_ENKUlT_T0_E_clISt17integral_constantIbLb0EES15_IbLb1EEEEDaS11_S12_EUlS11_E_NS1_11comp_targetILNS1_3genE4ELNS1_11target_archE910ELNS1_3gpuE8ELNS1_3repE0EEENS1_30default_config_static_selectorELNS0_4arch9wavefront6targetE1EEEvT1_ ; -- Begin function _ZN7rocprim17ROCPRIM_400000_NS6detail17trampoline_kernelINS0_14default_configENS1_25partition_config_selectorILNS1_17partition_subalgoE8ElNS0_10empty_typeEbEEZZNS1_14partition_implILS5_8ELb0ES3_jPKlPS6_PKS6_NS0_5tupleIJPlS6_EEENSE_IJSB_SB_EEENS0_18inequality_wrapperIN6hipcub16HIPCUB_304000_NS8EqualityEEESF_JS6_EEE10hipError_tPvRmT3_T4_T5_T6_T7_T9_mT8_P12ihipStream_tbDpT10_ENKUlT_T0_E_clISt17integral_constantIbLb0EES15_IbLb1EEEEDaS11_S12_EUlS11_E_NS1_11comp_targetILNS1_3genE4ELNS1_11target_archE910ELNS1_3gpuE8ELNS1_3repE0EEENS1_30default_config_static_selectorELNS0_4arch9wavefront6targetE1EEEvT1_
	.globl	_ZN7rocprim17ROCPRIM_400000_NS6detail17trampoline_kernelINS0_14default_configENS1_25partition_config_selectorILNS1_17partition_subalgoE8ElNS0_10empty_typeEbEEZZNS1_14partition_implILS5_8ELb0ES3_jPKlPS6_PKS6_NS0_5tupleIJPlS6_EEENSE_IJSB_SB_EEENS0_18inequality_wrapperIN6hipcub16HIPCUB_304000_NS8EqualityEEESF_JS6_EEE10hipError_tPvRmT3_T4_T5_T6_T7_T9_mT8_P12ihipStream_tbDpT10_ENKUlT_T0_E_clISt17integral_constantIbLb0EES15_IbLb1EEEEDaS11_S12_EUlS11_E_NS1_11comp_targetILNS1_3genE4ELNS1_11target_archE910ELNS1_3gpuE8ELNS1_3repE0EEENS1_30default_config_static_selectorELNS0_4arch9wavefront6targetE1EEEvT1_
	.p2align	8
	.type	_ZN7rocprim17ROCPRIM_400000_NS6detail17trampoline_kernelINS0_14default_configENS1_25partition_config_selectorILNS1_17partition_subalgoE8ElNS0_10empty_typeEbEEZZNS1_14partition_implILS5_8ELb0ES3_jPKlPS6_PKS6_NS0_5tupleIJPlS6_EEENSE_IJSB_SB_EEENS0_18inequality_wrapperIN6hipcub16HIPCUB_304000_NS8EqualityEEESF_JS6_EEE10hipError_tPvRmT3_T4_T5_T6_T7_T9_mT8_P12ihipStream_tbDpT10_ENKUlT_T0_E_clISt17integral_constantIbLb0EES15_IbLb1EEEEDaS11_S12_EUlS11_E_NS1_11comp_targetILNS1_3genE4ELNS1_11target_archE910ELNS1_3gpuE8ELNS1_3repE0EEENS1_30default_config_static_selectorELNS0_4arch9wavefront6targetE1EEEvT1_,@function
_ZN7rocprim17ROCPRIM_400000_NS6detail17trampoline_kernelINS0_14default_configENS1_25partition_config_selectorILNS1_17partition_subalgoE8ElNS0_10empty_typeEbEEZZNS1_14partition_implILS5_8ELb0ES3_jPKlPS6_PKS6_NS0_5tupleIJPlS6_EEENSE_IJSB_SB_EEENS0_18inequality_wrapperIN6hipcub16HIPCUB_304000_NS8EqualityEEESF_JS6_EEE10hipError_tPvRmT3_T4_T5_T6_T7_T9_mT8_P12ihipStream_tbDpT10_ENKUlT_T0_E_clISt17integral_constantIbLb0EES15_IbLb1EEEEDaS11_S12_EUlS11_E_NS1_11comp_targetILNS1_3genE4ELNS1_11target_archE910ELNS1_3gpuE8ELNS1_3repE0EEENS1_30default_config_static_selectorELNS0_4arch9wavefront6targetE1EEEvT1_: ; @_ZN7rocprim17ROCPRIM_400000_NS6detail17trampoline_kernelINS0_14default_configENS1_25partition_config_selectorILNS1_17partition_subalgoE8ElNS0_10empty_typeEbEEZZNS1_14partition_implILS5_8ELb0ES3_jPKlPS6_PKS6_NS0_5tupleIJPlS6_EEENSE_IJSB_SB_EEENS0_18inequality_wrapperIN6hipcub16HIPCUB_304000_NS8EqualityEEESF_JS6_EEE10hipError_tPvRmT3_T4_T5_T6_T7_T9_mT8_P12ihipStream_tbDpT10_ENKUlT_T0_E_clISt17integral_constantIbLb0EES15_IbLb1EEEEDaS11_S12_EUlS11_E_NS1_11comp_targetILNS1_3genE4ELNS1_11target_archE910ELNS1_3gpuE8ELNS1_3repE0EEENS1_30default_config_static_selectorELNS0_4arch9wavefront6targetE1EEEvT1_
; %bb.0:
	.section	.rodata,"a",@progbits
	.p2align	6, 0x0
	.amdhsa_kernel _ZN7rocprim17ROCPRIM_400000_NS6detail17trampoline_kernelINS0_14default_configENS1_25partition_config_selectorILNS1_17partition_subalgoE8ElNS0_10empty_typeEbEEZZNS1_14partition_implILS5_8ELb0ES3_jPKlPS6_PKS6_NS0_5tupleIJPlS6_EEENSE_IJSB_SB_EEENS0_18inequality_wrapperIN6hipcub16HIPCUB_304000_NS8EqualityEEESF_JS6_EEE10hipError_tPvRmT3_T4_T5_T6_T7_T9_mT8_P12ihipStream_tbDpT10_ENKUlT_T0_E_clISt17integral_constantIbLb0EES15_IbLb1EEEEDaS11_S12_EUlS11_E_NS1_11comp_targetILNS1_3genE4ELNS1_11target_archE910ELNS1_3gpuE8ELNS1_3repE0EEENS1_30default_config_static_selectorELNS0_4arch9wavefront6targetE1EEEvT1_
		.amdhsa_group_segment_fixed_size 0
		.amdhsa_private_segment_fixed_size 0
		.amdhsa_kernarg_size 128
		.amdhsa_user_sgpr_count 2
		.amdhsa_user_sgpr_dispatch_ptr 0
		.amdhsa_user_sgpr_queue_ptr 0
		.amdhsa_user_sgpr_kernarg_segment_ptr 1
		.amdhsa_user_sgpr_dispatch_id 0
		.amdhsa_user_sgpr_kernarg_preload_length 0
		.amdhsa_user_sgpr_kernarg_preload_offset 0
		.amdhsa_user_sgpr_private_segment_size 0
		.amdhsa_uses_dynamic_stack 0
		.amdhsa_enable_private_segment 0
		.amdhsa_system_sgpr_workgroup_id_x 1
		.amdhsa_system_sgpr_workgroup_id_y 0
		.amdhsa_system_sgpr_workgroup_id_z 0
		.amdhsa_system_sgpr_workgroup_info 0
		.amdhsa_system_vgpr_workitem_id 0
		.amdhsa_next_free_vgpr 1
		.amdhsa_next_free_sgpr 0
		.amdhsa_accum_offset 4
		.amdhsa_reserve_vcc 0
		.amdhsa_float_round_mode_32 0
		.amdhsa_float_round_mode_16_64 0
		.amdhsa_float_denorm_mode_32 3
		.amdhsa_float_denorm_mode_16_64 3
		.amdhsa_dx10_clamp 1
		.amdhsa_ieee_mode 1
		.amdhsa_fp16_overflow 0
		.amdhsa_tg_split 0
		.amdhsa_exception_fp_ieee_invalid_op 0
		.amdhsa_exception_fp_denorm_src 0
		.amdhsa_exception_fp_ieee_div_zero 0
		.amdhsa_exception_fp_ieee_overflow 0
		.amdhsa_exception_fp_ieee_underflow 0
		.amdhsa_exception_fp_ieee_inexact 0
		.amdhsa_exception_int_div_zero 0
	.end_amdhsa_kernel
	.section	.text._ZN7rocprim17ROCPRIM_400000_NS6detail17trampoline_kernelINS0_14default_configENS1_25partition_config_selectorILNS1_17partition_subalgoE8ElNS0_10empty_typeEbEEZZNS1_14partition_implILS5_8ELb0ES3_jPKlPS6_PKS6_NS0_5tupleIJPlS6_EEENSE_IJSB_SB_EEENS0_18inequality_wrapperIN6hipcub16HIPCUB_304000_NS8EqualityEEESF_JS6_EEE10hipError_tPvRmT3_T4_T5_T6_T7_T9_mT8_P12ihipStream_tbDpT10_ENKUlT_T0_E_clISt17integral_constantIbLb0EES15_IbLb1EEEEDaS11_S12_EUlS11_E_NS1_11comp_targetILNS1_3genE4ELNS1_11target_archE910ELNS1_3gpuE8ELNS1_3repE0EEENS1_30default_config_static_selectorELNS0_4arch9wavefront6targetE1EEEvT1_,"axG",@progbits,_ZN7rocprim17ROCPRIM_400000_NS6detail17trampoline_kernelINS0_14default_configENS1_25partition_config_selectorILNS1_17partition_subalgoE8ElNS0_10empty_typeEbEEZZNS1_14partition_implILS5_8ELb0ES3_jPKlPS6_PKS6_NS0_5tupleIJPlS6_EEENSE_IJSB_SB_EEENS0_18inequality_wrapperIN6hipcub16HIPCUB_304000_NS8EqualityEEESF_JS6_EEE10hipError_tPvRmT3_T4_T5_T6_T7_T9_mT8_P12ihipStream_tbDpT10_ENKUlT_T0_E_clISt17integral_constantIbLb0EES15_IbLb1EEEEDaS11_S12_EUlS11_E_NS1_11comp_targetILNS1_3genE4ELNS1_11target_archE910ELNS1_3gpuE8ELNS1_3repE0EEENS1_30default_config_static_selectorELNS0_4arch9wavefront6targetE1EEEvT1_,comdat
.Lfunc_end252:
	.size	_ZN7rocprim17ROCPRIM_400000_NS6detail17trampoline_kernelINS0_14default_configENS1_25partition_config_selectorILNS1_17partition_subalgoE8ElNS0_10empty_typeEbEEZZNS1_14partition_implILS5_8ELb0ES3_jPKlPS6_PKS6_NS0_5tupleIJPlS6_EEENSE_IJSB_SB_EEENS0_18inequality_wrapperIN6hipcub16HIPCUB_304000_NS8EqualityEEESF_JS6_EEE10hipError_tPvRmT3_T4_T5_T6_T7_T9_mT8_P12ihipStream_tbDpT10_ENKUlT_T0_E_clISt17integral_constantIbLb0EES15_IbLb1EEEEDaS11_S12_EUlS11_E_NS1_11comp_targetILNS1_3genE4ELNS1_11target_archE910ELNS1_3gpuE8ELNS1_3repE0EEENS1_30default_config_static_selectorELNS0_4arch9wavefront6targetE1EEEvT1_, .Lfunc_end252-_ZN7rocprim17ROCPRIM_400000_NS6detail17trampoline_kernelINS0_14default_configENS1_25partition_config_selectorILNS1_17partition_subalgoE8ElNS0_10empty_typeEbEEZZNS1_14partition_implILS5_8ELb0ES3_jPKlPS6_PKS6_NS0_5tupleIJPlS6_EEENSE_IJSB_SB_EEENS0_18inequality_wrapperIN6hipcub16HIPCUB_304000_NS8EqualityEEESF_JS6_EEE10hipError_tPvRmT3_T4_T5_T6_T7_T9_mT8_P12ihipStream_tbDpT10_ENKUlT_T0_E_clISt17integral_constantIbLb0EES15_IbLb1EEEEDaS11_S12_EUlS11_E_NS1_11comp_targetILNS1_3genE4ELNS1_11target_archE910ELNS1_3gpuE8ELNS1_3repE0EEENS1_30default_config_static_selectorELNS0_4arch9wavefront6targetE1EEEvT1_
                                        ; -- End function
	.section	.AMDGPU.csdata,"",@progbits
; Kernel info:
; codeLenInByte = 0
; NumSgprs: 6
; NumVgprs: 0
; NumAgprs: 0
; TotalNumVgprs: 0
; ScratchSize: 0
; MemoryBound: 0
; FloatMode: 240
; IeeeMode: 1
; LDSByteSize: 0 bytes/workgroup (compile time only)
; SGPRBlocks: 0
; VGPRBlocks: 0
; NumSGPRsForWavesPerEU: 6
; NumVGPRsForWavesPerEU: 1
; AccumOffset: 4
; Occupancy: 8
; WaveLimiterHint : 0
; COMPUTE_PGM_RSRC2:SCRATCH_EN: 0
; COMPUTE_PGM_RSRC2:USER_SGPR: 2
; COMPUTE_PGM_RSRC2:TRAP_HANDLER: 0
; COMPUTE_PGM_RSRC2:TGID_X_EN: 1
; COMPUTE_PGM_RSRC2:TGID_Y_EN: 0
; COMPUTE_PGM_RSRC2:TGID_Z_EN: 0
; COMPUTE_PGM_RSRC2:TIDIG_COMP_CNT: 0
; COMPUTE_PGM_RSRC3_GFX90A:ACCUM_OFFSET: 0
; COMPUTE_PGM_RSRC3_GFX90A:TG_SPLIT: 0
	.section	.text._ZN7rocprim17ROCPRIM_400000_NS6detail17trampoline_kernelINS0_14default_configENS1_25partition_config_selectorILNS1_17partition_subalgoE8ElNS0_10empty_typeEbEEZZNS1_14partition_implILS5_8ELb0ES3_jPKlPS6_PKS6_NS0_5tupleIJPlS6_EEENSE_IJSB_SB_EEENS0_18inequality_wrapperIN6hipcub16HIPCUB_304000_NS8EqualityEEESF_JS6_EEE10hipError_tPvRmT3_T4_T5_T6_T7_T9_mT8_P12ihipStream_tbDpT10_ENKUlT_T0_E_clISt17integral_constantIbLb0EES15_IbLb1EEEEDaS11_S12_EUlS11_E_NS1_11comp_targetILNS1_3genE3ELNS1_11target_archE908ELNS1_3gpuE7ELNS1_3repE0EEENS1_30default_config_static_selectorELNS0_4arch9wavefront6targetE1EEEvT1_,"axG",@progbits,_ZN7rocprim17ROCPRIM_400000_NS6detail17trampoline_kernelINS0_14default_configENS1_25partition_config_selectorILNS1_17partition_subalgoE8ElNS0_10empty_typeEbEEZZNS1_14partition_implILS5_8ELb0ES3_jPKlPS6_PKS6_NS0_5tupleIJPlS6_EEENSE_IJSB_SB_EEENS0_18inequality_wrapperIN6hipcub16HIPCUB_304000_NS8EqualityEEESF_JS6_EEE10hipError_tPvRmT3_T4_T5_T6_T7_T9_mT8_P12ihipStream_tbDpT10_ENKUlT_T0_E_clISt17integral_constantIbLb0EES15_IbLb1EEEEDaS11_S12_EUlS11_E_NS1_11comp_targetILNS1_3genE3ELNS1_11target_archE908ELNS1_3gpuE7ELNS1_3repE0EEENS1_30default_config_static_selectorELNS0_4arch9wavefront6targetE1EEEvT1_,comdat
	.protected	_ZN7rocprim17ROCPRIM_400000_NS6detail17trampoline_kernelINS0_14default_configENS1_25partition_config_selectorILNS1_17partition_subalgoE8ElNS0_10empty_typeEbEEZZNS1_14partition_implILS5_8ELb0ES3_jPKlPS6_PKS6_NS0_5tupleIJPlS6_EEENSE_IJSB_SB_EEENS0_18inequality_wrapperIN6hipcub16HIPCUB_304000_NS8EqualityEEESF_JS6_EEE10hipError_tPvRmT3_T4_T5_T6_T7_T9_mT8_P12ihipStream_tbDpT10_ENKUlT_T0_E_clISt17integral_constantIbLb0EES15_IbLb1EEEEDaS11_S12_EUlS11_E_NS1_11comp_targetILNS1_3genE3ELNS1_11target_archE908ELNS1_3gpuE7ELNS1_3repE0EEENS1_30default_config_static_selectorELNS0_4arch9wavefront6targetE1EEEvT1_ ; -- Begin function _ZN7rocprim17ROCPRIM_400000_NS6detail17trampoline_kernelINS0_14default_configENS1_25partition_config_selectorILNS1_17partition_subalgoE8ElNS0_10empty_typeEbEEZZNS1_14partition_implILS5_8ELb0ES3_jPKlPS6_PKS6_NS0_5tupleIJPlS6_EEENSE_IJSB_SB_EEENS0_18inequality_wrapperIN6hipcub16HIPCUB_304000_NS8EqualityEEESF_JS6_EEE10hipError_tPvRmT3_T4_T5_T6_T7_T9_mT8_P12ihipStream_tbDpT10_ENKUlT_T0_E_clISt17integral_constantIbLb0EES15_IbLb1EEEEDaS11_S12_EUlS11_E_NS1_11comp_targetILNS1_3genE3ELNS1_11target_archE908ELNS1_3gpuE7ELNS1_3repE0EEENS1_30default_config_static_selectorELNS0_4arch9wavefront6targetE1EEEvT1_
	.globl	_ZN7rocprim17ROCPRIM_400000_NS6detail17trampoline_kernelINS0_14default_configENS1_25partition_config_selectorILNS1_17partition_subalgoE8ElNS0_10empty_typeEbEEZZNS1_14partition_implILS5_8ELb0ES3_jPKlPS6_PKS6_NS0_5tupleIJPlS6_EEENSE_IJSB_SB_EEENS0_18inequality_wrapperIN6hipcub16HIPCUB_304000_NS8EqualityEEESF_JS6_EEE10hipError_tPvRmT3_T4_T5_T6_T7_T9_mT8_P12ihipStream_tbDpT10_ENKUlT_T0_E_clISt17integral_constantIbLb0EES15_IbLb1EEEEDaS11_S12_EUlS11_E_NS1_11comp_targetILNS1_3genE3ELNS1_11target_archE908ELNS1_3gpuE7ELNS1_3repE0EEENS1_30default_config_static_selectorELNS0_4arch9wavefront6targetE1EEEvT1_
	.p2align	8
	.type	_ZN7rocprim17ROCPRIM_400000_NS6detail17trampoline_kernelINS0_14default_configENS1_25partition_config_selectorILNS1_17partition_subalgoE8ElNS0_10empty_typeEbEEZZNS1_14partition_implILS5_8ELb0ES3_jPKlPS6_PKS6_NS0_5tupleIJPlS6_EEENSE_IJSB_SB_EEENS0_18inequality_wrapperIN6hipcub16HIPCUB_304000_NS8EqualityEEESF_JS6_EEE10hipError_tPvRmT3_T4_T5_T6_T7_T9_mT8_P12ihipStream_tbDpT10_ENKUlT_T0_E_clISt17integral_constantIbLb0EES15_IbLb1EEEEDaS11_S12_EUlS11_E_NS1_11comp_targetILNS1_3genE3ELNS1_11target_archE908ELNS1_3gpuE7ELNS1_3repE0EEENS1_30default_config_static_selectorELNS0_4arch9wavefront6targetE1EEEvT1_,@function
_ZN7rocprim17ROCPRIM_400000_NS6detail17trampoline_kernelINS0_14default_configENS1_25partition_config_selectorILNS1_17partition_subalgoE8ElNS0_10empty_typeEbEEZZNS1_14partition_implILS5_8ELb0ES3_jPKlPS6_PKS6_NS0_5tupleIJPlS6_EEENSE_IJSB_SB_EEENS0_18inequality_wrapperIN6hipcub16HIPCUB_304000_NS8EqualityEEESF_JS6_EEE10hipError_tPvRmT3_T4_T5_T6_T7_T9_mT8_P12ihipStream_tbDpT10_ENKUlT_T0_E_clISt17integral_constantIbLb0EES15_IbLb1EEEEDaS11_S12_EUlS11_E_NS1_11comp_targetILNS1_3genE3ELNS1_11target_archE908ELNS1_3gpuE7ELNS1_3repE0EEENS1_30default_config_static_selectorELNS0_4arch9wavefront6targetE1EEEvT1_: ; @_ZN7rocprim17ROCPRIM_400000_NS6detail17trampoline_kernelINS0_14default_configENS1_25partition_config_selectorILNS1_17partition_subalgoE8ElNS0_10empty_typeEbEEZZNS1_14partition_implILS5_8ELb0ES3_jPKlPS6_PKS6_NS0_5tupleIJPlS6_EEENSE_IJSB_SB_EEENS0_18inequality_wrapperIN6hipcub16HIPCUB_304000_NS8EqualityEEESF_JS6_EEE10hipError_tPvRmT3_T4_T5_T6_T7_T9_mT8_P12ihipStream_tbDpT10_ENKUlT_T0_E_clISt17integral_constantIbLb0EES15_IbLb1EEEEDaS11_S12_EUlS11_E_NS1_11comp_targetILNS1_3genE3ELNS1_11target_archE908ELNS1_3gpuE7ELNS1_3repE0EEENS1_30default_config_static_selectorELNS0_4arch9wavefront6targetE1EEEvT1_
; %bb.0:
	.section	.rodata,"a",@progbits
	.p2align	6, 0x0
	.amdhsa_kernel _ZN7rocprim17ROCPRIM_400000_NS6detail17trampoline_kernelINS0_14default_configENS1_25partition_config_selectorILNS1_17partition_subalgoE8ElNS0_10empty_typeEbEEZZNS1_14partition_implILS5_8ELb0ES3_jPKlPS6_PKS6_NS0_5tupleIJPlS6_EEENSE_IJSB_SB_EEENS0_18inequality_wrapperIN6hipcub16HIPCUB_304000_NS8EqualityEEESF_JS6_EEE10hipError_tPvRmT3_T4_T5_T6_T7_T9_mT8_P12ihipStream_tbDpT10_ENKUlT_T0_E_clISt17integral_constantIbLb0EES15_IbLb1EEEEDaS11_S12_EUlS11_E_NS1_11comp_targetILNS1_3genE3ELNS1_11target_archE908ELNS1_3gpuE7ELNS1_3repE0EEENS1_30default_config_static_selectorELNS0_4arch9wavefront6targetE1EEEvT1_
		.amdhsa_group_segment_fixed_size 0
		.amdhsa_private_segment_fixed_size 0
		.amdhsa_kernarg_size 128
		.amdhsa_user_sgpr_count 2
		.amdhsa_user_sgpr_dispatch_ptr 0
		.amdhsa_user_sgpr_queue_ptr 0
		.amdhsa_user_sgpr_kernarg_segment_ptr 1
		.amdhsa_user_sgpr_dispatch_id 0
		.amdhsa_user_sgpr_kernarg_preload_length 0
		.amdhsa_user_sgpr_kernarg_preload_offset 0
		.amdhsa_user_sgpr_private_segment_size 0
		.amdhsa_uses_dynamic_stack 0
		.amdhsa_enable_private_segment 0
		.amdhsa_system_sgpr_workgroup_id_x 1
		.amdhsa_system_sgpr_workgroup_id_y 0
		.amdhsa_system_sgpr_workgroup_id_z 0
		.amdhsa_system_sgpr_workgroup_info 0
		.amdhsa_system_vgpr_workitem_id 0
		.amdhsa_next_free_vgpr 1
		.amdhsa_next_free_sgpr 0
		.amdhsa_accum_offset 4
		.amdhsa_reserve_vcc 0
		.amdhsa_float_round_mode_32 0
		.amdhsa_float_round_mode_16_64 0
		.amdhsa_float_denorm_mode_32 3
		.amdhsa_float_denorm_mode_16_64 3
		.amdhsa_dx10_clamp 1
		.amdhsa_ieee_mode 1
		.amdhsa_fp16_overflow 0
		.amdhsa_tg_split 0
		.amdhsa_exception_fp_ieee_invalid_op 0
		.amdhsa_exception_fp_denorm_src 0
		.amdhsa_exception_fp_ieee_div_zero 0
		.amdhsa_exception_fp_ieee_overflow 0
		.amdhsa_exception_fp_ieee_underflow 0
		.amdhsa_exception_fp_ieee_inexact 0
		.amdhsa_exception_int_div_zero 0
	.end_amdhsa_kernel
	.section	.text._ZN7rocprim17ROCPRIM_400000_NS6detail17trampoline_kernelINS0_14default_configENS1_25partition_config_selectorILNS1_17partition_subalgoE8ElNS0_10empty_typeEbEEZZNS1_14partition_implILS5_8ELb0ES3_jPKlPS6_PKS6_NS0_5tupleIJPlS6_EEENSE_IJSB_SB_EEENS0_18inequality_wrapperIN6hipcub16HIPCUB_304000_NS8EqualityEEESF_JS6_EEE10hipError_tPvRmT3_T4_T5_T6_T7_T9_mT8_P12ihipStream_tbDpT10_ENKUlT_T0_E_clISt17integral_constantIbLb0EES15_IbLb1EEEEDaS11_S12_EUlS11_E_NS1_11comp_targetILNS1_3genE3ELNS1_11target_archE908ELNS1_3gpuE7ELNS1_3repE0EEENS1_30default_config_static_selectorELNS0_4arch9wavefront6targetE1EEEvT1_,"axG",@progbits,_ZN7rocprim17ROCPRIM_400000_NS6detail17trampoline_kernelINS0_14default_configENS1_25partition_config_selectorILNS1_17partition_subalgoE8ElNS0_10empty_typeEbEEZZNS1_14partition_implILS5_8ELb0ES3_jPKlPS6_PKS6_NS0_5tupleIJPlS6_EEENSE_IJSB_SB_EEENS0_18inequality_wrapperIN6hipcub16HIPCUB_304000_NS8EqualityEEESF_JS6_EEE10hipError_tPvRmT3_T4_T5_T6_T7_T9_mT8_P12ihipStream_tbDpT10_ENKUlT_T0_E_clISt17integral_constantIbLb0EES15_IbLb1EEEEDaS11_S12_EUlS11_E_NS1_11comp_targetILNS1_3genE3ELNS1_11target_archE908ELNS1_3gpuE7ELNS1_3repE0EEENS1_30default_config_static_selectorELNS0_4arch9wavefront6targetE1EEEvT1_,comdat
.Lfunc_end253:
	.size	_ZN7rocprim17ROCPRIM_400000_NS6detail17trampoline_kernelINS0_14default_configENS1_25partition_config_selectorILNS1_17partition_subalgoE8ElNS0_10empty_typeEbEEZZNS1_14partition_implILS5_8ELb0ES3_jPKlPS6_PKS6_NS0_5tupleIJPlS6_EEENSE_IJSB_SB_EEENS0_18inequality_wrapperIN6hipcub16HIPCUB_304000_NS8EqualityEEESF_JS6_EEE10hipError_tPvRmT3_T4_T5_T6_T7_T9_mT8_P12ihipStream_tbDpT10_ENKUlT_T0_E_clISt17integral_constantIbLb0EES15_IbLb1EEEEDaS11_S12_EUlS11_E_NS1_11comp_targetILNS1_3genE3ELNS1_11target_archE908ELNS1_3gpuE7ELNS1_3repE0EEENS1_30default_config_static_selectorELNS0_4arch9wavefront6targetE1EEEvT1_, .Lfunc_end253-_ZN7rocprim17ROCPRIM_400000_NS6detail17trampoline_kernelINS0_14default_configENS1_25partition_config_selectorILNS1_17partition_subalgoE8ElNS0_10empty_typeEbEEZZNS1_14partition_implILS5_8ELb0ES3_jPKlPS6_PKS6_NS0_5tupleIJPlS6_EEENSE_IJSB_SB_EEENS0_18inequality_wrapperIN6hipcub16HIPCUB_304000_NS8EqualityEEESF_JS6_EEE10hipError_tPvRmT3_T4_T5_T6_T7_T9_mT8_P12ihipStream_tbDpT10_ENKUlT_T0_E_clISt17integral_constantIbLb0EES15_IbLb1EEEEDaS11_S12_EUlS11_E_NS1_11comp_targetILNS1_3genE3ELNS1_11target_archE908ELNS1_3gpuE7ELNS1_3repE0EEENS1_30default_config_static_selectorELNS0_4arch9wavefront6targetE1EEEvT1_
                                        ; -- End function
	.section	.AMDGPU.csdata,"",@progbits
; Kernel info:
; codeLenInByte = 0
; NumSgprs: 6
; NumVgprs: 0
; NumAgprs: 0
; TotalNumVgprs: 0
; ScratchSize: 0
; MemoryBound: 0
; FloatMode: 240
; IeeeMode: 1
; LDSByteSize: 0 bytes/workgroup (compile time only)
; SGPRBlocks: 0
; VGPRBlocks: 0
; NumSGPRsForWavesPerEU: 6
; NumVGPRsForWavesPerEU: 1
; AccumOffset: 4
; Occupancy: 8
; WaveLimiterHint : 0
; COMPUTE_PGM_RSRC2:SCRATCH_EN: 0
; COMPUTE_PGM_RSRC2:USER_SGPR: 2
; COMPUTE_PGM_RSRC2:TRAP_HANDLER: 0
; COMPUTE_PGM_RSRC2:TGID_X_EN: 1
; COMPUTE_PGM_RSRC2:TGID_Y_EN: 0
; COMPUTE_PGM_RSRC2:TGID_Z_EN: 0
; COMPUTE_PGM_RSRC2:TIDIG_COMP_CNT: 0
; COMPUTE_PGM_RSRC3_GFX90A:ACCUM_OFFSET: 0
; COMPUTE_PGM_RSRC3_GFX90A:TG_SPLIT: 0
	.section	.text._ZN7rocprim17ROCPRIM_400000_NS6detail17trampoline_kernelINS0_14default_configENS1_25partition_config_selectorILNS1_17partition_subalgoE8ElNS0_10empty_typeEbEEZZNS1_14partition_implILS5_8ELb0ES3_jPKlPS6_PKS6_NS0_5tupleIJPlS6_EEENSE_IJSB_SB_EEENS0_18inequality_wrapperIN6hipcub16HIPCUB_304000_NS8EqualityEEESF_JS6_EEE10hipError_tPvRmT3_T4_T5_T6_T7_T9_mT8_P12ihipStream_tbDpT10_ENKUlT_T0_E_clISt17integral_constantIbLb0EES15_IbLb1EEEEDaS11_S12_EUlS11_E_NS1_11comp_targetILNS1_3genE2ELNS1_11target_archE906ELNS1_3gpuE6ELNS1_3repE0EEENS1_30default_config_static_selectorELNS0_4arch9wavefront6targetE1EEEvT1_,"axG",@progbits,_ZN7rocprim17ROCPRIM_400000_NS6detail17trampoline_kernelINS0_14default_configENS1_25partition_config_selectorILNS1_17partition_subalgoE8ElNS0_10empty_typeEbEEZZNS1_14partition_implILS5_8ELb0ES3_jPKlPS6_PKS6_NS0_5tupleIJPlS6_EEENSE_IJSB_SB_EEENS0_18inequality_wrapperIN6hipcub16HIPCUB_304000_NS8EqualityEEESF_JS6_EEE10hipError_tPvRmT3_T4_T5_T6_T7_T9_mT8_P12ihipStream_tbDpT10_ENKUlT_T0_E_clISt17integral_constantIbLb0EES15_IbLb1EEEEDaS11_S12_EUlS11_E_NS1_11comp_targetILNS1_3genE2ELNS1_11target_archE906ELNS1_3gpuE6ELNS1_3repE0EEENS1_30default_config_static_selectorELNS0_4arch9wavefront6targetE1EEEvT1_,comdat
	.protected	_ZN7rocprim17ROCPRIM_400000_NS6detail17trampoline_kernelINS0_14default_configENS1_25partition_config_selectorILNS1_17partition_subalgoE8ElNS0_10empty_typeEbEEZZNS1_14partition_implILS5_8ELb0ES3_jPKlPS6_PKS6_NS0_5tupleIJPlS6_EEENSE_IJSB_SB_EEENS0_18inequality_wrapperIN6hipcub16HIPCUB_304000_NS8EqualityEEESF_JS6_EEE10hipError_tPvRmT3_T4_T5_T6_T7_T9_mT8_P12ihipStream_tbDpT10_ENKUlT_T0_E_clISt17integral_constantIbLb0EES15_IbLb1EEEEDaS11_S12_EUlS11_E_NS1_11comp_targetILNS1_3genE2ELNS1_11target_archE906ELNS1_3gpuE6ELNS1_3repE0EEENS1_30default_config_static_selectorELNS0_4arch9wavefront6targetE1EEEvT1_ ; -- Begin function _ZN7rocprim17ROCPRIM_400000_NS6detail17trampoline_kernelINS0_14default_configENS1_25partition_config_selectorILNS1_17partition_subalgoE8ElNS0_10empty_typeEbEEZZNS1_14partition_implILS5_8ELb0ES3_jPKlPS6_PKS6_NS0_5tupleIJPlS6_EEENSE_IJSB_SB_EEENS0_18inequality_wrapperIN6hipcub16HIPCUB_304000_NS8EqualityEEESF_JS6_EEE10hipError_tPvRmT3_T4_T5_T6_T7_T9_mT8_P12ihipStream_tbDpT10_ENKUlT_T0_E_clISt17integral_constantIbLb0EES15_IbLb1EEEEDaS11_S12_EUlS11_E_NS1_11comp_targetILNS1_3genE2ELNS1_11target_archE906ELNS1_3gpuE6ELNS1_3repE0EEENS1_30default_config_static_selectorELNS0_4arch9wavefront6targetE1EEEvT1_
	.globl	_ZN7rocprim17ROCPRIM_400000_NS6detail17trampoline_kernelINS0_14default_configENS1_25partition_config_selectorILNS1_17partition_subalgoE8ElNS0_10empty_typeEbEEZZNS1_14partition_implILS5_8ELb0ES3_jPKlPS6_PKS6_NS0_5tupleIJPlS6_EEENSE_IJSB_SB_EEENS0_18inequality_wrapperIN6hipcub16HIPCUB_304000_NS8EqualityEEESF_JS6_EEE10hipError_tPvRmT3_T4_T5_T6_T7_T9_mT8_P12ihipStream_tbDpT10_ENKUlT_T0_E_clISt17integral_constantIbLb0EES15_IbLb1EEEEDaS11_S12_EUlS11_E_NS1_11comp_targetILNS1_3genE2ELNS1_11target_archE906ELNS1_3gpuE6ELNS1_3repE0EEENS1_30default_config_static_selectorELNS0_4arch9wavefront6targetE1EEEvT1_
	.p2align	8
	.type	_ZN7rocprim17ROCPRIM_400000_NS6detail17trampoline_kernelINS0_14default_configENS1_25partition_config_selectorILNS1_17partition_subalgoE8ElNS0_10empty_typeEbEEZZNS1_14partition_implILS5_8ELb0ES3_jPKlPS6_PKS6_NS0_5tupleIJPlS6_EEENSE_IJSB_SB_EEENS0_18inequality_wrapperIN6hipcub16HIPCUB_304000_NS8EqualityEEESF_JS6_EEE10hipError_tPvRmT3_T4_T5_T6_T7_T9_mT8_P12ihipStream_tbDpT10_ENKUlT_T0_E_clISt17integral_constantIbLb0EES15_IbLb1EEEEDaS11_S12_EUlS11_E_NS1_11comp_targetILNS1_3genE2ELNS1_11target_archE906ELNS1_3gpuE6ELNS1_3repE0EEENS1_30default_config_static_selectorELNS0_4arch9wavefront6targetE1EEEvT1_,@function
_ZN7rocprim17ROCPRIM_400000_NS6detail17trampoline_kernelINS0_14default_configENS1_25partition_config_selectorILNS1_17partition_subalgoE8ElNS0_10empty_typeEbEEZZNS1_14partition_implILS5_8ELb0ES3_jPKlPS6_PKS6_NS0_5tupleIJPlS6_EEENSE_IJSB_SB_EEENS0_18inequality_wrapperIN6hipcub16HIPCUB_304000_NS8EqualityEEESF_JS6_EEE10hipError_tPvRmT3_T4_T5_T6_T7_T9_mT8_P12ihipStream_tbDpT10_ENKUlT_T0_E_clISt17integral_constantIbLb0EES15_IbLb1EEEEDaS11_S12_EUlS11_E_NS1_11comp_targetILNS1_3genE2ELNS1_11target_archE906ELNS1_3gpuE6ELNS1_3repE0EEENS1_30default_config_static_selectorELNS0_4arch9wavefront6targetE1EEEvT1_: ; @_ZN7rocprim17ROCPRIM_400000_NS6detail17trampoline_kernelINS0_14default_configENS1_25partition_config_selectorILNS1_17partition_subalgoE8ElNS0_10empty_typeEbEEZZNS1_14partition_implILS5_8ELb0ES3_jPKlPS6_PKS6_NS0_5tupleIJPlS6_EEENSE_IJSB_SB_EEENS0_18inequality_wrapperIN6hipcub16HIPCUB_304000_NS8EqualityEEESF_JS6_EEE10hipError_tPvRmT3_T4_T5_T6_T7_T9_mT8_P12ihipStream_tbDpT10_ENKUlT_T0_E_clISt17integral_constantIbLb0EES15_IbLb1EEEEDaS11_S12_EUlS11_E_NS1_11comp_targetILNS1_3genE2ELNS1_11target_archE906ELNS1_3gpuE6ELNS1_3repE0EEENS1_30default_config_static_selectorELNS0_4arch9wavefront6targetE1EEEvT1_
; %bb.0:
	.section	.rodata,"a",@progbits
	.p2align	6, 0x0
	.amdhsa_kernel _ZN7rocprim17ROCPRIM_400000_NS6detail17trampoline_kernelINS0_14default_configENS1_25partition_config_selectorILNS1_17partition_subalgoE8ElNS0_10empty_typeEbEEZZNS1_14partition_implILS5_8ELb0ES3_jPKlPS6_PKS6_NS0_5tupleIJPlS6_EEENSE_IJSB_SB_EEENS0_18inequality_wrapperIN6hipcub16HIPCUB_304000_NS8EqualityEEESF_JS6_EEE10hipError_tPvRmT3_T4_T5_T6_T7_T9_mT8_P12ihipStream_tbDpT10_ENKUlT_T0_E_clISt17integral_constantIbLb0EES15_IbLb1EEEEDaS11_S12_EUlS11_E_NS1_11comp_targetILNS1_3genE2ELNS1_11target_archE906ELNS1_3gpuE6ELNS1_3repE0EEENS1_30default_config_static_selectorELNS0_4arch9wavefront6targetE1EEEvT1_
		.amdhsa_group_segment_fixed_size 0
		.amdhsa_private_segment_fixed_size 0
		.amdhsa_kernarg_size 128
		.amdhsa_user_sgpr_count 2
		.amdhsa_user_sgpr_dispatch_ptr 0
		.amdhsa_user_sgpr_queue_ptr 0
		.amdhsa_user_sgpr_kernarg_segment_ptr 1
		.amdhsa_user_sgpr_dispatch_id 0
		.amdhsa_user_sgpr_kernarg_preload_length 0
		.amdhsa_user_sgpr_kernarg_preload_offset 0
		.amdhsa_user_sgpr_private_segment_size 0
		.amdhsa_uses_dynamic_stack 0
		.amdhsa_enable_private_segment 0
		.amdhsa_system_sgpr_workgroup_id_x 1
		.amdhsa_system_sgpr_workgroup_id_y 0
		.amdhsa_system_sgpr_workgroup_id_z 0
		.amdhsa_system_sgpr_workgroup_info 0
		.amdhsa_system_vgpr_workitem_id 0
		.amdhsa_next_free_vgpr 1
		.amdhsa_next_free_sgpr 0
		.amdhsa_accum_offset 4
		.amdhsa_reserve_vcc 0
		.amdhsa_float_round_mode_32 0
		.amdhsa_float_round_mode_16_64 0
		.amdhsa_float_denorm_mode_32 3
		.amdhsa_float_denorm_mode_16_64 3
		.amdhsa_dx10_clamp 1
		.amdhsa_ieee_mode 1
		.amdhsa_fp16_overflow 0
		.amdhsa_tg_split 0
		.amdhsa_exception_fp_ieee_invalid_op 0
		.amdhsa_exception_fp_denorm_src 0
		.amdhsa_exception_fp_ieee_div_zero 0
		.amdhsa_exception_fp_ieee_overflow 0
		.amdhsa_exception_fp_ieee_underflow 0
		.amdhsa_exception_fp_ieee_inexact 0
		.amdhsa_exception_int_div_zero 0
	.end_amdhsa_kernel
	.section	.text._ZN7rocprim17ROCPRIM_400000_NS6detail17trampoline_kernelINS0_14default_configENS1_25partition_config_selectorILNS1_17partition_subalgoE8ElNS0_10empty_typeEbEEZZNS1_14partition_implILS5_8ELb0ES3_jPKlPS6_PKS6_NS0_5tupleIJPlS6_EEENSE_IJSB_SB_EEENS0_18inequality_wrapperIN6hipcub16HIPCUB_304000_NS8EqualityEEESF_JS6_EEE10hipError_tPvRmT3_T4_T5_T6_T7_T9_mT8_P12ihipStream_tbDpT10_ENKUlT_T0_E_clISt17integral_constantIbLb0EES15_IbLb1EEEEDaS11_S12_EUlS11_E_NS1_11comp_targetILNS1_3genE2ELNS1_11target_archE906ELNS1_3gpuE6ELNS1_3repE0EEENS1_30default_config_static_selectorELNS0_4arch9wavefront6targetE1EEEvT1_,"axG",@progbits,_ZN7rocprim17ROCPRIM_400000_NS6detail17trampoline_kernelINS0_14default_configENS1_25partition_config_selectorILNS1_17partition_subalgoE8ElNS0_10empty_typeEbEEZZNS1_14partition_implILS5_8ELb0ES3_jPKlPS6_PKS6_NS0_5tupleIJPlS6_EEENSE_IJSB_SB_EEENS0_18inequality_wrapperIN6hipcub16HIPCUB_304000_NS8EqualityEEESF_JS6_EEE10hipError_tPvRmT3_T4_T5_T6_T7_T9_mT8_P12ihipStream_tbDpT10_ENKUlT_T0_E_clISt17integral_constantIbLb0EES15_IbLb1EEEEDaS11_S12_EUlS11_E_NS1_11comp_targetILNS1_3genE2ELNS1_11target_archE906ELNS1_3gpuE6ELNS1_3repE0EEENS1_30default_config_static_selectorELNS0_4arch9wavefront6targetE1EEEvT1_,comdat
.Lfunc_end254:
	.size	_ZN7rocprim17ROCPRIM_400000_NS6detail17trampoline_kernelINS0_14default_configENS1_25partition_config_selectorILNS1_17partition_subalgoE8ElNS0_10empty_typeEbEEZZNS1_14partition_implILS5_8ELb0ES3_jPKlPS6_PKS6_NS0_5tupleIJPlS6_EEENSE_IJSB_SB_EEENS0_18inequality_wrapperIN6hipcub16HIPCUB_304000_NS8EqualityEEESF_JS6_EEE10hipError_tPvRmT3_T4_T5_T6_T7_T9_mT8_P12ihipStream_tbDpT10_ENKUlT_T0_E_clISt17integral_constantIbLb0EES15_IbLb1EEEEDaS11_S12_EUlS11_E_NS1_11comp_targetILNS1_3genE2ELNS1_11target_archE906ELNS1_3gpuE6ELNS1_3repE0EEENS1_30default_config_static_selectorELNS0_4arch9wavefront6targetE1EEEvT1_, .Lfunc_end254-_ZN7rocprim17ROCPRIM_400000_NS6detail17trampoline_kernelINS0_14default_configENS1_25partition_config_selectorILNS1_17partition_subalgoE8ElNS0_10empty_typeEbEEZZNS1_14partition_implILS5_8ELb0ES3_jPKlPS6_PKS6_NS0_5tupleIJPlS6_EEENSE_IJSB_SB_EEENS0_18inequality_wrapperIN6hipcub16HIPCUB_304000_NS8EqualityEEESF_JS6_EEE10hipError_tPvRmT3_T4_T5_T6_T7_T9_mT8_P12ihipStream_tbDpT10_ENKUlT_T0_E_clISt17integral_constantIbLb0EES15_IbLb1EEEEDaS11_S12_EUlS11_E_NS1_11comp_targetILNS1_3genE2ELNS1_11target_archE906ELNS1_3gpuE6ELNS1_3repE0EEENS1_30default_config_static_selectorELNS0_4arch9wavefront6targetE1EEEvT1_
                                        ; -- End function
	.section	.AMDGPU.csdata,"",@progbits
; Kernel info:
; codeLenInByte = 0
; NumSgprs: 6
; NumVgprs: 0
; NumAgprs: 0
; TotalNumVgprs: 0
; ScratchSize: 0
; MemoryBound: 0
; FloatMode: 240
; IeeeMode: 1
; LDSByteSize: 0 bytes/workgroup (compile time only)
; SGPRBlocks: 0
; VGPRBlocks: 0
; NumSGPRsForWavesPerEU: 6
; NumVGPRsForWavesPerEU: 1
; AccumOffset: 4
; Occupancy: 8
; WaveLimiterHint : 0
; COMPUTE_PGM_RSRC2:SCRATCH_EN: 0
; COMPUTE_PGM_RSRC2:USER_SGPR: 2
; COMPUTE_PGM_RSRC2:TRAP_HANDLER: 0
; COMPUTE_PGM_RSRC2:TGID_X_EN: 1
; COMPUTE_PGM_RSRC2:TGID_Y_EN: 0
; COMPUTE_PGM_RSRC2:TGID_Z_EN: 0
; COMPUTE_PGM_RSRC2:TIDIG_COMP_CNT: 0
; COMPUTE_PGM_RSRC3_GFX90A:ACCUM_OFFSET: 0
; COMPUTE_PGM_RSRC3_GFX90A:TG_SPLIT: 0
	.section	.text._ZN7rocprim17ROCPRIM_400000_NS6detail17trampoline_kernelINS0_14default_configENS1_25partition_config_selectorILNS1_17partition_subalgoE8ElNS0_10empty_typeEbEEZZNS1_14partition_implILS5_8ELb0ES3_jPKlPS6_PKS6_NS0_5tupleIJPlS6_EEENSE_IJSB_SB_EEENS0_18inequality_wrapperIN6hipcub16HIPCUB_304000_NS8EqualityEEESF_JS6_EEE10hipError_tPvRmT3_T4_T5_T6_T7_T9_mT8_P12ihipStream_tbDpT10_ENKUlT_T0_E_clISt17integral_constantIbLb0EES15_IbLb1EEEEDaS11_S12_EUlS11_E_NS1_11comp_targetILNS1_3genE10ELNS1_11target_archE1200ELNS1_3gpuE4ELNS1_3repE0EEENS1_30default_config_static_selectorELNS0_4arch9wavefront6targetE1EEEvT1_,"axG",@progbits,_ZN7rocprim17ROCPRIM_400000_NS6detail17trampoline_kernelINS0_14default_configENS1_25partition_config_selectorILNS1_17partition_subalgoE8ElNS0_10empty_typeEbEEZZNS1_14partition_implILS5_8ELb0ES3_jPKlPS6_PKS6_NS0_5tupleIJPlS6_EEENSE_IJSB_SB_EEENS0_18inequality_wrapperIN6hipcub16HIPCUB_304000_NS8EqualityEEESF_JS6_EEE10hipError_tPvRmT3_T4_T5_T6_T7_T9_mT8_P12ihipStream_tbDpT10_ENKUlT_T0_E_clISt17integral_constantIbLb0EES15_IbLb1EEEEDaS11_S12_EUlS11_E_NS1_11comp_targetILNS1_3genE10ELNS1_11target_archE1200ELNS1_3gpuE4ELNS1_3repE0EEENS1_30default_config_static_selectorELNS0_4arch9wavefront6targetE1EEEvT1_,comdat
	.protected	_ZN7rocprim17ROCPRIM_400000_NS6detail17trampoline_kernelINS0_14default_configENS1_25partition_config_selectorILNS1_17partition_subalgoE8ElNS0_10empty_typeEbEEZZNS1_14partition_implILS5_8ELb0ES3_jPKlPS6_PKS6_NS0_5tupleIJPlS6_EEENSE_IJSB_SB_EEENS0_18inequality_wrapperIN6hipcub16HIPCUB_304000_NS8EqualityEEESF_JS6_EEE10hipError_tPvRmT3_T4_T5_T6_T7_T9_mT8_P12ihipStream_tbDpT10_ENKUlT_T0_E_clISt17integral_constantIbLb0EES15_IbLb1EEEEDaS11_S12_EUlS11_E_NS1_11comp_targetILNS1_3genE10ELNS1_11target_archE1200ELNS1_3gpuE4ELNS1_3repE0EEENS1_30default_config_static_selectorELNS0_4arch9wavefront6targetE1EEEvT1_ ; -- Begin function _ZN7rocprim17ROCPRIM_400000_NS6detail17trampoline_kernelINS0_14default_configENS1_25partition_config_selectorILNS1_17partition_subalgoE8ElNS0_10empty_typeEbEEZZNS1_14partition_implILS5_8ELb0ES3_jPKlPS6_PKS6_NS0_5tupleIJPlS6_EEENSE_IJSB_SB_EEENS0_18inequality_wrapperIN6hipcub16HIPCUB_304000_NS8EqualityEEESF_JS6_EEE10hipError_tPvRmT3_T4_T5_T6_T7_T9_mT8_P12ihipStream_tbDpT10_ENKUlT_T0_E_clISt17integral_constantIbLb0EES15_IbLb1EEEEDaS11_S12_EUlS11_E_NS1_11comp_targetILNS1_3genE10ELNS1_11target_archE1200ELNS1_3gpuE4ELNS1_3repE0EEENS1_30default_config_static_selectorELNS0_4arch9wavefront6targetE1EEEvT1_
	.globl	_ZN7rocprim17ROCPRIM_400000_NS6detail17trampoline_kernelINS0_14default_configENS1_25partition_config_selectorILNS1_17partition_subalgoE8ElNS0_10empty_typeEbEEZZNS1_14partition_implILS5_8ELb0ES3_jPKlPS6_PKS6_NS0_5tupleIJPlS6_EEENSE_IJSB_SB_EEENS0_18inequality_wrapperIN6hipcub16HIPCUB_304000_NS8EqualityEEESF_JS6_EEE10hipError_tPvRmT3_T4_T5_T6_T7_T9_mT8_P12ihipStream_tbDpT10_ENKUlT_T0_E_clISt17integral_constantIbLb0EES15_IbLb1EEEEDaS11_S12_EUlS11_E_NS1_11comp_targetILNS1_3genE10ELNS1_11target_archE1200ELNS1_3gpuE4ELNS1_3repE0EEENS1_30default_config_static_selectorELNS0_4arch9wavefront6targetE1EEEvT1_
	.p2align	8
	.type	_ZN7rocprim17ROCPRIM_400000_NS6detail17trampoline_kernelINS0_14default_configENS1_25partition_config_selectorILNS1_17partition_subalgoE8ElNS0_10empty_typeEbEEZZNS1_14partition_implILS5_8ELb0ES3_jPKlPS6_PKS6_NS0_5tupleIJPlS6_EEENSE_IJSB_SB_EEENS0_18inequality_wrapperIN6hipcub16HIPCUB_304000_NS8EqualityEEESF_JS6_EEE10hipError_tPvRmT3_T4_T5_T6_T7_T9_mT8_P12ihipStream_tbDpT10_ENKUlT_T0_E_clISt17integral_constantIbLb0EES15_IbLb1EEEEDaS11_S12_EUlS11_E_NS1_11comp_targetILNS1_3genE10ELNS1_11target_archE1200ELNS1_3gpuE4ELNS1_3repE0EEENS1_30default_config_static_selectorELNS0_4arch9wavefront6targetE1EEEvT1_,@function
_ZN7rocprim17ROCPRIM_400000_NS6detail17trampoline_kernelINS0_14default_configENS1_25partition_config_selectorILNS1_17partition_subalgoE8ElNS0_10empty_typeEbEEZZNS1_14partition_implILS5_8ELb0ES3_jPKlPS6_PKS6_NS0_5tupleIJPlS6_EEENSE_IJSB_SB_EEENS0_18inequality_wrapperIN6hipcub16HIPCUB_304000_NS8EqualityEEESF_JS6_EEE10hipError_tPvRmT3_T4_T5_T6_T7_T9_mT8_P12ihipStream_tbDpT10_ENKUlT_T0_E_clISt17integral_constantIbLb0EES15_IbLb1EEEEDaS11_S12_EUlS11_E_NS1_11comp_targetILNS1_3genE10ELNS1_11target_archE1200ELNS1_3gpuE4ELNS1_3repE0EEENS1_30default_config_static_selectorELNS0_4arch9wavefront6targetE1EEEvT1_: ; @_ZN7rocprim17ROCPRIM_400000_NS6detail17trampoline_kernelINS0_14default_configENS1_25partition_config_selectorILNS1_17partition_subalgoE8ElNS0_10empty_typeEbEEZZNS1_14partition_implILS5_8ELb0ES3_jPKlPS6_PKS6_NS0_5tupleIJPlS6_EEENSE_IJSB_SB_EEENS0_18inequality_wrapperIN6hipcub16HIPCUB_304000_NS8EqualityEEESF_JS6_EEE10hipError_tPvRmT3_T4_T5_T6_T7_T9_mT8_P12ihipStream_tbDpT10_ENKUlT_T0_E_clISt17integral_constantIbLb0EES15_IbLb1EEEEDaS11_S12_EUlS11_E_NS1_11comp_targetILNS1_3genE10ELNS1_11target_archE1200ELNS1_3gpuE4ELNS1_3repE0EEENS1_30default_config_static_selectorELNS0_4arch9wavefront6targetE1EEEvT1_
; %bb.0:
	.section	.rodata,"a",@progbits
	.p2align	6, 0x0
	.amdhsa_kernel _ZN7rocprim17ROCPRIM_400000_NS6detail17trampoline_kernelINS0_14default_configENS1_25partition_config_selectorILNS1_17partition_subalgoE8ElNS0_10empty_typeEbEEZZNS1_14partition_implILS5_8ELb0ES3_jPKlPS6_PKS6_NS0_5tupleIJPlS6_EEENSE_IJSB_SB_EEENS0_18inequality_wrapperIN6hipcub16HIPCUB_304000_NS8EqualityEEESF_JS6_EEE10hipError_tPvRmT3_T4_T5_T6_T7_T9_mT8_P12ihipStream_tbDpT10_ENKUlT_T0_E_clISt17integral_constantIbLb0EES15_IbLb1EEEEDaS11_S12_EUlS11_E_NS1_11comp_targetILNS1_3genE10ELNS1_11target_archE1200ELNS1_3gpuE4ELNS1_3repE0EEENS1_30default_config_static_selectorELNS0_4arch9wavefront6targetE1EEEvT1_
		.amdhsa_group_segment_fixed_size 0
		.amdhsa_private_segment_fixed_size 0
		.amdhsa_kernarg_size 128
		.amdhsa_user_sgpr_count 2
		.amdhsa_user_sgpr_dispatch_ptr 0
		.amdhsa_user_sgpr_queue_ptr 0
		.amdhsa_user_sgpr_kernarg_segment_ptr 1
		.amdhsa_user_sgpr_dispatch_id 0
		.amdhsa_user_sgpr_kernarg_preload_length 0
		.amdhsa_user_sgpr_kernarg_preload_offset 0
		.amdhsa_user_sgpr_private_segment_size 0
		.amdhsa_uses_dynamic_stack 0
		.amdhsa_enable_private_segment 0
		.amdhsa_system_sgpr_workgroup_id_x 1
		.amdhsa_system_sgpr_workgroup_id_y 0
		.amdhsa_system_sgpr_workgroup_id_z 0
		.amdhsa_system_sgpr_workgroup_info 0
		.amdhsa_system_vgpr_workitem_id 0
		.amdhsa_next_free_vgpr 1
		.amdhsa_next_free_sgpr 0
		.amdhsa_accum_offset 4
		.amdhsa_reserve_vcc 0
		.amdhsa_float_round_mode_32 0
		.amdhsa_float_round_mode_16_64 0
		.amdhsa_float_denorm_mode_32 3
		.amdhsa_float_denorm_mode_16_64 3
		.amdhsa_dx10_clamp 1
		.amdhsa_ieee_mode 1
		.amdhsa_fp16_overflow 0
		.amdhsa_tg_split 0
		.amdhsa_exception_fp_ieee_invalid_op 0
		.amdhsa_exception_fp_denorm_src 0
		.amdhsa_exception_fp_ieee_div_zero 0
		.amdhsa_exception_fp_ieee_overflow 0
		.amdhsa_exception_fp_ieee_underflow 0
		.amdhsa_exception_fp_ieee_inexact 0
		.amdhsa_exception_int_div_zero 0
	.end_amdhsa_kernel
	.section	.text._ZN7rocprim17ROCPRIM_400000_NS6detail17trampoline_kernelINS0_14default_configENS1_25partition_config_selectorILNS1_17partition_subalgoE8ElNS0_10empty_typeEbEEZZNS1_14partition_implILS5_8ELb0ES3_jPKlPS6_PKS6_NS0_5tupleIJPlS6_EEENSE_IJSB_SB_EEENS0_18inequality_wrapperIN6hipcub16HIPCUB_304000_NS8EqualityEEESF_JS6_EEE10hipError_tPvRmT3_T4_T5_T6_T7_T9_mT8_P12ihipStream_tbDpT10_ENKUlT_T0_E_clISt17integral_constantIbLb0EES15_IbLb1EEEEDaS11_S12_EUlS11_E_NS1_11comp_targetILNS1_3genE10ELNS1_11target_archE1200ELNS1_3gpuE4ELNS1_3repE0EEENS1_30default_config_static_selectorELNS0_4arch9wavefront6targetE1EEEvT1_,"axG",@progbits,_ZN7rocprim17ROCPRIM_400000_NS6detail17trampoline_kernelINS0_14default_configENS1_25partition_config_selectorILNS1_17partition_subalgoE8ElNS0_10empty_typeEbEEZZNS1_14partition_implILS5_8ELb0ES3_jPKlPS6_PKS6_NS0_5tupleIJPlS6_EEENSE_IJSB_SB_EEENS0_18inequality_wrapperIN6hipcub16HIPCUB_304000_NS8EqualityEEESF_JS6_EEE10hipError_tPvRmT3_T4_T5_T6_T7_T9_mT8_P12ihipStream_tbDpT10_ENKUlT_T0_E_clISt17integral_constantIbLb0EES15_IbLb1EEEEDaS11_S12_EUlS11_E_NS1_11comp_targetILNS1_3genE10ELNS1_11target_archE1200ELNS1_3gpuE4ELNS1_3repE0EEENS1_30default_config_static_selectorELNS0_4arch9wavefront6targetE1EEEvT1_,comdat
.Lfunc_end255:
	.size	_ZN7rocprim17ROCPRIM_400000_NS6detail17trampoline_kernelINS0_14default_configENS1_25partition_config_selectorILNS1_17partition_subalgoE8ElNS0_10empty_typeEbEEZZNS1_14partition_implILS5_8ELb0ES3_jPKlPS6_PKS6_NS0_5tupleIJPlS6_EEENSE_IJSB_SB_EEENS0_18inequality_wrapperIN6hipcub16HIPCUB_304000_NS8EqualityEEESF_JS6_EEE10hipError_tPvRmT3_T4_T5_T6_T7_T9_mT8_P12ihipStream_tbDpT10_ENKUlT_T0_E_clISt17integral_constantIbLb0EES15_IbLb1EEEEDaS11_S12_EUlS11_E_NS1_11comp_targetILNS1_3genE10ELNS1_11target_archE1200ELNS1_3gpuE4ELNS1_3repE0EEENS1_30default_config_static_selectorELNS0_4arch9wavefront6targetE1EEEvT1_, .Lfunc_end255-_ZN7rocprim17ROCPRIM_400000_NS6detail17trampoline_kernelINS0_14default_configENS1_25partition_config_selectorILNS1_17partition_subalgoE8ElNS0_10empty_typeEbEEZZNS1_14partition_implILS5_8ELb0ES3_jPKlPS6_PKS6_NS0_5tupleIJPlS6_EEENSE_IJSB_SB_EEENS0_18inequality_wrapperIN6hipcub16HIPCUB_304000_NS8EqualityEEESF_JS6_EEE10hipError_tPvRmT3_T4_T5_T6_T7_T9_mT8_P12ihipStream_tbDpT10_ENKUlT_T0_E_clISt17integral_constantIbLb0EES15_IbLb1EEEEDaS11_S12_EUlS11_E_NS1_11comp_targetILNS1_3genE10ELNS1_11target_archE1200ELNS1_3gpuE4ELNS1_3repE0EEENS1_30default_config_static_selectorELNS0_4arch9wavefront6targetE1EEEvT1_
                                        ; -- End function
	.section	.AMDGPU.csdata,"",@progbits
; Kernel info:
; codeLenInByte = 0
; NumSgprs: 6
; NumVgprs: 0
; NumAgprs: 0
; TotalNumVgprs: 0
; ScratchSize: 0
; MemoryBound: 0
; FloatMode: 240
; IeeeMode: 1
; LDSByteSize: 0 bytes/workgroup (compile time only)
; SGPRBlocks: 0
; VGPRBlocks: 0
; NumSGPRsForWavesPerEU: 6
; NumVGPRsForWavesPerEU: 1
; AccumOffset: 4
; Occupancy: 8
; WaveLimiterHint : 0
; COMPUTE_PGM_RSRC2:SCRATCH_EN: 0
; COMPUTE_PGM_RSRC2:USER_SGPR: 2
; COMPUTE_PGM_RSRC2:TRAP_HANDLER: 0
; COMPUTE_PGM_RSRC2:TGID_X_EN: 1
; COMPUTE_PGM_RSRC2:TGID_Y_EN: 0
; COMPUTE_PGM_RSRC2:TGID_Z_EN: 0
; COMPUTE_PGM_RSRC2:TIDIG_COMP_CNT: 0
; COMPUTE_PGM_RSRC3_GFX90A:ACCUM_OFFSET: 0
; COMPUTE_PGM_RSRC3_GFX90A:TG_SPLIT: 0
	.section	.text._ZN7rocprim17ROCPRIM_400000_NS6detail17trampoline_kernelINS0_14default_configENS1_25partition_config_selectorILNS1_17partition_subalgoE8ElNS0_10empty_typeEbEEZZNS1_14partition_implILS5_8ELb0ES3_jPKlPS6_PKS6_NS0_5tupleIJPlS6_EEENSE_IJSB_SB_EEENS0_18inequality_wrapperIN6hipcub16HIPCUB_304000_NS8EqualityEEESF_JS6_EEE10hipError_tPvRmT3_T4_T5_T6_T7_T9_mT8_P12ihipStream_tbDpT10_ENKUlT_T0_E_clISt17integral_constantIbLb0EES15_IbLb1EEEEDaS11_S12_EUlS11_E_NS1_11comp_targetILNS1_3genE9ELNS1_11target_archE1100ELNS1_3gpuE3ELNS1_3repE0EEENS1_30default_config_static_selectorELNS0_4arch9wavefront6targetE1EEEvT1_,"axG",@progbits,_ZN7rocprim17ROCPRIM_400000_NS6detail17trampoline_kernelINS0_14default_configENS1_25partition_config_selectorILNS1_17partition_subalgoE8ElNS0_10empty_typeEbEEZZNS1_14partition_implILS5_8ELb0ES3_jPKlPS6_PKS6_NS0_5tupleIJPlS6_EEENSE_IJSB_SB_EEENS0_18inequality_wrapperIN6hipcub16HIPCUB_304000_NS8EqualityEEESF_JS6_EEE10hipError_tPvRmT3_T4_T5_T6_T7_T9_mT8_P12ihipStream_tbDpT10_ENKUlT_T0_E_clISt17integral_constantIbLb0EES15_IbLb1EEEEDaS11_S12_EUlS11_E_NS1_11comp_targetILNS1_3genE9ELNS1_11target_archE1100ELNS1_3gpuE3ELNS1_3repE0EEENS1_30default_config_static_selectorELNS0_4arch9wavefront6targetE1EEEvT1_,comdat
	.protected	_ZN7rocprim17ROCPRIM_400000_NS6detail17trampoline_kernelINS0_14default_configENS1_25partition_config_selectorILNS1_17partition_subalgoE8ElNS0_10empty_typeEbEEZZNS1_14partition_implILS5_8ELb0ES3_jPKlPS6_PKS6_NS0_5tupleIJPlS6_EEENSE_IJSB_SB_EEENS0_18inequality_wrapperIN6hipcub16HIPCUB_304000_NS8EqualityEEESF_JS6_EEE10hipError_tPvRmT3_T4_T5_T6_T7_T9_mT8_P12ihipStream_tbDpT10_ENKUlT_T0_E_clISt17integral_constantIbLb0EES15_IbLb1EEEEDaS11_S12_EUlS11_E_NS1_11comp_targetILNS1_3genE9ELNS1_11target_archE1100ELNS1_3gpuE3ELNS1_3repE0EEENS1_30default_config_static_selectorELNS0_4arch9wavefront6targetE1EEEvT1_ ; -- Begin function _ZN7rocprim17ROCPRIM_400000_NS6detail17trampoline_kernelINS0_14default_configENS1_25partition_config_selectorILNS1_17partition_subalgoE8ElNS0_10empty_typeEbEEZZNS1_14partition_implILS5_8ELb0ES3_jPKlPS6_PKS6_NS0_5tupleIJPlS6_EEENSE_IJSB_SB_EEENS0_18inequality_wrapperIN6hipcub16HIPCUB_304000_NS8EqualityEEESF_JS6_EEE10hipError_tPvRmT3_T4_T5_T6_T7_T9_mT8_P12ihipStream_tbDpT10_ENKUlT_T0_E_clISt17integral_constantIbLb0EES15_IbLb1EEEEDaS11_S12_EUlS11_E_NS1_11comp_targetILNS1_3genE9ELNS1_11target_archE1100ELNS1_3gpuE3ELNS1_3repE0EEENS1_30default_config_static_selectorELNS0_4arch9wavefront6targetE1EEEvT1_
	.globl	_ZN7rocprim17ROCPRIM_400000_NS6detail17trampoline_kernelINS0_14default_configENS1_25partition_config_selectorILNS1_17partition_subalgoE8ElNS0_10empty_typeEbEEZZNS1_14partition_implILS5_8ELb0ES3_jPKlPS6_PKS6_NS0_5tupleIJPlS6_EEENSE_IJSB_SB_EEENS0_18inequality_wrapperIN6hipcub16HIPCUB_304000_NS8EqualityEEESF_JS6_EEE10hipError_tPvRmT3_T4_T5_T6_T7_T9_mT8_P12ihipStream_tbDpT10_ENKUlT_T0_E_clISt17integral_constantIbLb0EES15_IbLb1EEEEDaS11_S12_EUlS11_E_NS1_11comp_targetILNS1_3genE9ELNS1_11target_archE1100ELNS1_3gpuE3ELNS1_3repE0EEENS1_30default_config_static_selectorELNS0_4arch9wavefront6targetE1EEEvT1_
	.p2align	8
	.type	_ZN7rocprim17ROCPRIM_400000_NS6detail17trampoline_kernelINS0_14default_configENS1_25partition_config_selectorILNS1_17partition_subalgoE8ElNS0_10empty_typeEbEEZZNS1_14partition_implILS5_8ELb0ES3_jPKlPS6_PKS6_NS0_5tupleIJPlS6_EEENSE_IJSB_SB_EEENS0_18inequality_wrapperIN6hipcub16HIPCUB_304000_NS8EqualityEEESF_JS6_EEE10hipError_tPvRmT3_T4_T5_T6_T7_T9_mT8_P12ihipStream_tbDpT10_ENKUlT_T0_E_clISt17integral_constantIbLb0EES15_IbLb1EEEEDaS11_S12_EUlS11_E_NS1_11comp_targetILNS1_3genE9ELNS1_11target_archE1100ELNS1_3gpuE3ELNS1_3repE0EEENS1_30default_config_static_selectorELNS0_4arch9wavefront6targetE1EEEvT1_,@function
_ZN7rocprim17ROCPRIM_400000_NS6detail17trampoline_kernelINS0_14default_configENS1_25partition_config_selectorILNS1_17partition_subalgoE8ElNS0_10empty_typeEbEEZZNS1_14partition_implILS5_8ELb0ES3_jPKlPS6_PKS6_NS0_5tupleIJPlS6_EEENSE_IJSB_SB_EEENS0_18inequality_wrapperIN6hipcub16HIPCUB_304000_NS8EqualityEEESF_JS6_EEE10hipError_tPvRmT3_T4_T5_T6_T7_T9_mT8_P12ihipStream_tbDpT10_ENKUlT_T0_E_clISt17integral_constantIbLb0EES15_IbLb1EEEEDaS11_S12_EUlS11_E_NS1_11comp_targetILNS1_3genE9ELNS1_11target_archE1100ELNS1_3gpuE3ELNS1_3repE0EEENS1_30default_config_static_selectorELNS0_4arch9wavefront6targetE1EEEvT1_: ; @_ZN7rocprim17ROCPRIM_400000_NS6detail17trampoline_kernelINS0_14default_configENS1_25partition_config_selectorILNS1_17partition_subalgoE8ElNS0_10empty_typeEbEEZZNS1_14partition_implILS5_8ELb0ES3_jPKlPS6_PKS6_NS0_5tupleIJPlS6_EEENSE_IJSB_SB_EEENS0_18inequality_wrapperIN6hipcub16HIPCUB_304000_NS8EqualityEEESF_JS6_EEE10hipError_tPvRmT3_T4_T5_T6_T7_T9_mT8_P12ihipStream_tbDpT10_ENKUlT_T0_E_clISt17integral_constantIbLb0EES15_IbLb1EEEEDaS11_S12_EUlS11_E_NS1_11comp_targetILNS1_3genE9ELNS1_11target_archE1100ELNS1_3gpuE3ELNS1_3repE0EEENS1_30default_config_static_selectorELNS0_4arch9wavefront6targetE1EEEvT1_
; %bb.0:
	.section	.rodata,"a",@progbits
	.p2align	6, 0x0
	.amdhsa_kernel _ZN7rocprim17ROCPRIM_400000_NS6detail17trampoline_kernelINS0_14default_configENS1_25partition_config_selectorILNS1_17partition_subalgoE8ElNS0_10empty_typeEbEEZZNS1_14partition_implILS5_8ELb0ES3_jPKlPS6_PKS6_NS0_5tupleIJPlS6_EEENSE_IJSB_SB_EEENS0_18inequality_wrapperIN6hipcub16HIPCUB_304000_NS8EqualityEEESF_JS6_EEE10hipError_tPvRmT3_T4_T5_T6_T7_T9_mT8_P12ihipStream_tbDpT10_ENKUlT_T0_E_clISt17integral_constantIbLb0EES15_IbLb1EEEEDaS11_S12_EUlS11_E_NS1_11comp_targetILNS1_3genE9ELNS1_11target_archE1100ELNS1_3gpuE3ELNS1_3repE0EEENS1_30default_config_static_selectorELNS0_4arch9wavefront6targetE1EEEvT1_
		.amdhsa_group_segment_fixed_size 0
		.amdhsa_private_segment_fixed_size 0
		.amdhsa_kernarg_size 128
		.amdhsa_user_sgpr_count 2
		.amdhsa_user_sgpr_dispatch_ptr 0
		.amdhsa_user_sgpr_queue_ptr 0
		.amdhsa_user_sgpr_kernarg_segment_ptr 1
		.amdhsa_user_sgpr_dispatch_id 0
		.amdhsa_user_sgpr_kernarg_preload_length 0
		.amdhsa_user_sgpr_kernarg_preload_offset 0
		.amdhsa_user_sgpr_private_segment_size 0
		.amdhsa_uses_dynamic_stack 0
		.amdhsa_enable_private_segment 0
		.amdhsa_system_sgpr_workgroup_id_x 1
		.amdhsa_system_sgpr_workgroup_id_y 0
		.amdhsa_system_sgpr_workgroup_id_z 0
		.amdhsa_system_sgpr_workgroup_info 0
		.amdhsa_system_vgpr_workitem_id 0
		.amdhsa_next_free_vgpr 1
		.amdhsa_next_free_sgpr 0
		.amdhsa_accum_offset 4
		.amdhsa_reserve_vcc 0
		.amdhsa_float_round_mode_32 0
		.amdhsa_float_round_mode_16_64 0
		.amdhsa_float_denorm_mode_32 3
		.amdhsa_float_denorm_mode_16_64 3
		.amdhsa_dx10_clamp 1
		.amdhsa_ieee_mode 1
		.amdhsa_fp16_overflow 0
		.amdhsa_tg_split 0
		.amdhsa_exception_fp_ieee_invalid_op 0
		.amdhsa_exception_fp_denorm_src 0
		.amdhsa_exception_fp_ieee_div_zero 0
		.amdhsa_exception_fp_ieee_overflow 0
		.amdhsa_exception_fp_ieee_underflow 0
		.amdhsa_exception_fp_ieee_inexact 0
		.amdhsa_exception_int_div_zero 0
	.end_amdhsa_kernel
	.section	.text._ZN7rocprim17ROCPRIM_400000_NS6detail17trampoline_kernelINS0_14default_configENS1_25partition_config_selectorILNS1_17partition_subalgoE8ElNS0_10empty_typeEbEEZZNS1_14partition_implILS5_8ELb0ES3_jPKlPS6_PKS6_NS0_5tupleIJPlS6_EEENSE_IJSB_SB_EEENS0_18inequality_wrapperIN6hipcub16HIPCUB_304000_NS8EqualityEEESF_JS6_EEE10hipError_tPvRmT3_T4_T5_T6_T7_T9_mT8_P12ihipStream_tbDpT10_ENKUlT_T0_E_clISt17integral_constantIbLb0EES15_IbLb1EEEEDaS11_S12_EUlS11_E_NS1_11comp_targetILNS1_3genE9ELNS1_11target_archE1100ELNS1_3gpuE3ELNS1_3repE0EEENS1_30default_config_static_selectorELNS0_4arch9wavefront6targetE1EEEvT1_,"axG",@progbits,_ZN7rocprim17ROCPRIM_400000_NS6detail17trampoline_kernelINS0_14default_configENS1_25partition_config_selectorILNS1_17partition_subalgoE8ElNS0_10empty_typeEbEEZZNS1_14partition_implILS5_8ELb0ES3_jPKlPS6_PKS6_NS0_5tupleIJPlS6_EEENSE_IJSB_SB_EEENS0_18inequality_wrapperIN6hipcub16HIPCUB_304000_NS8EqualityEEESF_JS6_EEE10hipError_tPvRmT3_T4_T5_T6_T7_T9_mT8_P12ihipStream_tbDpT10_ENKUlT_T0_E_clISt17integral_constantIbLb0EES15_IbLb1EEEEDaS11_S12_EUlS11_E_NS1_11comp_targetILNS1_3genE9ELNS1_11target_archE1100ELNS1_3gpuE3ELNS1_3repE0EEENS1_30default_config_static_selectorELNS0_4arch9wavefront6targetE1EEEvT1_,comdat
.Lfunc_end256:
	.size	_ZN7rocprim17ROCPRIM_400000_NS6detail17trampoline_kernelINS0_14default_configENS1_25partition_config_selectorILNS1_17partition_subalgoE8ElNS0_10empty_typeEbEEZZNS1_14partition_implILS5_8ELb0ES3_jPKlPS6_PKS6_NS0_5tupleIJPlS6_EEENSE_IJSB_SB_EEENS0_18inequality_wrapperIN6hipcub16HIPCUB_304000_NS8EqualityEEESF_JS6_EEE10hipError_tPvRmT3_T4_T5_T6_T7_T9_mT8_P12ihipStream_tbDpT10_ENKUlT_T0_E_clISt17integral_constantIbLb0EES15_IbLb1EEEEDaS11_S12_EUlS11_E_NS1_11comp_targetILNS1_3genE9ELNS1_11target_archE1100ELNS1_3gpuE3ELNS1_3repE0EEENS1_30default_config_static_selectorELNS0_4arch9wavefront6targetE1EEEvT1_, .Lfunc_end256-_ZN7rocprim17ROCPRIM_400000_NS6detail17trampoline_kernelINS0_14default_configENS1_25partition_config_selectorILNS1_17partition_subalgoE8ElNS0_10empty_typeEbEEZZNS1_14partition_implILS5_8ELb0ES3_jPKlPS6_PKS6_NS0_5tupleIJPlS6_EEENSE_IJSB_SB_EEENS0_18inequality_wrapperIN6hipcub16HIPCUB_304000_NS8EqualityEEESF_JS6_EEE10hipError_tPvRmT3_T4_T5_T6_T7_T9_mT8_P12ihipStream_tbDpT10_ENKUlT_T0_E_clISt17integral_constantIbLb0EES15_IbLb1EEEEDaS11_S12_EUlS11_E_NS1_11comp_targetILNS1_3genE9ELNS1_11target_archE1100ELNS1_3gpuE3ELNS1_3repE0EEENS1_30default_config_static_selectorELNS0_4arch9wavefront6targetE1EEEvT1_
                                        ; -- End function
	.section	.AMDGPU.csdata,"",@progbits
; Kernel info:
; codeLenInByte = 0
; NumSgprs: 6
; NumVgprs: 0
; NumAgprs: 0
; TotalNumVgprs: 0
; ScratchSize: 0
; MemoryBound: 0
; FloatMode: 240
; IeeeMode: 1
; LDSByteSize: 0 bytes/workgroup (compile time only)
; SGPRBlocks: 0
; VGPRBlocks: 0
; NumSGPRsForWavesPerEU: 6
; NumVGPRsForWavesPerEU: 1
; AccumOffset: 4
; Occupancy: 8
; WaveLimiterHint : 0
; COMPUTE_PGM_RSRC2:SCRATCH_EN: 0
; COMPUTE_PGM_RSRC2:USER_SGPR: 2
; COMPUTE_PGM_RSRC2:TRAP_HANDLER: 0
; COMPUTE_PGM_RSRC2:TGID_X_EN: 1
; COMPUTE_PGM_RSRC2:TGID_Y_EN: 0
; COMPUTE_PGM_RSRC2:TGID_Z_EN: 0
; COMPUTE_PGM_RSRC2:TIDIG_COMP_CNT: 0
; COMPUTE_PGM_RSRC3_GFX90A:ACCUM_OFFSET: 0
; COMPUTE_PGM_RSRC3_GFX90A:TG_SPLIT: 0
	.section	.text._ZN7rocprim17ROCPRIM_400000_NS6detail17trampoline_kernelINS0_14default_configENS1_25partition_config_selectorILNS1_17partition_subalgoE8ElNS0_10empty_typeEbEEZZNS1_14partition_implILS5_8ELb0ES3_jPKlPS6_PKS6_NS0_5tupleIJPlS6_EEENSE_IJSB_SB_EEENS0_18inequality_wrapperIN6hipcub16HIPCUB_304000_NS8EqualityEEESF_JS6_EEE10hipError_tPvRmT3_T4_T5_T6_T7_T9_mT8_P12ihipStream_tbDpT10_ENKUlT_T0_E_clISt17integral_constantIbLb0EES15_IbLb1EEEEDaS11_S12_EUlS11_E_NS1_11comp_targetILNS1_3genE8ELNS1_11target_archE1030ELNS1_3gpuE2ELNS1_3repE0EEENS1_30default_config_static_selectorELNS0_4arch9wavefront6targetE1EEEvT1_,"axG",@progbits,_ZN7rocprim17ROCPRIM_400000_NS6detail17trampoline_kernelINS0_14default_configENS1_25partition_config_selectorILNS1_17partition_subalgoE8ElNS0_10empty_typeEbEEZZNS1_14partition_implILS5_8ELb0ES3_jPKlPS6_PKS6_NS0_5tupleIJPlS6_EEENSE_IJSB_SB_EEENS0_18inequality_wrapperIN6hipcub16HIPCUB_304000_NS8EqualityEEESF_JS6_EEE10hipError_tPvRmT3_T4_T5_T6_T7_T9_mT8_P12ihipStream_tbDpT10_ENKUlT_T0_E_clISt17integral_constantIbLb0EES15_IbLb1EEEEDaS11_S12_EUlS11_E_NS1_11comp_targetILNS1_3genE8ELNS1_11target_archE1030ELNS1_3gpuE2ELNS1_3repE0EEENS1_30default_config_static_selectorELNS0_4arch9wavefront6targetE1EEEvT1_,comdat
	.protected	_ZN7rocprim17ROCPRIM_400000_NS6detail17trampoline_kernelINS0_14default_configENS1_25partition_config_selectorILNS1_17partition_subalgoE8ElNS0_10empty_typeEbEEZZNS1_14partition_implILS5_8ELb0ES3_jPKlPS6_PKS6_NS0_5tupleIJPlS6_EEENSE_IJSB_SB_EEENS0_18inequality_wrapperIN6hipcub16HIPCUB_304000_NS8EqualityEEESF_JS6_EEE10hipError_tPvRmT3_T4_T5_T6_T7_T9_mT8_P12ihipStream_tbDpT10_ENKUlT_T0_E_clISt17integral_constantIbLb0EES15_IbLb1EEEEDaS11_S12_EUlS11_E_NS1_11comp_targetILNS1_3genE8ELNS1_11target_archE1030ELNS1_3gpuE2ELNS1_3repE0EEENS1_30default_config_static_selectorELNS0_4arch9wavefront6targetE1EEEvT1_ ; -- Begin function _ZN7rocprim17ROCPRIM_400000_NS6detail17trampoline_kernelINS0_14default_configENS1_25partition_config_selectorILNS1_17partition_subalgoE8ElNS0_10empty_typeEbEEZZNS1_14partition_implILS5_8ELb0ES3_jPKlPS6_PKS6_NS0_5tupleIJPlS6_EEENSE_IJSB_SB_EEENS0_18inequality_wrapperIN6hipcub16HIPCUB_304000_NS8EqualityEEESF_JS6_EEE10hipError_tPvRmT3_T4_T5_T6_T7_T9_mT8_P12ihipStream_tbDpT10_ENKUlT_T0_E_clISt17integral_constantIbLb0EES15_IbLb1EEEEDaS11_S12_EUlS11_E_NS1_11comp_targetILNS1_3genE8ELNS1_11target_archE1030ELNS1_3gpuE2ELNS1_3repE0EEENS1_30default_config_static_selectorELNS0_4arch9wavefront6targetE1EEEvT1_
	.globl	_ZN7rocprim17ROCPRIM_400000_NS6detail17trampoline_kernelINS0_14default_configENS1_25partition_config_selectorILNS1_17partition_subalgoE8ElNS0_10empty_typeEbEEZZNS1_14partition_implILS5_8ELb0ES3_jPKlPS6_PKS6_NS0_5tupleIJPlS6_EEENSE_IJSB_SB_EEENS0_18inequality_wrapperIN6hipcub16HIPCUB_304000_NS8EqualityEEESF_JS6_EEE10hipError_tPvRmT3_T4_T5_T6_T7_T9_mT8_P12ihipStream_tbDpT10_ENKUlT_T0_E_clISt17integral_constantIbLb0EES15_IbLb1EEEEDaS11_S12_EUlS11_E_NS1_11comp_targetILNS1_3genE8ELNS1_11target_archE1030ELNS1_3gpuE2ELNS1_3repE0EEENS1_30default_config_static_selectorELNS0_4arch9wavefront6targetE1EEEvT1_
	.p2align	8
	.type	_ZN7rocprim17ROCPRIM_400000_NS6detail17trampoline_kernelINS0_14default_configENS1_25partition_config_selectorILNS1_17partition_subalgoE8ElNS0_10empty_typeEbEEZZNS1_14partition_implILS5_8ELb0ES3_jPKlPS6_PKS6_NS0_5tupleIJPlS6_EEENSE_IJSB_SB_EEENS0_18inequality_wrapperIN6hipcub16HIPCUB_304000_NS8EqualityEEESF_JS6_EEE10hipError_tPvRmT3_T4_T5_T6_T7_T9_mT8_P12ihipStream_tbDpT10_ENKUlT_T0_E_clISt17integral_constantIbLb0EES15_IbLb1EEEEDaS11_S12_EUlS11_E_NS1_11comp_targetILNS1_3genE8ELNS1_11target_archE1030ELNS1_3gpuE2ELNS1_3repE0EEENS1_30default_config_static_selectorELNS0_4arch9wavefront6targetE1EEEvT1_,@function
_ZN7rocprim17ROCPRIM_400000_NS6detail17trampoline_kernelINS0_14default_configENS1_25partition_config_selectorILNS1_17partition_subalgoE8ElNS0_10empty_typeEbEEZZNS1_14partition_implILS5_8ELb0ES3_jPKlPS6_PKS6_NS0_5tupleIJPlS6_EEENSE_IJSB_SB_EEENS0_18inequality_wrapperIN6hipcub16HIPCUB_304000_NS8EqualityEEESF_JS6_EEE10hipError_tPvRmT3_T4_T5_T6_T7_T9_mT8_P12ihipStream_tbDpT10_ENKUlT_T0_E_clISt17integral_constantIbLb0EES15_IbLb1EEEEDaS11_S12_EUlS11_E_NS1_11comp_targetILNS1_3genE8ELNS1_11target_archE1030ELNS1_3gpuE2ELNS1_3repE0EEENS1_30default_config_static_selectorELNS0_4arch9wavefront6targetE1EEEvT1_: ; @_ZN7rocprim17ROCPRIM_400000_NS6detail17trampoline_kernelINS0_14default_configENS1_25partition_config_selectorILNS1_17partition_subalgoE8ElNS0_10empty_typeEbEEZZNS1_14partition_implILS5_8ELb0ES3_jPKlPS6_PKS6_NS0_5tupleIJPlS6_EEENSE_IJSB_SB_EEENS0_18inequality_wrapperIN6hipcub16HIPCUB_304000_NS8EqualityEEESF_JS6_EEE10hipError_tPvRmT3_T4_T5_T6_T7_T9_mT8_P12ihipStream_tbDpT10_ENKUlT_T0_E_clISt17integral_constantIbLb0EES15_IbLb1EEEEDaS11_S12_EUlS11_E_NS1_11comp_targetILNS1_3genE8ELNS1_11target_archE1030ELNS1_3gpuE2ELNS1_3repE0EEENS1_30default_config_static_selectorELNS0_4arch9wavefront6targetE1EEEvT1_
; %bb.0:
	.section	.rodata,"a",@progbits
	.p2align	6, 0x0
	.amdhsa_kernel _ZN7rocprim17ROCPRIM_400000_NS6detail17trampoline_kernelINS0_14default_configENS1_25partition_config_selectorILNS1_17partition_subalgoE8ElNS0_10empty_typeEbEEZZNS1_14partition_implILS5_8ELb0ES3_jPKlPS6_PKS6_NS0_5tupleIJPlS6_EEENSE_IJSB_SB_EEENS0_18inequality_wrapperIN6hipcub16HIPCUB_304000_NS8EqualityEEESF_JS6_EEE10hipError_tPvRmT3_T4_T5_T6_T7_T9_mT8_P12ihipStream_tbDpT10_ENKUlT_T0_E_clISt17integral_constantIbLb0EES15_IbLb1EEEEDaS11_S12_EUlS11_E_NS1_11comp_targetILNS1_3genE8ELNS1_11target_archE1030ELNS1_3gpuE2ELNS1_3repE0EEENS1_30default_config_static_selectorELNS0_4arch9wavefront6targetE1EEEvT1_
		.amdhsa_group_segment_fixed_size 0
		.amdhsa_private_segment_fixed_size 0
		.amdhsa_kernarg_size 128
		.amdhsa_user_sgpr_count 2
		.amdhsa_user_sgpr_dispatch_ptr 0
		.amdhsa_user_sgpr_queue_ptr 0
		.amdhsa_user_sgpr_kernarg_segment_ptr 1
		.amdhsa_user_sgpr_dispatch_id 0
		.amdhsa_user_sgpr_kernarg_preload_length 0
		.amdhsa_user_sgpr_kernarg_preload_offset 0
		.amdhsa_user_sgpr_private_segment_size 0
		.amdhsa_uses_dynamic_stack 0
		.amdhsa_enable_private_segment 0
		.amdhsa_system_sgpr_workgroup_id_x 1
		.amdhsa_system_sgpr_workgroup_id_y 0
		.amdhsa_system_sgpr_workgroup_id_z 0
		.amdhsa_system_sgpr_workgroup_info 0
		.amdhsa_system_vgpr_workitem_id 0
		.amdhsa_next_free_vgpr 1
		.amdhsa_next_free_sgpr 0
		.amdhsa_accum_offset 4
		.amdhsa_reserve_vcc 0
		.amdhsa_float_round_mode_32 0
		.amdhsa_float_round_mode_16_64 0
		.amdhsa_float_denorm_mode_32 3
		.amdhsa_float_denorm_mode_16_64 3
		.amdhsa_dx10_clamp 1
		.amdhsa_ieee_mode 1
		.amdhsa_fp16_overflow 0
		.amdhsa_tg_split 0
		.amdhsa_exception_fp_ieee_invalid_op 0
		.amdhsa_exception_fp_denorm_src 0
		.amdhsa_exception_fp_ieee_div_zero 0
		.amdhsa_exception_fp_ieee_overflow 0
		.amdhsa_exception_fp_ieee_underflow 0
		.amdhsa_exception_fp_ieee_inexact 0
		.amdhsa_exception_int_div_zero 0
	.end_amdhsa_kernel
	.section	.text._ZN7rocprim17ROCPRIM_400000_NS6detail17trampoline_kernelINS0_14default_configENS1_25partition_config_selectorILNS1_17partition_subalgoE8ElNS0_10empty_typeEbEEZZNS1_14partition_implILS5_8ELb0ES3_jPKlPS6_PKS6_NS0_5tupleIJPlS6_EEENSE_IJSB_SB_EEENS0_18inequality_wrapperIN6hipcub16HIPCUB_304000_NS8EqualityEEESF_JS6_EEE10hipError_tPvRmT3_T4_T5_T6_T7_T9_mT8_P12ihipStream_tbDpT10_ENKUlT_T0_E_clISt17integral_constantIbLb0EES15_IbLb1EEEEDaS11_S12_EUlS11_E_NS1_11comp_targetILNS1_3genE8ELNS1_11target_archE1030ELNS1_3gpuE2ELNS1_3repE0EEENS1_30default_config_static_selectorELNS0_4arch9wavefront6targetE1EEEvT1_,"axG",@progbits,_ZN7rocprim17ROCPRIM_400000_NS6detail17trampoline_kernelINS0_14default_configENS1_25partition_config_selectorILNS1_17partition_subalgoE8ElNS0_10empty_typeEbEEZZNS1_14partition_implILS5_8ELb0ES3_jPKlPS6_PKS6_NS0_5tupleIJPlS6_EEENSE_IJSB_SB_EEENS0_18inequality_wrapperIN6hipcub16HIPCUB_304000_NS8EqualityEEESF_JS6_EEE10hipError_tPvRmT3_T4_T5_T6_T7_T9_mT8_P12ihipStream_tbDpT10_ENKUlT_T0_E_clISt17integral_constantIbLb0EES15_IbLb1EEEEDaS11_S12_EUlS11_E_NS1_11comp_targetILNS1_3genE8ELNS1_11target_archE1030ELNS1_3gpuE2ELNS1_3repE0EEENS1_30default_config_static_selectorELNS0_4arch9wavefront6targetE1EEEvT1_,comdat
.Lfunc_end257:
	.size	_ZN7rocprim17ROCPRIM_400000_NS6detail17trampoline_kernelINS0_14default_configENS1_25partition_config_selectorILNS1_17partition_subalgoE8ElNS0_10empty_typeEbEEZZNS1_14partition_implILS5_8ELb0ES3_jPKlPS6_PKS6_NS0_5tupleIJPlS6_EEENSE_IJSB_SB_EEENS0_18inequality_wrapperIN6hipcub16HIPCUB_304000_NS8EqualityEEESF_JS6_EEE10hipError_tPvRmT3_T4_T5_T6_T7_T9_mT8_P12ihipStream_tbDpT10_ENKUlT_T0_E_clISt17integral_constantIbLb0EES15_IbLb1EEEEDaS11_S12_EUlS11_E_NS1_11comp_targetILNS1_3genE8ELNS1_11target_archE1030ELNS1_3gpuE2ELNS1_3repE0EEENS1_30default_config_static_selectorELNS0_4arch9wavefront6targetE1EEEvT1_, .Lfunc_end257-_ZN7rocprim17ROCPRIM_400000_NS6detail17trampoline_kernelINS0_14default_configENS1_25partition_config_selectorILNS1_17partition_subalgoE8ElNS0_10empty_typeEbEEZZNS1_14partition_implILS5_8ELb0ES3_jPKlPS6_PKS6_NS0_5tupleIJPlS6_EEENSE_IJSB_SB_EEENS0_18inequality_wrapperIN6hipcub16HIPCUB_304000_NS8EqualityEEESF_JS6_EEE10hipError_tPvRmT3_T4_T5_T6_T7_T9_mT8_P12ihipStream_tbDpT10_ENKUlT_T0_E_clISt17integral_constantIbLb0EES15_IbLb1EEEEDaS11_S12_EUlS11_E_NS1_11comp_targetILNS1_3genE8ELNS1_11target_archE1030ELNS1_3gpuE2ELNS1_3repE0EEENS1_30default_config_static_selectorELNS0_4arch9wavefront6targetE1EEEvT1_
                                        ; -- End function
	.section	.AMDGPU.csdata,"",@progbits
; Kernel info:
; codeLenInByte = 0
; NumSgprs: 6
; NumVgprs: 0
; NumAgprs: 0
; TotalNumVgprs: 0
; ScratchSize: 0
; MemoryBound: 0
; FloatMode: 240
; IeeeMode: 1
; LDSByteSize: 0 bytes/workgroup (compile time only)
; SGPRBlocks: 0
; VGPRBlocks: 0
; NumSGPRsForWavesPerEU: 6
; NumVGPRsForWavesPerEU: 1
; AccumOffset: 4
; Occupancy: 8
; WaveLimiterHint : 0
; COMPUTE_PGM_RSRC2:SCRATCH_EN: 0
; COMPUTE_PGM_RSRC2:USER_SGPR: 2
; COMPUTE_PGM_RSRC2:TRAP_HANDLER: 0
; COMPUTE_PGM_RSRC2:TGID_X_EN: 1
; COMPUTE_PGM_RSRC2:TGID_Y_EN: 0
; COMPUTE_PGM_RSRC2:TGID_Z_EN: 0
; COMPUTE_PGM_RSRC2:TIDIG_COMP_CNT: 0
; COMPUTE_PGM_RSRC3_GFX90A:ACCUM_OFFSET: 0
; COMPUTE_PGM_RSRC3_GFX90A:TG_SPLIT: 0
	.section	.text._ZN2at6native12_GLOBAL__N_113renorm_kernelIddKlEEvPT_PT1_T0_S8_llllPS3_,"axG",@progbits,_ZN2at6native12_GLOBAL__N_113renorm_kernelIddKlEEvPT_PT1_T0_S8_llllPS3_,comdat
	.globl	_ZN2at6native12_GLOBAL__N_113renorm_kernelIddKlEEvPT_PT1_T0_S8_llllPS3_ ; -- Begin function _ZN2at6native12_GLOBAL__N_113renorm_kernelIddKlEEvPT_PT1_T0_S8_llllPS3_
	.p2align	8
	.type	_ZN2at6native12_GLOBAL__N_113renorm_kernelIddKlEEvPT_PT1_T0_S8_llllPS3_,@function
_ZN2at6native12_GLOBAL__N_113renorm_kernelIddKlEEvPT_PT1_T0_S8_llllPS3_: ; @_ZN2at6native12_GLOBAL__N_113renorm_kernelIddKlEEvPT_PT1_T0_S8_llllPS3_
; %bb.0:
	s_load_dwordx2 s[4:5], s[0:1], 0x40
	s_mov_b32 s3, 0
	v_mov_b64_e32 v[2:3], s[2:3]
	s_waitcnt lgkmcnt(0)
	s_load_dwordx2 s[4:5], s[4:5], 0x0
	s_waitcnt lgkmcnt(0)
	v_cmp_le_i64_e32 vcc, s[4:5], v[2:3]
	s_cbranch_vccnz .LBB258_28
; %bb.1:
	s_load_dwordx16 s[12:27], s[0:1], 0x0
	s_lshl_b64 s[2:3], s[2:3], 3
	s_waitcnt lgkmcnt(0)
	s_add_u32 s2, s14, s2
	s_addc_u32 s3, s15, s3
	s_load_dwordx2 s[2:3], s[2:3], 0x0
	s_waitcnt lgkmcnt(0)
	v_cmp_lt_i64_e64 s[4:5], s[2:3], 0
	s_and_b64 vcc, exec, s[4:5]
	s_cbranch_vccnz .LBB258_14
; %bb.2:
	s_getpc_b64 s[4:5]
	s_add_u32 s4, s4, .str.2@rel32@lo+4
	s_addc_u32 s5, s5, .str.2@rel32@hi+12
	v_mov_b32_e32 v2, s22
	v_mov_b32_e32 v3, s23
	s_cmp_eq_u64 s[4:5], 0
	v_cmp_ge_i64_e32 vcc, s[2:3], v[2:3]
	s_cselect_b64 s[4:5], -1, 0
	s_or_b64 s[10:11], s[4:5], vcc
	s_andn2_b64 vcc, exec, s[10:11]
	s_cbranch_vccz .LBB258_27
; %bb.3:
	s_mul_i32 s4, s2, s25
	s_mul_hi_u32 s5, s2, s24
	v_mov_b32_e32 v4, 0
	s_add_i32 s4, s5, s4
	s_mul_i32 s3, s3, s24
	v_mov_b32_e32 v1, v4
	s_add_i32 s15, s4, s3
	s_mul_i32 s14, s2, s24
	v_cmp_gt_i64_e64 s[2:3], s[20:21], v[0:1]
	v_mov_b64_e32 v[2:3], 0
	s_and_saveexec_b64 s[22:23], s[2:3]
	s_cbranch_execz .LBB258_16
; %bb.4:
	s_load_dword s6, s[0:1], 0x54
	s_lshl_b64 s[4:5], s[14:15], 3
	s_add_u32 s24, s12, s4
	s_addc_u32 s25, s13, s5
	s_mov_b32 s36, 0x55555555
	s_waitcnt lgkmcnt(0)
	s_and_b32 s33, s6, 0xffff
	s_mov_b32 s38, 0x4222de17
	s_mov_b32 s40, 0xfefa39ef
	;; [unrolled: 1-line block ×9, first 2 shown]
	v_cmp_neq_f64_e64 s[28:29], s[18:19], 1.0
	v_cmp_neq_f64_e64 s[30:31], s[18:19], 2.0
	v_add_u32_e32 v6, s33, v0
	s_mov_b64 s[34:35], 0
	v_mov_b64_e32 v[2:3], 0
	s_brev_b32 s62, -2
	s_mov_b32 s37, 0x3fe55555
	s_mov_b32 s39, 0x3fbdee67
	;; [unrolled: 1-line block ×6, first 2 shown]
	s_movk_i32 s63, 0x204
	s_mov_b32 s49, 0x7ff00000
	s_mov_b32 s51, 0x3ff71547
	;; [unrolled: 1-line block ×7, first 2 shown]
	v_mov_b32_e32 v48, 0x3ff00000
	v_mov_b32_e32 v8, 0x968915a9
	;; [unrolled: 1-line block ×37, first 2 shown]
	s_and_b32 s64, s19, 0x7fffffff
	v_mov_b64_e32 v[42:43], v[0:1]
	s_branch .LBB258_6
.LBB258_5:                              ;   in Loop: Header=BB258_6 Depth=1
	v_ashrrev_i32_e32 v7, 31, v6
	v_cmp_le_i64_e32 vcc, s[20:21], v[6:7]
	v_add_f64 v[2:3], v[2:3], v[44:45]
	s_waitcnt vmcnt(0)
	v_mov_b64_e32 v[42:43], v[6:7]
	s_or_b64 s[34:35], vcc, s[34:35]
	v_add_u32_e32 v6, s33, v6
	s_andn2_b64 exec, exec, s[34:35]
	s_cbranch_execz .LBB258_15
.LBB258_6:                              ; =>This Inner Loop Header: Depth=1
	v_mul_lo_u32 v5, v43, s26
	v_mul_lo_u32 v7, v42, s27
	v_mad_u64_u32 v[42:43], s[4:5], v42, s26, 0
	v_add3_u32 v43, v43, v7, v5
	v_lshl_add_u64 v[42:43], v[42:43], 3, s[24:25]
	global_load_dwordx2 v[42:43], v[42:43], off
	s_and_b64 vcc, exec, s[28:29]
	s_cbranch_vccz .LBB258_11
; %bb.7:                                ;   in Loop: Header=BB258_6 Depth=1
	s_and_b64 vcc, exec, s[30:31]
	s_cbranch_vccz .LBB258_13
; %bb.8:                                ;   in Loop: Header=BB258_6 Depth=1
	v_mov_b32_e32 v5, s19
	s_waitcnt vmcnt(0)
	v_cmp_eq_f64_e32 vcc, 1.0, v[42:43]
	s_mov_b32 s44, s36
	s_mov_b32 s52, s40
	v_cndmask_b32_e32 v45, v5, v48, vcc
	v_mov_b32_e32 v5, s18
	v_cndmask_b32_e64 v44, v5, 0, vcc
	v_and_b32_e32 v5, 0x7fffffff, v43
	v_cmp_eq_f64_e64 s[4:5], 0, v[44:45]
	s_mov_b32 s54, s42
	s_nop 0
	v_cndmask_b32_e64 v47, v5, v48, s[4:5]
	v_cndmask_b32_e64 v46, v42, 0, s[4:5]
	v_frexp_mant_f64_e32 v[52:53], v[46:47]
	v_cmp_gt_f64_e64 s[6:7], s[36:37], v[52:53]
	s_nop 1
	v_cndmask_b32_e64 v5, v48, 2.0, s[6:7]
	v_mul_f64 v[52:53], v[52:53], v[4:5]
	v_add_f64 v[54:55], v[52:53], 1.0
	v_rcp_f64_e32 v[56:57], v[54:55]
	v_frexp_exp_i32_f64_e32 v5, v[46:47]
	v_subbrev_co_u32_e64 v5, s[6:7], 0, v5, s[6:7]
	v_fma_f64 v[58:59], -v[54:55], v[56:57], 1.0
	v_fmac_f64_e32 v[56:57], v[58:59], v[56:57]
	v_fma_f64 v[58:59], -v[54:55], v[56:57], 1.0
	v_fmac_f64_e32 v[56:57], v[58:59], v[56:57]
	v_add_f64 v[58:59], v[54:55], -1.0
	v_add_f64 v[58:59], v[52:53], -v[58:59]
	v_add_f64 v[52:53], v[52:53], -1.0
	v_mul_f64 v[60:61], v[52:53], v[56:57]
	v_mul_f64 v[62:63], v[54:55], v[60:61]
	v_fma_f64 v[54:55], v[60:61], v[54:55], -v[62:63]
	v_fmac_f64_e32 v[54:55], v[60:61], v[58:59]
	v_add_f64 v[58:59], v[62:63], v[54:55]
	v_add_f64 v[64:65], v[52:53], -v[58:59]
	v_add_f64 v[62:63], v[58:59], -v[62:63]
	;; [unrolled: 1-line block ×5, first 2 shown]
	v_add_f64 v[52:53], v[54:55], v[52:53]
	v_add_f64 v[52:53], v[64:65], v[52:53]
	v_mul_f64 v[52:53], v[56:57], v[52:53]
	v_add_f64 v[54:55], v[60:61], v[52:53]
	v_add_f64 v[56:57], v[54:55], -v[60:61]
	v_add_f64 v[52:53], v[52:53], -v[56:57]
	v_mul_f64 v[56:57], v[54:55], v[54:55]
	v_fma_f64 v[58:59], v[54:55], v[54:55], -v[56:57]
	v_add_f64 v[60:61], v[52:53], v[52:53]
	v_fmac_f64_e32 v[58:59], v[54:55], v[60:61]
	v_add_f64 v[60:61], v[56:57], v[58:59]
	v_add_f64 v[56:57], v[60:61], -v[56:57]
	v_add_f64 v[56:57], v[58:59], -v[56:57]
	v_mov_b64_e32 v[58:59], v[8:9]
	v_fmac_f64_e32 v[58:59], s[38:39], v[60:61]
	v_mov_b64_e32 v[62:63], v[10:11]
	v_fmac_f64_e32 v[62:63], v[60:61], v[58:59]
	;; [unrolled: 2-line block ×8, first 2 shown]
	v_mul_f64 v[58:59], v[54:55], v[60:61]
	v_fma_f64 v[64:65], v[60:61], v[54:55], -v[58:59]
	v_mul_f64 v[66:67], v[60:61], v[62:63]
	v_fmac_f64_e32 v[64:65], v[60:61], v[52:53]
	v_fma_f64 v[60:61], v[60:61], v[62:63], -v[66:67]
	v_fmac_f64_e32 v[60:61], v[56:57], v[62:63]
	v_fmac_f64_e32 v[64:65], v[56:57], v[54:55]
	v_add_f64 v[56:57], v[66:67], v[60:61]
	v_add_f64 v[62:63], v[56:57], -v[66:67]
	v_add_f64 v[60:61], v[60:61], -v[62:63]
	v_add_f64 v[62:63], v[56:57], s[36:37]
	v_add_f64 v[66:67], v[62:63], s[44:45]
	v_add_f64 v[56:57], v[56:57], -v[66:67]
	v_add_f64 v[60:61], v[60:61], s[46:47]
	v_add_f64 v[56:57], v[60:61], v[56:57]
	;; [unrolled: 1-line block ×3, first 2 shown]
	v_add_f64 v[62:63], v[62:63], -v[60:61]
	v_add_f64 v[56:57], v[56:57], v[62:63]
	v_add_f64 v[62:63], v[58:59], v[64:65]
	v_mul_f64 v[66:67], v[62:63], v[60:61]
	v_fma_f64 v[68:69], v[62:63], v[60:61], -v[66:67]
	v_fmac_f64_e32 v[68:69], v[62:63], v[56:57]
	v_add_f64 v[56:57], v[62:63], -v[58:59]
	v_add_f64 v[56:57], v[64:65], -v[56:57]
	v_fmac_f64_e32 v[68:69], v[56:57], v[60:61]
	v_cvt_f64_i32_e32 v[56:57], v5
	v_mul_f64 v[58:59], v[56:57], s[40:41]
	v_fma_f64 v[60:61], v[56:57], s[40:41], -v[58:59]
	v_fmac_f64_e32 v[60:61], s[42:43], v[56:57]
	v_add_f64 v[56:57], v[58:59], v[60:61]
	v_add_f64 v[58:59], v[56:57], -v[58:59]
	v_add_f64 v[58:59], v[60:61], -v[58:59]
	v_add_f64 v[60:61], v[66:67], v[68:69]
	v_ldexp_f64 v[54:55], v[54:55], 1
	v_add_f64 v[62:63], v[60:61], -v[66:67]
	v_add_f64 v[64:65], v[54:55], v[60:61]
	v_add_f64 v[62:63], v[68:69], -v[62:63]
	v_add_f64 v[54:55], v[64:65], -v[54:55]
	v_ldexp_f64 v[52:53], v[52:53], 1
	v_add_f64 v[54:55], v[60:61], -v[54:55]
	v_add_f64 v[52:53], v[52:53], v[62:63]
	v_add_f64 v[52:53], v[52:53], v[54:55]
	;; [unrolled: 1-line block ×3, first 2 shown]
	v_add_f64 v[60:61], v[54:55], -v[64:65]
	v_add_f64 v[52:53], v[52:53], -v[60:61]
	v_add_f64 v[60:61], v[56:57], v[54:55]
	v_add_f64 v[62:63], v[60:61], -v[56:57]
	v_add_f64 v[64:65], v[60:61], -v[62:63]
	;; [unrolled: 1-line block ×4, first 2 shown]
	v_add_f64 v[54:55], v[54:55], v[56:57]
	v_add_f64 v[56:57], v[58:59], v[52:53]
	v_add_f64 v[62:63], v[56:57], -v[58:59]
	v_add_f64 v[64:65], v[56:57], -v[62:63]
	v_add_f64 v[54:55], v[56:57], v[54:55]
	v_add_f64 v[58:59], v[58:59], -v[64:65]
	v_add_f64 v[52:53], v[52:53], -v[62:63]
	v_add_f64 v[56:57], v[60:61], v[54:55]
	v_add_f64 v[52:53], v[52:53], v[58:59]
	v_add_f64 v[58:59], v[56:57], -v[60:61]
	v_add_f64 v[54:55], v[54:55], -v[58:59]
	v_add_f64 v[52:53], v[52:53], v[54:55]
	v_add_f64 v[54:55], v[56:57], v[52:53]
	v_add_f64 v[56:57], v[54:55], -v[56:57]
	v_add_f64 v[52:53], v[52:53], -v[56:57]
	v_mul_f64 v[56:57], v[44:45], v[54:55]
	v_fma_f64 v[54:55], v[44:45], v[54:55], -v[56:57]
	v_fmac_f64_e32 v[54:55], v[44:45], v[52:53]
	v_add_f64 v[52:53], v[56:57], v[54:55]
	v_cmp_class_f64_e64 s[6:7], v[56:57], s63
	v_add_f64 v[58:59], v[52:53], -v[56:57]
	v_add_f64 v[54:55], v[54:55], -v[58:59]
	v_cndmask_b32_e64 v53, v53, v57, s[6:7]
	v_cndmask_b32_e64 v52, v52, v56, s[6:7]
	v_mul_f64 v[56:57], v[52:53], s[50:51]
	v_rndne_f64_e32 v[56:57], v[56:57]
	v_fma_f64 v[58:59], s[52:53], v[56:57], v[52:53]
	v_fmac_f64_e32 v[58:59], s[54:55], v[56:57]
	v_mov_b64_e32 v[60:61], v[24:25]
	v_fmac_f64_e32 v[60:61], s[56:57], v[58:59]
	v_mov_b64_e32 v[62:63], v[26:27]
	v_fmac_f64_e32 v[62:63], v[58:59], v[60:61]
	v_mov_b64_e32 v[60:61], v[28:29]
	v_fmac_f64_e32 v[60:61], v[58:59], v[62:63]
	v_mov_b64_e32 v[62:63], v[30:31]
	v_fmac_f64_e32 v[62:63], v[58:59], v[60:61]
	v_mov_b64_e32 v[60:61], v[32:33]
	v_fmac_f64_e32 v[60:61], v[58:59], v[62:63]
	v_mov_b64_e32 v[62:63], v[34:35]
	v_fmac_f64_e32 v[62:63], v[58:59], v[60:61]
	v_mov_b64_e32 v[60:61], v[36:37]
	v_fmac_f64_e32 v[60:61], v[58:59], v[62:63]
	v_mov_b64_e32 v[62:63], v[38:39]
	v_fmac_f64_e32 v[62:63], v[58:59], v[60:61]
	v_mov_b64_e32 v[60:61], v[40:41]
	v_fmac_f64_e32 v[60:61], v[58:59], v[62:63]
	v_fma_f64 v[60:61], v[58:59], v[60:61], 1.0
	v_cmp_neq_f64_e64 s[6:7], |v[52:53]|, s[48:49]
	v_fma_f64 v[58:59], v[58:59], v[60:61], 1.0
	v_cvt_i32_f64_e32 v5, v[56:57]
	v_cndmask_b32_e64 v55, 0, v55, s[6:7]
	v_cndmask_b32_e64 v54, 0, v54, s[6:7]
	v_ldexp_f64 v[56:57], v[58:59], v5
	v_cmp_lt_f64_e64 s[6:7], s[58:59], v[52:53]
	v_cmp_ngt_f64_e64 s[8:9], s[60:61], v[52:53]
	s_nop 0
	v_cndmask_b32_e64 v5, v56, 0, s[6:7]
	v_cndmask_b32_e64 v7, v57, v49, s[6:7]
	v_cndmask_b32_e64 v53, 0, v7, s[8:9]
	v_cndmask_b32_e64 v52, 0, v5, s[8:9]
	v_mov_b64_e32 v[58:59], v[52:53]
	v_and_b32_e32 v57, 0x7fffffff, v57
	v_fmac_f64_e32 v[58:59], v[58:59], v[54:55]
	v_cndmask_b32_e64 v55, v43, v48, s[4:5]
	v_cndmask_b32_e64 v54, v42, 0, s[4:5]
	v_cmp_eq_f64_e64 s[4:5], s[48:49], v[56:57]
	s_or_b64 s[4:5], s[6:7], s[4:5]
	s_and_b64 s[4:5], s[8:9], s[4:5]
	v_cndmask_b32_e64 v5, v58, v52, s[4:5]
	v_cndmask_b32_e64 v7, v59, v53, s[4:5]
	v_mul_f64 v[52:53], v[44:45], 0.5
	v_trunc_f64_e32 v[56:57], v[52:53]
	v_cmp_neq_f64_e64 s[4:5], v[56:57], v[52:53]
	v_trunc_f64_e32 v[52:53], v[44:45]
	v_cmp_eq_f64_e64 s[6:7], v[52:53], v[44:45]
	s_and_b64 s[4:5], s[6:7], s[4:5]
	v_cndmask_b32_e64 v52, v48, v55, s[4:5]
	v_bfi_b32 v7, s62, v7, v52
	v_cndmask_b32_e64 v51, 0, v5, s[6:7]
	v_cndmask_b32_e64 v52, v50, v7, s[6:7]
	v_cmp_gt_f64_e64 s[6:7], 0, v[54:55]
	v_cmp_gt_f64_e64 s[8:9], 0, v[44:45]
	s_nop 0
	v_cndmask_b32_e64 v5, v5, v51, s[6:7]
	v_mov_b32_e32 v51, s64
	v_cndmask_b32_e32 v53, v51, v48, vcc
	v_mov_b32_e32 v51, s18
	v_cndmask_b32_e64 v7, v7, v52, s[6:7]
	v_cndmask_b32_e64 v52, v51, 0, vcc
	v_cmp_neq_f64_e32 vcc, v[44:45], v[52:53]
	v_cmp_gt_f64_e64 s[6:7], 1.0, v[46:47]
	s_xor_b64 s[6:7], vcc, s[6:7]
	v_cmp_eq_f64_e32 vcc, 1.0, v[46:47]
	v_cndmask_b32_e64 v51, v52, 0, s[6:7]
	v_cndmask_b32_e64 v56, v53, 0, s[6:7]
	v_cmp_eq_f64_e64 s[6:7], 0, v[54:55]
	v_cndmask_b32_e32 v56, v56, v47, vcc
	v_cndmask_b32_e32 v51, v51, v46, vcc
	v_cmp_eq_f64_e32 vcc, s[48:49], v[52:53]
	s_xor_b64 s[8:9], s[8:9], s[6:7]
	s_nop 0
	v_cndmask_b32_e32 v5, v5, v51, vcc
	v_cndmask_b32_e32 v7, v7, v56, vcc
	v_cmp_eq_f64_e32 vcc, s[48:49], v[46:47]
	v_cndmask_b32_e64 v46, v49, 0, s[8:9]
	v_cndmask_b32_e64 v47, 0, v55, s[4:5]
	v_bfi_b32 v46, s62, v46, v47
	s_or_b64 vcc, vcc, s[6:7]
	v_cndmask_b32_e32 v7, v7, v46, vcc
	v_cndmask_b32_e64 v5, v5, 0, vcc
	v_cmp_o_f64_e32 vcc, v[54:55], v[44:45]
	s_nop 1
	v_cndmask_b32_e32 v44, 0, v5, vcc
	v_cndmask_b32_e32 v45, v50, v7, vcc
	s_cbranch_execnz .LBB258_10
.LBB258_9:                              ;   in Loop: Header=BB258_6 Depth=1
	s_waitcnt vmcnt(0)
	v_mul_f64 v[44:45], v[42:43], v[42:43]
.LBB258_10:                             ;   in Loop: Header=BB258_6 Depth=1
	s_cbranch_execnz .LBB258_5
	s_branch .LBB258_12
.LBB258_11:                             ;   in Loop: Header=BB258_6 Depth=1
                                        ; implicit-def: $vgpr44_vgpr45
.LBB258_12:                             ;   in Loop: Header=BB258_6 Depth=1
	s_waitcnt vmcnt(0)
	v_and_b32_e32 v43, 0x7fffffff, v43
	v_mov_b64_e32 v[44:45], v[42:43]
	s_branch .LBB258_5
.LBB258_13:                             ;   in Loop: Header=BB258_6 Depth=1
                                        ; implicit-def: $vgpr44_vgpr45
	s_branch .LBB258_9
.LBB258_14:
	s_mov_b64 s[10:11], -1
	s_branch .LBB258_27
.LBB258_15:
	s_or_b64 exec, exec, s[34:35]
.LBB258_16:
	s_or_b64 exec, exec, s[22:23]
	v_mbcnt_lo_u32_b32 v4, -1, 0
	v_mbcnt_hi_u32_b32 v10, -1, v4
	v_and_b32_e32 v11, 63, v10
	v_cmp_gt_u32_e32 vcc, 32, v11
	v_and_b32_e32 v14, 63, v0
	s_nop 0
	v_cndmask_b32_e64 v4, 0, 1, vcc
	v_lshlrev_b32_e32 v4, 5, v4
	v_add_lshl_u32 v6, v4, v10, 2
	ds_bpermute_b32 v4, v6, v2
	ds_bpermute_b32 v5, v6, v3
	v_cmp_gt_u32_e32 vcc, 48, v11
	s_barrier
	s_waitcnt lgkmcnt(0)
	v_cndmask_b32_e64 v7, 0, 1, vcc
	v_add_f64 v[2:3], v[2:3], v[4:5]
	v_lshlrev_b32_e32 v4, 4, v7
	v_add_lshl_u32 v7, v4, v10, 2
	ds_bpermute_b32 v4, v7, v2
	ds_bpermute_b32 v5, v7, v3
	v_cmp_gt_u32_e32 vcc, 56, v11
	s_waitcnt lgkmcnt(0)
	v_add_f64 v[2:3], v[2:3], v[4:5]
	v_cndmask_b32_e64 v4, 0, 1, vcc
	v_lshlrev_b32_e32 v4, 3, v4
	v_add_lshl_u32 v8, v4, v10, 2
	ds_bpermute_b32 v4, v8, v2
	ds_bpermute_b32 v5, v8, v3
	v_cmp_gt_u32_e32 vcc, 60, v11
	s_waitcnt lgkmcnt(0)
	v_add_f64 v[2:3], v[2:3], v[4:5]
	v_cndmask_b32_e64 v4, 0, 1, vcc
	;; [unrolled: 8-line block ×3, first 2 shown]
	v_lshlrev_b32_e32 v4, 1, v4
	v_add_lshl_u32 v12, v4, v10, 2
	ds_bpermute_b32 v4, v12, v2
	ds_bpermute_b32 v5, v12, v3
	v_cmp_ne_u32_e32 vcc, 63, v11
	s_waitcnt lgkmcnt(0)
	v_add_f64 v[2:3], v[2:3], v[4:5]
	v_addc_co_u32_e32 v4, vcc, 0, v10, vcc
	v_lshlrev_b32_e32 v13, 2, v4
	ds_bpermute_b32 v4, v13, v2
	ds_bpermute_b32 v5, v13, v3
	v_cmp_eq_u32_e32 vcc, 0, v14
	s_and_saveexec_b64 s[4:5], vcc
	s_cbranch_execz .LBB258_18
; %bb.17:
	v_lshrrev_b32_e32 v10, 3, v0
	v_add_u32_e32 v10, 0, v10
	s_waitcnt lgkmcnt(0)
	v_add_f64 v[2:3], v[2:3], v[4:5]
	ds_write_b64 v10, v[2:3]
.LBB258_18:
	s_or_b64 exec, exec, s[4:5]
	s_waitcnt lgkmcnt(0)
	s_barrier
	s_load_dword s24, s[0:1], 0x54
	v_mov_b64_e32 v[10:11], 0
	s_waitcnt lgkmcnt(0)
	s_bfe_u32 s0, s24, 0xa0006
	v_cmp_gt_u32_e32 vcc, s0, v0
	s_and_saveexec_b64 s[0:1], vcc
	s_cbranch_execnz .LBB258_29
; %bb.19:
	s_or_b64 exec, exec, s[0:1]
	v_cmp_gt_u32_e32 vcc, 64, v0
	s_and_saveexec_b64 s[0:1], vcc
	s_cbranch_execnz .LBB258_30
.LBB258_20:
	s_or_b64 exec, exec, s[0:1]
	v_cmp_eq_u32_e32 vcc, 0, v0
	s_and_saveexec_b64 s[8:9], vcc
	s_cbranch_execz .LBB258_22
.LBB258_21:
	v_div_scale_f64 v[2:3], s[0:1], s[18:19], s[18:19], 1.0
	v_rcp_f64_e32 v[4:5], v[2:3]
	v_div_scale_f64 v[6:7], vcc, 1.0, s[18:19], 1.0
	v_mov_b32_e32 v12, 0x3ff00000
	v_fma_f64 v[8:9], -v[2:3], v[4:5], 1.0
	v_fmac_f64_e32 v[4:5], v[4:5], v[8:9]
	v_fma_f64 v[8:9], -v[2:3], v[4:5], 1.0
	v_fmac_f64_e32 v[4:5], v[4:5], v[8:9]
	v_mul_f64 v[8:9], v[6:7], v[4:5]
	v_fma_f64 v[2:3], -v[2:3], v[8:9], v[6:7]
	v_div_fmas_f64 v[2:3], v[2:3], v[4:5], v[8:9]
	v_div_fixup_f64 v[8:9], v[2:3], s[18:19], 1.0
	s_waitcnt lgkmcnt(0)
	v_cmp_eq_f64_e32 vcc, 1.0, v[10:11]
	v_and_b32_e32 v3, 0x7fffffff, v11
	s_mov_b32 s5, 0x3fe55555
	v_cndmask_b32_e32 v5, v9, v12, vcc
	v_cndmask_b32_e64 v4, v8, 0, vcc
	v_cmp_eq_f64_e64 s[0:1], 0, v[4:5]
	s_mov_b32 s4, 0x55555555
	v_mov_b32_e32 v2, 0
	v_cndmask_b32_e64 v7, v11, v12, s[0:1]
	v_cndmask_b32_e64 v6, v10, 0, s[0:1]
	;; [unrolled: 1-line block ×4, first 2 shown]
	v_frexp_mant_f64_e32 v[14:15], v[10:11]
	v_cmp_gt_f64_e64 s[0:1], s[4:5], v[14:15]
	v_frexp_exp_i32_f64_e32 v13, v[10:11]
	s_mov_b32 s7, 0x3fe62e42
	v_cndmask_b32_e64 v3, v12, 2.0, s[0:1]
	v_mul_f64 v[14:15], v[14:15], v[2:3]
	v_add_f64 v[16:17], v[14:15], 1.0
	v_rcp_f64_e32 v[18:19], v[16:17]
	v_add_f64 v[22:23], v[16:17], -1.0
	v_add_f64 v[20:21], v[14:15], -1.0
	v_add_f64 v[14:15], v[14:15], -v[22:23]
	v_fma_f64 v[22:23], -v[16:17], v[18:19], 1.0
	v_fmac_f64_e32 v[18:19], v[22:23], v[18:19]
	v_fma_f64 v[22:23], -v[16:17], v[18:19], 1.0
	v_fmac_f64_e32 v[18:19], v[22:23], v[18:19]
	v_mul_f64 v[22:23], v[20:21], v[18:19]
	v_mul_f64 v[24:25], v[16:17], v[22:23]
	v_fma_f64 v[16:17], v[22:23], v[16:17], -v[24:25]
	v_fmac_f64_e32 v[16:17], v[22:23], v[14:15]
	v_add_f64 v[14:15], v[24:25], v[16:17]
	v_add_f64 v[26:27], v[20:21], -v[14:15]
	v_add_f64 v[24:25], v[14:15], -v[24:25]
	;; [unrolled: 1-line block ×5, first 2 shown]
	v_add_f64 v[14:15], v[16:17], v[14:15]
	v_add_f64 v[14:15], v[26:27], v[14:15]
	v_mul_f64 v[14:15], v[18:19], v[14:15]
	v_add_f64 v[16:17], v[22:23], v[14:15]
	v_add_f64 v[18:19], v[16:17], -v[22:23]
	v_add_f64 v[14:15], v[14:15], -v[18:19]
	v_mul_f64 v[18:19], v[16:17], v[16:17]
	v_fma_f64 v[20:21], v[16:17], v[16:17], -v[18:19]
	v_add_f64 v[22:23], v[14:15], v[14:15]
	v_fmac_f64_e32 v[20:21], v[16:17], v[22:23]
	v_subbrev_co_u32_e64 v3, s[0:1], 0, v13, s[0:1]
	v_add_f64 v[22:23], v[18:19], v[20:21]
	v_add_f64 v[18:19], v[22:23], -v[18:19]
	s_mov_b32 s0, 0x4222de17
	v_add_f64 v[18:19], v[20:21], -v[18:19]
	v_mov_b32_e32 v20, 0x968915a9
	v_mov_b32_e32 v21, 0x3fba6564
	s_mov_b32 s1, 0x3fbdee67
	v_fmac_f64_e32 v[20:21], s[0:1], v[22:23]
	v_mov_b32_e32 v24, 0x3abe935a
	v_mov_b32_e32 v25, 0x3fbe25e4
	v_fmac_f64_e32 v[24:25], v[22:23], v[20:21]
	v_mov_b32_e32 v20, 0x47e6c9c2
	v_mov_b32_e32 v21, 0x3fc110ef
	;; [unrolled: 3-line block ×7, first 2 shown]
	v_fmac_f64_e32 v[24:25], v[22:23], v[20:21]
	v_cvt_f64_i32_e32 v[20:21], v3
	s_mov_b32 s6, 0xfefa39ef
	v_mul_f64 v[26:27], v[20:21], s[6:7]
	v_mul_f64 v[32:33], v[16:17], v[22:23]
	v_fma_f64 v[28:29], v[20:21], s[6:7], -v[26:27]
	s_mov_b32 s23, 0x3c7abc9e
	s_mov_b32 s22, 0x3b39803f
	v_fma_f64 v[34:35], v[22:23], v[16:17], -v[32:33]
	v_fmac_f64_e32 v[28:29], s[22:23], v[20:21]
	v_fmac_f64_e32 v[34:35], v[22:23], v[14:15]
	v_add_f64 v[20:21], v[26:27], v[28:29]
	v_fmac_f64_e32 v[34:35], v[18:19], v[16:17]
	v_add_f64 v[26:27], v[20:21], -v[26:27]
	v_ldexp_f64 v[30:31], v[14:15], 1
	v_add_f64 v[14:15], v[32:33], v[34:35]
	v_add_f64 v[26:27], v[28:29], -v[26:27]
	v_ldexp_f64 v[28:29], v[16:17], 1
	v_add_f64 v[16:17], v[14:15], -v[32:33]
	v_mul_f64 v[32:33], v[22:23], v[24:25]
	v_fma_f64 v[22:23], v[22:23], v[24:25], -v[32:33]
	v_fmac_f64_e32 v[22:23], v[18:19], v[24:25]
	v_add_f64 v[18:19], v[32:33], v[22:23]
	v_add_f64 v[24:25], v[18:19], -v[32:33]
	v_add_f64 v[22:23], v[22:23], -v[24:25]
	v_add_f64 v[24:25], v[18:19], s[4:5]
	s_mov_b32 s5, 0xbfe55555
	s_mov_b32 s0, 0xd5df274d
	v_add_f64 v[32:33], v[24:25], s[4:5]
	s_mov_b32 s1, 0x3c8543b0
	v_add_f64 v[18:19], v[18:19], -v[32:33]
	v_add_f64 v[22:23], v[22:23], s[0:1]
	v_add_f64 v[18:19], v[22:23], v[18:19]
	;; [unrolled: 1-line block ×3, first 2 shown]
	v_add_f64 v[24:25], v[24:25], -v[22:23]
	v_add_f64 v[18:19], v[18:19], v[24:25]
	v_mul_f64 v[24:25], v[14:15], v[22:23]
	v_fma_f64 v[32:33], v[14:15], v[22:23], -v[24:25]
	v_add_f64 v[16:17], v[34:35], -v[16:17]
	v_fmac_f64_e32 v[32:33], v[14:15], v[18:19]
	v_fmac_f64_e32 v[32:33], v[16:17], v[22:23]
	v_add_f64 v[14:15], v[24:25], v[32:33]
	v_add_f64 v[16:17], v[14:15], -v[24:25]
	v_add_f64 v[18:19], v[28:29], v[14:15]
	v_add_f64 v[16:17], v[32:33], -v[16:17]
	v_add_f64 v[22:23], v[18:19], -v[28:29]
	;; [unrolled: 1-line block ×3, first 2 shown]
	v_add_f64 v[16:17], v[30:31], v[16:17]
	v_add_f64 v[14:15], v[16:17], v[14:15]
	;; [unrolled: 1-line block ×3, first 2 shown]
	v_add_f64 v[18:19], v[16:17], -v[18:19]
	v_add_f64 v[14:15], v[14:15], -v[18:19]
	v_add_f64 v[18:19], v[20:21], v[16:17]
	v_add_f64 v[22:23], v[18:19], -v[20:21]
	v_add_f64 v[24:25], v[18:19], -v[22:23]
	;; [unrolled: 1-line block ×4, first 2 shown]
	v_add_f64 v[16:17], v[16:17], v[20:21]
	v_add_f64 v[20:21], v[26:27], v[14:15]
	v_add_f64 v[22:23], v[20:21], -v[26:27]
	v_add_f64 v[16:17], v[20:21], v[16:17]
	v_add_f64 v[24:25], v[20:21], -v[22:23]
	;; [unrolled: 2-line block ×3, first 2 shown]
	v_add_f64 v[14:15], v[14:15], -v[22:23]
	v_add_f64 v[18:19], v[20:21], -v[18:19]
	v_add_f64 v[14:15], v[14:15], v[24:25]
	v_add_f64 v[16:17], v[16:17], -v[18:19]
	v_add_f64 v[14:15], v[14:15], v[16:17]
	v_add_f64 v[16:17], v[20:21], v[14:15]
	v_add_f64 v[18:19], v[16:17], -v[20:21]
	v_add_f64 v[14:15], v[14:15], -v[18:19]
	v_mul_f64 v[18:19], v[4:5], v[16:17]
	v_fma_f64 v[16:17], v[4:5], v[16:17], -v[18:19]
	v_fmac_f64_e32 v[16:17], v[4:5], v[14:15]
	s_movk_i32 s0, 0x204
	v_add_f64 v[14:15], v[18:19], v[16:17]
	v_cmp_class_f64_e64 s[0:1], v[18:19], s0
	s_mov_b32 s18, 0
	v_add_f64 v[20:21], v[14:15], -v[18:19]
	v_cndmask_b32_e64 v15, v15, v19, s[0:1]
	v_cndmask_b32_e64 v14, v14, v18, s[0:1]
	s_mov_b32 s19, 0x7ff00000
	v_add_f64 v[16:17], v[16:17], -v[20:21]
	v_cmp_neq_f64_e64 s[0:1], |v[14:15]|, s[18:19]
	s_mov_b32 s7, 0xbfe62e42
	s_mov_b32 s23, 0xbc7abc9e
	v_cndmask_b32_e64 v17, 0, v17, s[0:1]
	v_cndmask_b32_e64 v16, 0, v16, s[0:1]
	s_mov_b32 s0, 0x652b82fe
	s_mov_b32 s1, 0x3ff71547
	v_mul_f64 v[18:19], v[14:15], s[0:1]
	v_rndne_f64_e32 v[18:19], v[18:19]
	v_fma_f64 v[20:21], s[6:7], v[18:19], v[14:15]
	s_mov_b32 s0, 0x6a5dcb37
	v_fmac_f64_e32 v[20:21], s[22:23], v[18:19]
	v_mov_b32_e32 v22, 0xfca7ab0c
	v_mov_b32_e32 v23, 0x3e928af3
	s_mov_b32 s1, 0x3e5ade15
	v_fmac_f64_e32 v[22:23], s[0:1], v[20:21]
	v_mov_b32_e32 v24, 0x623fde64
	v_mov_b32_e32 v25, 0x3ec71dee
	v_fmac_f64_e32 v[24:25], v[20:21], v[22:23]
	v_mov_b32_e32 v22, 0x7c89e6b0
	v_mov_b32_e32 v23, 0x3efa0199
	;; [unrolled: 3-line block ×8, first 2 shown]
	v_fmac_f64_e32 v[22:23], v[20:21], v[24:25]
	v_fma_f64 v[22:23], v[20:21], v[22:23], 1.0
	s_mov_b32 s0, 0
	v_fma_f64 v[20:21], v[20:21], v[22:23], 1.0
	v_cvt_i32_f64_e32 v3, v[18:19]
	s_mov_b32 s1, 0x40900000
	s_mov_b32 s4, 0
	v_ldexp_f64 v[18:19], v[20:21], v3
	v_cmp_lt_f64_e64 s[0:1], s[0:1], v[14:15]
	v_mov_b32_e32 v13, 0x7ff00000
	s_mov_b32 s5, 0xc090cc00
	v_cndmask_b32_e64 v3, v18, 0, s[0:1]
	v_cndmask_b32_e64 v20, v19, v13, s[0:1]
	v_cmp_ngt_f64_e64 s[4:5], s[4:5], v[14:15]
	v_and_b32_e32 v19, 0x7fffffff, v19
	v_cmp_eq_f64_e64 s[6:7], s[18:19], v[18:19]
	v_cndmask_b32_e64 v15, 0, v20, s[4:5]
	v_cndmask_b32_e64 v14, 0, v3, s[4:5]
	v_mov_b64_e32 v[20:21], v[14:15]
	s_or_b64 s[0:1], s[0:1], s[6:7]
	v_fmac_f64_e32 v[20:21], v[20:21], v[16:17]
	s_and_b64 s[0:1], s[4:5], s[0:1]
	v_mul_f64 v[16:17], v[4:5], 0.5
	v_cndmask_b32_e64 v3, v20, v14, s[0:1]
	v_cndmask_b32_e64 v20, v21, v15, s[0:1]
	v_trunc_f64_e32 v[14:15], v[4:5]
	v_trunc_f64_e32 v[18:19], v[16:17]
	v_cmp_neq_f64_e64 s[0:1], v[18:19], v[16:17]
	v_cmp_eq_f64_e64 s[4:5], v[14:15], v[4:5]
	s_and_b64 s[0:1], s[4:5], s[0:1]
	s_brev_b32 s25, -2
	v_cndmask_b32_e64 v15, v12, v7, s[0:1]
	v_bfi_b32 v15, s25, v20, v15
	v_mov_b32_e32 v16, 0x7ff80000
	v_and_b32_e32 v9, 0x7fffffff, v9
	v_cndmask_b32_e64 v14, 0, v3, s[4:5]
	v_cndmask_b32_e64 v17, v16, v15, s[4:5]
	v_cmp_gt_f64_e64 s[4:5], 0, v[6:7]
	v_cndmask_b32_e32 v9, v9, v12, vcc
	v_cndmask_b32_e64 v8, v8, 0, vcc
	v_cndmask_b32_e64 v15, v15, v17, s[4:5]
	v_cndmask_b32_e64 v3, v3, v14, s[4:5]
	v_cmp_neq_f64_e32 vcc, v[4:5], v[8:9]
	v_cmp_gt_f64_e64 s[4:5], 1.0, v[10:11]
	s_xor_b64 s[4:5], vcc, s[4:5]
	v_cmp_eq_f64_e32 vcc, 1.0, v[10:11]
	v_cndmask_b32_e64 v12, v8, 0, s[4:5]
	v_cndmask_b32_e64 v14, v9, 0, s[4:5]
	v_cmp_eq_f64_e64 s[4:5], 0, v[6:7]
	v_cmp_gt_f64_e64 s[6:7], 0, v[4:5]
	v_cndmask_b32_e32 v14, v14, v11, vcc
	v_cndmask_b32_e32 v12, v12, v10, vcc
	v_cmp_eq_f64_e32 vcc, s[18:19], v[8:9]
	s_xor_b64 s[6:7], s[6:7], s[4:5]
	v_cndmask_b32_e64 v9, v13, 0, s[6:7]
	v_cndmask_b32_e32 v3, v3, v12, vcc
	v_cndmask_b32_e32 v8, v15, v14, vcc
	v_cmp_eq_f64_e32 vcc, s[18:19], v[10:11]
	v_cndmask_b32_e64 v10, 0, v7, s[0:1]
	v_bfi_b32 v9, s25, v9, v10
	s_or_b64 vcc, vcc, s[4:5]
	v_cndmask_b32_e32 v8, v8, v9, vcc
	v_cndmask_b32_e64 v3, v3, 0, vcc
	v_cmp_o_f64_e32 vcc, v[6:7], v[4:5]
	s_nop 1
	v_cndmask_b32_e32 v4, 0, v3, vcc
	v_cndmask_b32_e32 v5, v16, v8, vcc
	ds_write_b64 v2, v[4:5]
.LBB258_22:
	s_or_b64 exec, exec, s[8:9]
	v_mov_b32_e32 v2, 0
	s_waitcnt lgkmcnt(0)
	s_barrier
	ds_read_b64 v[2:3], v2
	s_waitcnt lgkmcnt(0)
	v_cmp_nlt_f64_e32 vcc, s[16:17], v[2:3]
	s_cbranch_vccnz .LBB258_27
; %bb.23:
	s_and_saveexec_b64 s[0:1], s[2:3]
	s_cbranch_execz .LBB258_26
; %bb.24:
	s_mov_b32 s2, 0x9abcaf48
	s_mov_b32 s3, 0x3e7ad7f2
	v_add_f64 v[2:3], v[2:3], s[2:3]
	v_div_scale_f64 v[4:5], s[2:3], v[2:3], v[2:3], s[16:17]
	v_rcp_f64_e32 v[6:7], v[4:5]
	s_and_b32 s6, s24, 0xffff
	s_lshl_b64 s[2:3], s[14:15], 3
	s_add_u32 s2, s12, s2
	v_fma_f64 v[8:9], -v[4:5], v[6:7], 1.0
	v_fmac_f64_e32 v[6:7], v[6:7], v[8:9]
	v_fma_f64 v[8:9], -v[4:5], v[6:7], 1.0
	v_fmac_f64_e32 v[6:7], v[6:7], v[8:9]
	v_div_scale_f64 v[8:9], vcc, s[16:17], v[2:3], s[16:17]
	v_mul_f64 v[10:11], v[8:9], v[6:7]
	v_fma_f64 v[4:5], -v[4:5], v[10:11], v[8:9]
	s_addc_u32 s3, s13, s3
	s_nop 0
	v_div_fmas_f64 v[4:5], v[4:5], v[6:7], v[10:11]
	v_div_fixup_f64 v[2:3], v[4:5], v[2:3], s[16:17]
	v_add_u32_e32 v4, s6, v0
	s_mov_b64 s[4:5], 0
.LBB258_25:                             ; =>This Inner Loop Header: Depth=1
	v_mul_lo_u32 v5, v1, s26
	v_mul_lo_u32 v6, v0, s27
	v_mad_u64_u32 v[0:1], s[8:9], v0, s26, 0
	v_add3_u32 v1, v1, v6, v5
	v_lshl_add_u64 v[6:7], v[0:1], 3, s[2:3]
	global_load_dwordx2 v[8:9], v[6:7], off
	v_ashrrev_i32_e32 v5, 31, v4
	v_cmp_le_i64_e32 vcc, s[20:21], v[4:5]
	v_mov_b64_e32 v[0:1], v[4:5]
	v_add_u32_e32 v4, s6, v4
	s_or_b64 s[4:5], vcc, s[4:5]
	s_waitcnt vmcnt(0)
	v_mul_f64 v[8:9], v[2:3], v[8:9]
	global_store_dwordx2 v[6:7], v[8:9], off
	s_andn2_b64 exec, exec, s[4:5]
	s_cbranch_execnz .LBB258_25
.LBB258_26:
	s_or_b64 exec, exec, s[0:1]
.LBB258_27:
	s_and_b64 vcc, exec, s[10:11]
	s_cbranch_vccnz .LBB258_31
.LBB258_28:
	s_endpgm
.LBB258_29:
	v_lshl_add_u32 v2, v14, 3, 0
	ds_read_b64 v[10:11], v2
	s_or_b64 exec, exec, s[0:1]
	v_cmp_gt_u32_e32 vcc, 64, v0
	s_and_saveexec_b64 s[0:1], vcc
	s_cbranch_execz .LBB258_20
.LBB258_30:
	s_waitcnt lgkmcnt(0)
	ds_bpermute_b32 v2, v6, v10
	ds_bpermute_b32 v3, v6, v11
	s_waitcnt lgkmcnt(0)
	v_add_f64 v[2:3], v[10:11], v[2:3]
	ds_bpermute_b32 v4, v7, v2
	ds_bpermute_b32 v5, v7, v3
	s_waitcnt lgkmcnt(0)
	v_add_f64 v[2:3], v[2:3], v[4:5]
	;; [unrolled: 4-line block ×6, first 2 shown]
	s_or_b64 exec, exec, s[0:1]
	v_cmp_eq_u32_e32 vcc, 0, v0
	s_and_saveexec_b64 s[8:9], vcc
	s_cbranch_execnz .LBB258_21
	s_branch .LBB258_22
.LBB258_31:
	s_trap 2
	; divergent unreachable
	s_endpgm
	.section	.rodata,"a",@progbits
	.p2align	6, 0x0
	.amdhsa_kernel _ZN2at6native12_GLOBAL__N_113renorm_kernelIddKlEEvPT_PT1_T0_S8_llllPS3_
		.amdhsa_group_segment_fixed_size 0
		.amdhsa_private_segment_fixed_size 0
		.amdhsa_kernarg_size 328
		.amdhsa_user_sgpr_count 2
		.amdhsa_user_sgpr_dispatch_ptr 0
		.amdhsa_user_sgpr_queue_ptr 0
		.amdhsa_user_sgpr_kernarg_segment_ptr 1
		.amdhsa_user_sgpr_dispatch_id 0
		.amdhsa_user_sgpr_kernarg_preload_length 0
		.amdhsa_user_sgpr_kernarg_preload_offset 0
		.amdhsa_user_sgpr_private_segment_size 0
		.amdhsa_uses_dynamic_stack 0
		.amdhsa_enable_private_segment 0
		.amdhsa_system_sgpr_workgroup_id_x 1
		.amdhsa_system_sgpr_workgroup_id_y 0
		.amdhsa_system_sgpr_workgroup_id_z 0
		.amdhsa_system_sgpr_workgroup_info 0
		.amdhsa_system_vgpr_workitem_id 0
		.amdhsa_next_free_vgpr 70
		.amdhsa_next_free_sgpr 65
		.amdhsa_accum_offset 72
		.amdhsa_reserve_vcc 1
		.amdhsa_float_round_mode_32 0
		.amdhsa_float_round_mode_16_64 0
		.amdhsa_float_denorm_mode_32 3
		.amdhsa_float_denorm_mode_16_64 3
		.amdhsa_dx10_clamp 1
		.amdhsa_ieee_mode 1
		.amdhsa_fp16_overflow 0
		.amdhsa_tg_split 0
		.amdhsa_exception_fp_ieee_invalid_op 0
		.amdhsa_exception_fp_denorm_src 0
		.amdhsa_exception_fp_ieee_div_zero 0
		.amdhsa_exception_fp_ieee_overflow 0
		.amdhsa_exception_fp_ieee_underflow 0
		.amdhsa_exception_fp_ieee_inexact 0
		.amdhsa_exception_int_div_zero 0
	.end_amdhsa_kernel
	.section	.text._ZN2at6native12_GLOBAL__N_113renorm_kernelIddKlEEvPT_PT1_T0_S8_llllPS3_,"axG",@progbits,_ZN2at6native12_GLOBAL__N_113renorm_kernelIddKlEEvPT_PT1_T0_S8_llllPS3_,comdat
.Lfunc_end258:
	.size	_ZN2at6native12_GLOBAL__N_113renorm_kernelIddKlEEvPT_PT1_T0_S8_llllPS3_, .Lfunc_end258-_ZN2at6native12_GLOBAL__N_113renorm_kernelIddKlEEvPT_PT1_T0_S8_llllPS3_
                                        ; -- End function
	.section	.AMDGPU.csdata,"",@progbits
; Kernel info:
; codeLenInByte = 5324
; NumSgprs: 71
; NumVgprs: 70
; NumAgprs: 0
; TotalNumVgprs: 70
; ScratchSize: 0
; MemoryBound: 0
; FloatMode: 240
; IeeeMode: 1
; LDSByteSize: 0 bytes/workgroup (compile time only)
; SGPRBlocks: 8
; VGPRBlocks: 8
; NumSGPRsForWavesPerEU: 71
; NumVGPRsForWavesPerEU: 70
; AccumOffset: 72
; Occupancy: 7
; WaveLimiterHint : 1
; COMPUTE_PGM_RSRC2:SCRATCH_EN: 0
; COMPUTE_PGM_RSRC2:USER_SGPR: 2
; COMPUTE_PGM_RSRC2:TRAP_HANDLER: 0
; COMPUTE_PGM_RSRC2:TGID_X_EN: 1
; COMPUTE_PGM_RSRC2:TGID_Y_EN: 0
; COMPUTE_PGM_RSRC2:TGID_Z_EN: 0
; COMPUTE_PGM_RSRC2:TIDIG_COMP_CNT: 0
; COMPUTE_PGM_RSRC3_GFX90A:ACCUM_OFFSET: 17
; COMPUTE_PGM_RSRC3_GFX90A:TG_SPLIT: 0
	.section	.text._ZN2at6native12_GLOBAL__N_113renorm_kernelIffKlEEvPT_PT1_T0_S8_llllPS3_,"axG",@progbits,_ZN2at6native12_GLOBAL__N_113renorm_kernelIffKlEEvPT_PT1_T0_S8_llllPS3_,comdat
	.globl	_ZN2at6native12_GLOBAL__N_113renorm_kernelIffKlEEvPT_PT1_T0_S8_llllPS3_ ; -- Begin function _ZN2at6native12_GLOBAL__N_113renorm_kernelIffKlEEvPT_PT1_T0_S8_llllPS3_
	.p2align	8
	.type	_ZN2at6native12_GLOBAL__N_113renorm_kernelIffKlEEvPT_PT1_T0_S8_llllPS3_,@function
_ZN2at6native12_GLOBAL__N_113renorm_kernelIffKlEEvPT_PT1_T0_S8_llllPS3_: ; @_ZN2at6native12_GLOBAL__N_113renorm_kernelIffKlEEvPT_PT1_T0_S8_llllPS3_
; %bb.0:
	s_load_dwordx2 s[4:5], s[0:1], 0x38
	s_mov_b32 s3, 0
	v_mov_b64_e32 v[2:3], s[2:3]
	s_waitcnt lgkmcnt(0)
	s_load_dwordx2 s[4:5], s[4:5], 0x0
	s_waitcnt lgkmcnt(0)
	v_cmp_le_i64_e32 vcc, s[4:5], v[2:3]
	s_cbranch_vccnz .LBB259_28
; %bb.1:
	s_load_dwordx4 s[20:23], s[0:1], 0x0
	s_lshl_b64 s[2:3], s[2:3], 3
	s_waitcnt lgkmcnt(0)
	s_add_u32 s2, s22, s2
	s_addc_u32 s3, s23, s3
	s_load_dwordx2 s[2:3], s[2:3], 0x0
	s_waitcnt lgkmcnt(0)
	v_cmp_lt_i64_e64 s[4:5], s[2:3], 0
	s_and_b64 vcc, exec, s[4:5]
	s_cbranch_vccnz .LBB259_14
; %bb.2:
	s_load_dwordx8 s[12:19], s[0:1], 0x18
	s_getpc_b64 s[4:5]
	s_add_u32 s4, s4, .str.2@rel32@lo+4
	s_addc_u32 s5, s5, .str.2@rel32@hi+12
	s_cmp_eq_u64 s[4:5], 0
	s_cselect_b64 s[4:5], -1, 0
	s_waitcnt lgkmcnt(0)
	v_mov_b32_e32 v2, s14
	v_mov_b32_e32 v3, s15
	v_cmp_ge_i64_e32 vcc, s[2:3], v[2:3]
	s_or_b64 s[10:11], s[4:5], vcc
	s_andn2_b64 vcc, exec, s[10:11]
	s_cbranch_vccz .LBB259_27
; %bb.3:
	s_load_dwordx2 s[22:23], s[0:1], 0x10
	s_mul_i32 s4, s2, s17
	s_mul_hi_u32 s5, s2, s16
	s_add_i32 s4, s5, s4
	s_mul_i32 s3, s3, s16
	v_mov_b32_e32 v1, 0
	s_add_i32 s15, s4, s3
	s_mul_i32 s14, s2, s16
	v_cmp_gt_i64_e64 s[2:3], s[12:13], v[0:1]
	v_mov_b32_e32 v6, v1
	s_and_saveexec_b64 s[16:17], s[2:3]
	s_cbranch_execz .LBB259_16
; %bb.4:
	s_load_dword s6, s[0:1], 0x4c
	s_lshl_b64 s[4:5], s[14:15], 2
	s_add_u32 s24, s20, s4
	s_addc_u32 s25, s21, s5
	s_waitcnt lgkmcnt(0)
	v_cmp_neq_f32_e64 s[26:27], s23, 1.0
	s_and_b32 s33, s6, 0xffff
	v_cmp_neq_f32_e64 s[28:29], s23, 2.0
	v_add_u32_e32 v2, s33, v0
	s_mov_b64 s[30:31], 0
	v_mov_b32_e32 v6, 0
	s_mov_b32 s34, 0x3f2aaaab
	v_mov_b32_e32 v7, 0x3e91f4c4
	s_mov_b32 s35, 0x3f317218
	s_movk_i32 s36, 0x204
	s_mov_b32 s37, 0x7f800000
	s_mov_b32 s38, 0x42b17218
	;; [unrolled: 1-line block ×4, first 2 shown]
	s_brev_b32 s41, -2
	v_mov_b32_e32 v8, 0x37000000
	v_mov_b32_e32 v9, 0x7f800000
	;; [unrolled: 1-line block ×3, first 2 shown]
	v_mov_b64_e32 v[4:5], v[0:1]
                                        ; implicit-def: $vgpr3
	s_branch .LBB259_6
.LBB259_5:                              ;   in Loop: Header=BB259_6 Depth=1
	s_waitcnt vmcnt(0)
	v_ashrrev_i32_e32 v3, 31, v2
	v_cmp_le_i64_e32 vcc, s[12:13], v[2:3]
	v_add_f32_e32 v6, v6, v4
	v_mov_b64_e32 v[4:5], v[2:3]
	s_or_b64 s[30:31], vcc, s[30:31]
	v_add_u32_e32 v2, s33, v2
	s_andn2_b64 exec, exec, s[30:31]
	s_cbranch_execz .LBB259_15
.LBB259_6:                              ; =>This Inner Loop Header: Depth=1
	v_mul_lo_u32 v3, v5, s18
	v_mul_lo_u32 v11, v4, s19
	v_mad_u64_u32 v[4:5], s[4:5], v4, s18, 0
	v_add3_u32 v5, v5, v11, v3
	v_lshl_add_u64 v[4:5], v[4:5], 2, s[24:25]
	global_load_dword v3, v[4:5], off
	s_and_b64 vcc, exec, s[26:27]
	s_cbranch_vccz .LBB259_11
; %bb.7:                                ;   in Loop: Header=BB259_6 Depth=1
	s_and_b64 vcc, exec, s[28:29]
	s_cbranch_vccz .LBB259_13
; %bb.8:                                ;   in Loop: Header=BB259_6 Depth=1
	v_mov_b32_e32 v26, s23
	s_waitcnt vmcnt(0)
	v_cmp_eq_f32_e32 vcc, 1.0, v3
	s_nop 1
	v_cndmask_b32_e64 v27, v26, 1.0, vcc
	v_cmp_eq_f32_e64 s[4:5], 0, v27
	v_cmp_gt_f32_e64 s[8:9], 0, v27
	s_nop 0
	v_cndmask_b32_e64 v28, |v3|, 1.0, s[4:5]
	v_frexp_mant_f32_e32 v4, v28
	v_cmp_gt_f32_e64 s[6:7], s34, v4
	s_nop 1
	v_cndmask_b32_e64 v5, 1.0, 2.0, s[6:7]
	v_mul_f32_e32 v4, v4, v5
	v_add_f32_e32 v11, 1.0, v4
	v_rcp_f32_e32 v18, v11
	v_add_f32_e32 v5, -1.0, v11
	v_sub_f32_e32 v13, v4, v5
	v_add_f32_e32 v5, -1.0, v4
	v_mul_f32_e32 v19, v5, v18
	v_mul_f32_e32 v12, v11, v19
	v_fma_f32 v14, v19, v11, -v12
	v_fmac_f32_e32 v14, v19, v13
	v_add_f32_e32 v4, v12, v14
	v_sub_f32_e32 v13, v5, v4
	v_pk_add_f32 v[16:17], v[4:5], v[12:13] neg_lo:[0,1] neg_hi:[0,1]
	v_mov_b32_e32 v15, v4
	v_pk_add_f32 v[4:5], v[16:17], v[14:15] neg_lo:[0,1] neg_hi:[0,1]
	s_nop 0
	v_add_f32_e32 v4, v4, v5
	v_add_f32_e32 v4, v13, v4
	v_mul_f32_e32 v5, v18, v4
	v_add_f32_e32 v4, v19, v5
	v_sub_f32_e32 v11, v4, v19
	v_sub_f32_e32 v11, v5, v11
	v_mul_f32_e32 v5, v4, v4
	v_fma_f32 v13, v4, v4, -v5
	v_add_f32_e32 v12, v11, v11
	v_fmac_f32_e32 v13, v4, v12
	v_add_f32_e32 v12, v5, v13
	v_fmamk_f32 v14, v12, 0x3e76c4e1, v7
	v_fmaak_f32 v14, v12, v14, 0x3ecccdef
	v_sub_f32_e32 v5, v12, v5
	v_sub_f32_e32 v20, v13, v5
	v_mul_f32_e32 v5, v12, v14
	v_fma_f32 v13, v12, v14, -v5
	v_fmac_f32_e32 v13, v20, v14
	v_add_f32_e32 v14, v5, v13
	v_add_f32_e32 v15, 0x3f2aaaaa, v14
	v_sub_f32_e32 v5, v14, v5
	v_sub_f32_e32 v5, v13, v5
	v_add_f32_e32 v13, 0xbf2aaaaa, v15
	v_add_f32_e32 v5, 0x31739010, v5
	v_sub_f32_e32 v13, v14, v13
	v_pk_mul_f32 v[16:17], v[4:5], v[12:13]
	v_pk_add_f32 v[18:19], v[4:5], v[12:13]
	v_fma_f32 v14, v12, v4, -v16
	v_fmac_f32_e32 v14, v12, v11
	v_mov_b32_e32 v17, v19
	v_fmac_f32_e32 v14, v20, v4
	v_pk_add_f32 v[12:13], v[16:17], v[14:15]
	v_ldexp_f32 v11, v11, 1
	v_sub_f32_e32 v5, v12, v16
	v_sub_f32_e32 v5, v14, v5
	;; [unrolled: 1-line block ×3, first 2 shown]
	v_add_f32_e32 v18, v19, v14
	v_mov_b32_e32 v14, v13
	v_pk_mul_f32 v[14:15], v[12:13], v[14:15]
	v_cvt_f64_f32_e32 v[16:17], v28
	v_frexp_exp_i32_f64_e32 v15, v[16:17]
	v_subbrev_co_u32_e64 v15, s[6:7], 0, v15, s[6:7]
	v_cvt_f32_i32_e32 v15, v15
	v_fma_f32 v16, v12, v13, -v14
	v_fmac_f32_e32 v16, v12, v18
	v_fmac_f32_e32 v16, v5, v13
	v_mul_f32_e32 v12, 0x3f317218, v15
	v_fma_f32 v18, v15, s35, -v12
	v_fmac_f32_e32 v18, 0xb102e308, v15
	v_ldexp_f32 v19, v4, 1
	v_add_f32_e32 v13, v14, v16
	v_pk_add_f32 v[4:5], v[12:13], v[18:19]
	v_mov_b32_e32 v20, v13
	v_mov_b32_e32 v21, v5
	;; [unrolled: 1-line block ×3, first 2 shown]
	v_pk_add_f32 v[14:15], v[20:21], v[14:15] neg_lo:[0,1] neg_hi:[0,1]
	v_mov_b32_e32 v17, v13
	v_pk_add_f32 v[14:15], v[16:17], v[14:15] neg_lo:[0,1] neg_hi:[0,1]
	v_mov_b32_e32 v19, v4
	v_add_f32_e32 v11, v11, v14
	v_add_f32_e32 v13, v11, v15
	v_pk_add_f32 v[14:15], v[4:5], v[12:13] neg_lo:[0,1] neg_hi:[0,1]
	v_pk_add_f32 v[16:17], v[4:5], v[12:13]
	v_mov_b32_e32 v20, v14
	v_mov_b32_e32 v21, v17
	v_pk_add_f32 v[20:21], v[18:19], v[20:21]
	v_pk_add_f32 v[14:15], v[18:19], v[14:15] neg_lo:[0,1] neg_hi:[0,1]
	v_mov_b32_e32 v12, v21
	v_pk_add_f32 v[22:23], v[12:13], v[4:5] neg_lo:[0,1] neg_hi:[0,1]
	v_mov_b32_e32 v20, v17
	v_mov_b32_e32 v11, v22
	;; [unrolled: 1-line block ×4, first 2 shown]
	v_pk_add_f32 v[24:25], v[16:17], v[10:11] neg_lo:[0,1] neg_hi:[0,1]
	v_pk_add_f32 v[4:5], v[20:21], v[4:5] neg_lo:[0,1] neg_hi:[0,1]
	v_mov_b32_e32 v18, v13
	v_pk_add_f32 v[4:5], v[18:19], v[4:5] neg_lo:[0,1] neg_hi:[0,1]
	v_mov_b32_e32 v24, v14
	v_pk_add_f32 v[16:17], v[24:25], v[4:5]
	v_mov_b32_e32 v15, v21
	v_mov_b32_e32 v18, v17
	v_pk_add_f32 v[18:19], v[16:17], v[18:19]
	s_nop 0
	v_pk_add_f32 v[12:13], v[12:13], v[18:19]
	v_mov_b32_e32 v5, v18
	v_mov_b32_e32 v17, v12
	v_pk_add_f32 v[20:21], v[16:17], v[14:15] neg_lo:[0,1] neg_hi:[0,1]
	s_nop 0
	v_sub_f32_e32 v11, v16, v20
	v_pk_add_f32 v[4:5], v[4:5], v[20:21] neg_lo:[0,1] neg_hi:[0,1]
	v_sub_f32_e32 v11, v14, v11
	v_add_f32_e32 v4, v4, v11
	v_add_f32_e32 v4, v4, v5
	;; [unrolled: 1-line block ×3, first 2 shown]
	v_sub_f32_e32 v11, v5, v12
	v_sub_f32_e32 v4, v4, v11
	v_mul_f32_e32 v11, v27, v5
	v_fma_f32 v5, v27, v5, -v11
	v_fmac_f32_e32 v5, v27, v4
	v_add_f32_e32 v4, v11, v5
	v_cmp_class_f32_e64 s[6:7], v11, s36
	v_sub_f32_e32 v12, v4, v11
	v_sub_f32_e32 v5, v5, v12
	v_cndmask_b32_e64 v4, v4, v11, s[6:7]
	v_cmp_eq_f32_e64 s[6:7], s38, v4
	s_nop 1
	v_cndmask_b32_e64 v11, 0, v8, s[6:7]
	v_sub_f32_e32 v12, v4, v11
	v_mul_f32_e32 v13, 0x3fb8aa3b, v12
	v_fma_f32 v14, v12, s39, -v13
	v_rndne_f32_e32 v15, v13
	v_fmac_f32_e32 v14, 0x32a5705f, v12
	v_sub_f32_e32 v13, v13, v15
	v_add_f32_e32 v13, v13, v14
	v_exp_f32_e32 v13, v13
	v_cvt_i32_f32_e32 v14, v15
	v_cmp_neq_f32_e64 s[6:7], |v4|, s37
	s_nop 1
	v_cndmask_b32_e64 v4, 0, v5, s[6:7]
	v_ldexp_f32 v5, v13, v14
	v_cmp_ngt_f32_e64 s[6:7], s40, v12
	v_add_f32_e32 v4, v11, v4
	v_trunc_f32_e32 v11, v27
	v_cndmask_b32_e64 v5, 0, v5, s[6:7]
	v_cmp_nlt_f32_e64 s[6:7], s38, v12
	s_nop 1
	v_cndmask_b32_e64 v5, v9, v5, s[6:7]
	v_fma_f32 v4, v5, v4, v5
	v_cmp_class_f32_e64 s[6:7], v5, s36
	s_nop 1
	v_cndmask_b32_e64 v4, v4, v5, s[6:7]
	v_cndmask_b32_e64 v5, v3, 1.0, s[4:5]
	v_cmp_eq_f32_e64 s[4:5], v11, v27
	v_mul_f32_e32 v11, 0.5, v27
	v_trunc_f32_e32 v12, v11
	v_cmp_neq_f32_e64 s[6:7], v12, v11
	s_and_b64 s[6:7], s[4:5], s[6:7]
	s_nop 0
	v_cndmask_b32_e64 v11, 1.0, v5, s[6:7]
	v_bfi_b32 v4, s41, v4, v11
	v_cndmask_b32_e64 v11, v10, v4, s[4:5]
	v_cmp_gt_f32_e64 s[4:5], 0, v5
	s_nop 1
	v_cndmask_b32_e64 v4, v4, v11, s[4:5]
	v_cndmask_b32_e64 v11, |v26|, 1.0, vcc
	v_cmp_neq_f32_e32 vcc, v27, v11
	v_cmp_gt_f32_e64 s[4:5], 1.0, v28
	s_xor_b64 s[4:5], vcc, s[4:5]
	v_cmp_eq_f32_e32 vcc, 1.0, v28
	v_cndmask_b32_e64 v12, v11, 0, s[4:5]
	v_cmp_eq_f32_e64 s[4:5], 0, v5
	v_cndmask_b32_e32 v12, v12, v28, vcc
	v_cmp_eq_f32_e32 vcc, s37, v11
	s_xor_b64 s[8:9], s[8:9], s[4:5]
	v_cndmask_b32_e64 v11, v9, 0, s[8:9]
	v_cndmask_b32_e32 v4, v4, v12, vcc
	v_cmp_eq_f32_e32 vcc, s37, v28
	v_cndmask_b32_e64 v12, 0, v5, s[6:7]
	v_bfi_b32 v11, s41, v11, v12
	s_or_b64 vcc, vcc, s[4:5]
	v_cndmask_b32_e32 v4, v4, v11, vcc
	v_cmp_o_f32_e32 vcc, v5, v27
	s_nop 1
	v_cndmask_b32_e32 v4, v10, v4, vcc
	s_cbranch_execnz .LBB259_10
.LBB259_9:                              ;   in Loop: Header=BB259_6 Depth=1
	s_waitcnt vmcnt(0)
	v_mul_f32_e32 v4, v3, v3
.LBB259_10:                             ;   in Loop: Header=BB259_6 Depth=1
	s_cbranch_execnz .LBB259_5
	s_branch .LBB259_12
.LBB259_11:                             ;   in Loop: Header=BB259_6 Depth=1
                                        ; implicit-def: $vgpr4
.LBB259_12:                             ;   in Loop: Header=BB259_6 Depth=1
	s_waitcnt vmcnt(0)
	v_and_b32_e32 v4, 0x7fffffff, v3
	s_branch .LBB259_5
.LBB259_13:                             ;   in Loop: Header=BB259_6 Depth=1
                                        ; implicit-def: $vgpr4
	s_branch .LBB259_9
.LBB259_14:
	s_mov_b64 s[10:11], -1
	s_branch .LBB259_27
.LBB259_15:
	s_or_b64 exec, exec, s[30:31]
.LBB259_16:
	s_or_b64 exec, exec, s[16:17]
	v_mbcnt_lo_u32_b32 v2, -1, 0
	v_mbcnt_hi_u32_b32 v8, -1, v2
	v_and_b32_e32 v10, 63, v8
	v_cmp_gt_u32_e32 vcc, 32, v10
	s_waitcnt lgkmcnt(0)
	s_barrier
	v_cndmask_b32_e64 v2, 0, 1, vcc
	v_lshlrev_b32_e32 v2, 5, v2
	v_add_lshl_u32 v3, v2, v8, 2
	ds_bpermute_b32 v2, v3, v6
	v_cmp_gt_u32_e32 vcc, 48, v10
	s_waitcnt lgkmcnt(0)
	v_add_f32_e32 v2, v6, v2
	v_cndmask_b32_e64 v4, 0, 1, vcc
	v_lshlrev_b32_e32 v4, 4, v4
	v_add_lshl_u32 v4, v4, v8, 2
	ds_bpermute_b32 v5, v4, v2
	v_cmp_gt_u32_e32 vcc, 56, v10
	s_waitcnt lgkmcnt(0)
	v_add_f32_e32 v2, v2, v5
	;; [unrolled: 7-line block ×4, first 2 shown]
	v_cndmask_b32_e64 v9, 0, 1, vcc
	v_lshlrev_b32_e32 v9, 1, v9
	v_add_lshl_u32 v7, v9, v8, 2
	ds_bpermute_b32 v11, v7, v2
	v_cmp_ne_u32_e32 vcc, 63, v10
	v_and_b32_e32 v9, 63, v0
	s_waitcnt lgkmcnt(0)
	v_add_f32_e32 v2, v2, v11
	v_addc_co_u32_e32 v8, vcc, 0, v8, vcc
	v_lshlrev_b32_e32 v8, 2, v8
	ds_bpermute_b32 v10, v8, v2
	v_cmp_eq_u32_e32 vcc, 0, v9
	s_and_saveexec_b64 s[4:5], vcc
	s_cbranch_execz .LBB259_18
; %bb.17:
	s_waitcnt lgkmcnt(0)
	v_add_f32_e32 v2, v2, v10
	v_lshrrev_b32_e32 v10, 4, v0
	v_add_u32_e32 v10, 0, v10
	ds_write_b32 v10, v2
.LBB259_18:
	s_or_b64 exec, exec, s[4:5]
	s_waitcnt lgkmcnt(0)
	s_barrier
	s_load_dword s16, s[0:1], 0x4c
	v_mov_b32_e32 v2, 0
	s_waitcnt lgkmcnt(0)
	s_bfe_u32 s0, s16, 0xa0006
	v_cmp_gt_u32_e32 vcc, s0, v0
	s_and_saveexec_b64 s[0:1], vcc
	s_cbranch_execnz .LBB259_29
; %bb.19:
	s_or_b64 exec, exec, s[0:1]
	v_cmp_gt_u32_e32 vcc, 64, v0
	s_and_saveexec_b64 s[0:1], vcc
	s_cbranch_execnz .LBB259_30
.LBB259_20:
	s_or_b64 exec, exec, s[0:1]
	v_cmp_eq_u32_e32 vcc, 0, v0
	s_and_saveexec_b64 s[8:9], vcc
	s_cbranch_execz .LBB259_22
.LBB259_21:
	v_div_scale_f32 v3, s[0:1], s23, s23, 1.0
	v_rcp_f32_e32 v4, v3
	v_div_scale_f32 v5, vcc, 1.0, s23, 1.0
	s_mov_b32 s4, 0x3f2aaaab
	v_fma_f32 v6, -v3, v4, 1.0
	v_fmac_f32_e32 v4, v6, v4
	v_mul_f32_e32 v6, v5, v4
	v_fma_f32 v7, -v3, v6, v5
	v_fmac_f32_e32 v6, v7, v4
	v_fma_f32 v3, -v3, v6, v5
	v_div_fmas_f32 v3, v3, v4, v6
	v_div_fixup_f32 v20, v3, s23, 1.0
	s_waitcnt lgkmcnt(0)
	v_cmp_eq_f32_e32 vcc, 1.0, v2
	s_movk_i32 s6, 0x204
	s_mov_b32 s17, 0x42b17218
	v_cndmask_b32_e64 v21, v20, 1.0, vcc
	v_cmp_eq_f32_e64 s[0:1], 0, v21
	s_mov_b32 s7, 0x7f800000
	s_nop 0
	v_cndmask_b32_e64 v22, |v2|, 1.0, s[0:1]
	v_frexp_mant_f32_e32 v3, v22
	v_cmp_gt_f32_e64 s[4:5], s4, v3
	s_nop 1
	v_cndmask_b32_e64 v4, 1.0, 2.0, s[4:5]
	v_mul_f32_e32 v3, v3, v4
	v_add_f32_e32 v4, 1.0, v3
	v_rcp_f32_e32 v12, v4
	v_add_f32_e32 v5, -1.0, v4
	v_sub_f32_e32 v7, v3, v5
	v_add_f32_e32 v5, -1.0, v3
	v_mul_f32_e32 v3, v5, v12
	v_mul_f32_e32 v6, v4, v3
	v_fma_f32 v8, v3, v4, -v6
	v_fmac_f32_e32 v8, v3, v7
	v_add_f32_e32 v4, v6, v8
	v_sub_f32_e32 v7, v5, v4
	v_pk_add_f32 v[10:11], v[4:5], v[6:7] neg_lo:[0,1] neg_hi:[0,1]
	v_mov_b32_e32 v9, v4
	v_pk_add_f32 v[4:5], v[10:11], v[8:9] neg_lo:[0,1] neg_hi:[0,1]
	v_mov_b32_e32 v8, 0x3e91f4c4
	v_add_f32_e32 v4, v4, v5
	v_add_f32_e32 v4, v7, v4
	v_mul_f32_e32 v5, v12, v4
	v_add_f32_e32 v4, v3, v5
	v_sub_f32_e32 v3, v4, v3
	v_sub_f32_e32 v3, v5, v3
	v_mul_f32_e32 v5, v4, v4
	v_fma_f32 v7, v4, v4, -v5
	v_add_f32_e32 v6, v3, v3
	v_fmac_f32_e32 v7, v4, v6
	v_add_f32_e32 v6, v5, v7
	v_fmac_f32_e32 v8, 0x3e76c4e1, v6
	v_fmaak_f32 v8, v6, v8, 0x3ecccdef
	v_sub_f32_e32 v5, v6, v5
	v_sub_f32_e32 v14, v7, v5
	v_mul_f32_e32 v5, v6, v8
	v_fma_f32 v7, v6, v8, -v5
	v_fmac_f32_e32 v7, v14, v8
	v_add_f32_e32 v8, v5, v7
	v_add_f32_e32 v9, 0x3f2aaaaa, v8
	v_sub_f32_e32 v5, v8, v5
	v_sub_f32_e32 v5, v7, v5
	v_add_f32_e32 v7, 0xbf2aaaaa, v9
	v_add_f32_e32 v5, 0x31739010, v5
	v_sub_f32_e32 v7, v8, v7
	v_pk_mul_f32 v[10:11], v[4:5], v[6:7]
	v_pk_add_f32 v[12:13], v[4:5], v[6:7]
	v_fma_f32 v8, v6, v4, -v10
	v_fmac_f32_e32 v8, v6, v3
	v_mov_b32_e32 v11, v13
	v_fmac_f32_e32 v8, v14, v4
	v_pk_add_f32 v[6:7], v[10:11], v[8:9]
	v_ldexp_f32 v3, v3, 1
	v_sub_f32_e32 v5, v6, v10
	v_sub_f32_e32 v5, v8, v5
	;; [unrolled: 1-line block ×3, first 2 shown]
	v_add_f32_e32 v11, v13, v8
	v_mov_b32_e32 v8, v7
	v_pk_mul_f32 v[8:9], v[6:7], v[8:9]
	v_cvt_f64_f32_e32 v[12:13], v22
	v_frexp_exp_i32_f64_e32 v9, v[12:13]
	v_subbrev_co_u32_e64 v9, s[4:5], 0, v9, s[4:5]
	v_cvt_f32_i32_e32 v9, v9
	v_fma_f32 v10, v6, v7, -v8
	v_fmac_f32_e32 v10, v6, v11
	s_mov_b32 s4, 0x3f317218
	v_mul_f32_e32 v6, 0x3f317218, v9
	v_fmac_f32_e32 v10, v5, v7
	v_fma_f32 v5, v9, s4, -v6
	v_fmamk_f32 v12, v9, 0xb102e308, v5
	v_ldexp_f32 v13, v4, 1
	v_add_f32_e32 v7, v8, v10
	v_pk_add_f32 v[4:5], v[6:7], v[12:13]
	v_mov_b32_e32 v14, v7
	v_mov_b32_e32 v15, v5
	;; [unrolled: 1-line block ×3, first 2 shown]
	v_pk_add_f32 v[8:9], v[14:15], v[8:9] neg_lo:[0,1] neg_hi:[0,1]
	v_mov_b32_e32 v11, v7
	v_pk_add_f32 v[8:9], v[10:11], v[8:9] neg_lo:[0,1] neg_hi:[0,1]
	v_mov_b32_e32 v13, v4
	v_add_f32_e32 v3, v3, v8
	v_add_f32_e32 v7, v3, v9
	v_pk_add_f32 v[8:9], v[4:5], v[6:7] neg_lo:[0,1] neg_hi:[0,1]
	v_pk_add_f32 v[10:11], v[4:5], v[6:7]
	v_mov_b32_e32 v14, v8
	v_mov_b32_e32 v15, v11
	v_pk_add_f32 v[14:15], v[12:13], v[14:15]
	v_pk_add_f32 v[8:9], v[12:13], v[8:9] neg_lo:[0,1] neg_hi:[0,1]
	v_mov_b32_e32 v6, v15
	v_pk_add_f32 v[16:17], v[6:7], v[4:5] neg_lo:[0,1] neg_hi:[0,1]
	v_mov_b32_e32 v14, v11
	v_mov_b32_e32 v3, v16
	;; [unrolled: 1-line block ×4, first 2 shown]
	v_pk_add_f32 v[18:19], v[10:11], v[2:3] neg_lo:[0,1] neg_hi:[0,1]
	v_pk_add_f32 v[4:5], v[14:15], v[4:5] neg_lo:[0,1] neg_hi:[0,1]
	v_mov_b32_e32 v12, v7
	v_pk_add_f32 v[4:5], v[12:13], v[4:5] neg_lo:[0,1] neg_hi:[0,1]
	v_mov_b32_e32 v18, v8
	v_pk_add_f32 v[10:11], v[18:19], v[4:5]
	v_mov_b32_e32 v9, v15
	v_mov_b32_e32 v12, v11
	v_pk_add_f32 v[12:13], v[10:11], v[12:13]
	v_cndmask_b32_e64 v2, v2, 1.0, s[0:1]
	v_pk_add_f32 v[6:7], v[6:7], v[12:13]
	v_mov_b32_e32 v5, v12
	v_mov_b32_e32 v11, v6
	v_pk_add_f32 v[14:15], v[10:11], v[8:9] neg_lo:[0,1] neg_hi:[0,1]
	s_nop 0
	v_sub_f32_e32 v3, v10, v14
	v_pk_add_f32 v[4:5], v[4:5], v[14:15] neg_lo:[0,1] neg_hi:[0,1]
	v_sub_f32_e32 v3, v8, v3
	v_add_f32_e32 v3, v4, v3
	v_add_f32_e32 v3, v3, v5
	;; [unrolled: 1-line block ×3, first 2 shown]
	v_sub_f32_e32 v5, v4, v6
	v_sub_f32_e32 v3, v3, v5
	v_mul_f32_e32 v5, v21, v4
	v_fma_f32 v4, v21, v4, -v5
	v_fmac_f32_e32 v4, v21, v3
	v_add_f32_e32 v3, v5, v4
	v_cmp_class_f32_e64 s[4:5], v5, s6
	v_sub_f32_e32 v6, v3, v5
	v_sub_f32_e32 v4, v4, v6
	v_cndmask_b32_e64 v3, v3, v5, s[4:5]
	v_mov_b32_e32 v5, 0x37000000
	v_cmp_eq_f32_e64 s[4:5], s17, v3
	s_nop 1
	v_cndmask_b32_e64 v5, 0, v5, s[4:5]
	v_sub_f32_e32 v6, v3, v5
	s_mov_b32 s4, 0x3fb8aa3b
	v_mul_f32_e32 v7, 0x3fb8aa3b, v6
	v_fma_f32 v8, v6, s4, -v7
	v_rndne_f32_e32 v9, v7
	v_fmamk_f32 v8, v6, 0x32a5705f, v8
	v_sub_f32_e32 v7, v7, v9
	v_add_f32_e32 v7, v7, v8
	v_exp_f32_e32 v7, v7
	v_cvt_i32_f32_e32 v8, v9
	v_cmp_neq_f32_e64 s[4:5], |v3|, s7
	s_nop 1
	v_cndmask_b32_e64 v3, 0, v4, s[4:5]
	s_mov_b32 s4, 0xc2ce8ed0
	v_ldexp_f32 v4, v7, v8
	v_cmp_ngt_f32_e64 s[4:5], s4, v6
	v_add_f32_e32 v3, v5, v3
	v_mov_b32_e32 v5, 0x7f800000
	v_cndmask_b32_e64 v4, 0, v4, s[4:5]
	v_cmp_nlt_f32_e64 s[4:5], s17, v6
	s_brev_b32 s17, -2
	v_mov_b32_e32 v6, 0x7fc00000
	v_cndmask_b32_e64 v4, v5, v4, s[4:5]
	v_fma_f32 v3, v4, v3, v4
	v_cmp_class_f32_e64 s[4:5], v4, s6
	s_nop 1
	v_cndmask_b32_e64 v3, v3, v4, s[4:5]
	v_trunc_f32_e32 v4, v21
	v_cmp_eq_f32_e64 s[0:1], v4, v21
	v_mul_f32_e32 v4, 0.5, v21
	v_trunc_f32_e32 v7, v4
	v_cmp_neq_f32_e64 s[4:5], v7, v4
	s_and_b64 s[4:5], s[0:1], s[4:5]
	s_nop 0
	v_cndmask_b32_e64 v4, 1.0, v2, s[4:5]
	v_bfi_b32 v3, s17, v3, v4
	v_cndmask_b32_e64 v4, v6, v3, s[0:1]
	v_cmp_gt_f32_e64 s[0:1], 0, v2
	s_nop 1
	v_cndmask_b32_e64 v3, v3, v4, s[0:1]
	v_cndmask_b32_e64 v4, |v20|, 1.0, vcc
	v_cmp_neq_f32_e32 vcc, v21, v4
	v_cmp_gt_f32_e64 s[0:1], 1.0, v22
	s_xor_b64 s[0:1], vcc, s[0:1]
	v_cmp_eq_f32_e32 vcc, 1.0, v22
	v_cndmask_b32_e64 v7, v4, 0, s[0:1]
	v_cmp_eq_f32_e64 s[0:1], 0, v2
	v_cndmask_b32_e32 v7, v7, v22, vcc
	v_cmp_eq_f32_e32 vcc, s7, v4
	s_nop 1
	v_cndmask_b32_e32 v3, v3, v7, vcc
	v_cmp_eq_f32_e32 vcc, s7, v22
	v_cmp_gt_f32_e64 s[6:7], 0, v21
	s_xor_b64 s[6:7], s[6:7], s[0:1]
	s_or_b64 vcc, vcc, s[0:1]
	v_cndmask_b32_e64 v4, v5, 0, s[6:7]
	v_cndmask_b32_e64 v5, 0, v2, s[4:5]
	v_bfi_b32 v4, s17, v4, v5
	v_cndmask_b32_e32 v3, v3, v4, vcc
	v_cmp_o_f32_e32 vcc, v2, v21
	s_nop 1
	v_cndmask_b32_e32 v2, v6, v3, vcc
	v_mov_b32_e32 v3, 0
	ds_write_b32 v3, v2
.LBB259_22:
	s_or_b64 exec, exec, s[8:9]
	s_waitcnt lgkmcnt(0)
	v_mov_b32_e32 v2, 0
	s_barrier
	ds_read_b32 v2, v2
	s_waitcnt lgkmcnt(0)
	v_cmp_nlt_f32_e32 vcc, s22, v2
	s_cbranch_vccnz .LBB259_27
; %bb.23:
	s_and_saveexec_b64 s[0:1], s[2:3]
	s_cbranch_execz .LBB259_26
; %bb.24:
	s_mov_b32 s2, 0x9abcaf48
	v_cvt_f64_f32_e32 v[2:3], v2
	s_mov_b32 s3, 0x3e7ad7f2
	v_cvt_f64_f32_e32 v[4:5], s22
	v_add_f64 v[2:3], v[2:3], s[2:3]
	v_div_scale_f64 v[6:7], s[2:3], v[2:3], v[2:3], v[4:5]
	v_rcp_f64_e32 v[8:9], v[6:7]
	s_and_b32 s6, s16, 0xffff
	s_lshl_b64 s[2:3], s[14:15], 2
	s_add_u32 s2, s20, s2
	v_fma_f64 v[10:11], -v[6:7], v[8:9], 1.0
	v_fmac_f64_e32 v[8:9], v[8:9], v[10:11]
	v_fma_f64 v[10:11], -v[6:7], v[8:9], 1.0
	v_fmac_f64_e32 v[8:9], v[8:9], v[10:11]
	v_div_scale_f64 v[10:11], vcc, v[4:5], v[2:3], v[4:5]
	v_mul_f64 v[12:13], v[10:11], v[8:9]
	v_fma_f64 v[6:7], -v[6:7], v[12:13], v[10:11]
	s_addc_u32 s3, s21, s3
	s_nop 0
	v_div_fmas_f64 v[6:7], v[6:7], v[8:9], v[12:13]
	v_div_fixup_f64 v[2:3], v[6:7], v[2:3], v[4:5]
	v_cvt_f32_f64_e32 v4, v[2:3]
	v_add_u32_e32 v2, s6, v0
	s_mov_b64 s[4:5], 0
.LBB259_25:                             ; =>This Inner Loop Header: Depth=1
	v_mul_lo_u32 v3, v1, s18
	v_mul_lo_u32 v5, v0, s19
	v_mad_u64_u32 v[0:1], s[8:9], v0, s18, 0
	v_add3_u32 v1, v1, v5, v3
	v_lshl_add_u64 v[6:7], v[0:1], 2, s[2:3]
	global_load_dword v5, v[6:7], off
	v_ashrrev_i32_e32 v3, 31, v2
	v_cmp_le_i64_e32 vcc, s[12:13], v[2:3]
	v_mov_b64_e32 v[0:1], v[2:3]
	v_add_u32_e32 v2, s6, v2
	s_or_b64 s[4:5], vcc, s[4:5]
	s_waitcnt vmcnt(0)
	v_mul_f32_e32 v3, v5, v4
	global_store_dword v[6:7], v3, off
	s_andn2_b64 exec, exec, s[4:5]
	s_cbranch_execnz .LBB259_25
.LBB259_26:
	s_or_b64 exec, exec, s[0:1]
.LBB259_27:
	s_and_b64 vcc, exec, s[10:11]
	s_cbranch_vccnz .LBB259_31
.LBB259_28:
	s_endpgm
.LBB259_29:
	v_lshl_add_u32 v2, v9, 2, 0
	ds_read_b32 v2, v2
	s_or_b64 exec, exec, s[0:1]
	v_cmp_gt_u32_e32 vcc, 64, v0
	s_and_saveexec_b64 s[0:1], vcc
	s_cbranch_execz .LBB259_20
.LBB259_30:
	s_waitcnt lgkmcnt(0)
	ds_bpermute_b32 v3, v3, v2
	s_waitcnt lgkmcnt(0)
	v_add_f32_e32 v2, v2, v3
	ds_bpermute_b32 v3, v4, v2
	s_waitcnt lgkmcnt(0)
	v_add_f32_e32 v2, v2, v3
	;; [unrolled: 3-line block ×6, first 2 shown]
	s_or_b64 exec, exec, s[0:1]
	v_cmp_eq_u32_e32 vcc, 0, v0
	s_and_saveexec_b64 s[8:9], vcc
	s_cbranch_execnz .LBB259_21
	s_branch .LBB259_22
.LBB259_31:
	s_trap 2
	; divergent unreachable
	s_endpgm
	.section	.rodata,"a",@progbits
	.p2align	6, 0x0
	.amdhsa_kernel _ZN2at6native12_GLOBAL__N_113renorm_kernelIffKlEEvPT_PT1_T0_S8_llllPS3_
		.amdhsa_group_segment_fixed_size 0
		.amdhsa_private_segment_fixed_size 0
		.amdhsa_kernarg_size 320
		.amdhsa_user_sgpr_count 2
		.amdhsa_user_sgpr_dispatch_ptr 0
		.amdhsa_user_sgpr_queue_ptr 0
		.amdhsa_user_sgpr_kernarg_segment_ptr 1
		.amdhsa_user_sgpr_dispatch_id 0
		.amdhsa_user_sgpr_kernarg_preload_length 0
		.amdhsa_user_sgpr_kernarg_preload_offset 0
		.amdhsa_user_sgpr_private_segment_size 0
		.amdhsa_uses_dynamic_stack 0
		.amdhsa_enable_private_segment 0
		.amdhsa_system_sgpr_workgroup_id_x 1
		.amdhsa_system_sgpr_workgroup_id_y 0
		.amdhsa_system_sgpr_workgroup_id_z 0
		.amdhsa_system_sgpr_workgroup_info 0
		.amdhsa_system_vgpr_workitem_id 0
		.amdhsa_next_free_vgpr 29
		.amdhsa_next_free_sgpr 42
		.amdhsa_accum_offset 32
		.amdhsa_reserve_vcc 1
		.amdhsa_float_round_mode_32 0
		.amdhsa_float_round_mode_16_64 0
		.amdhsa_float_denorm_mode_32 3
		.amdhsa_float_denorm_mode_16_64 3
		.amdhsa_dx10_clamp 1
		.amdhsa_ieee_mode 1
		.amdhsa_fp16_overflow 0
		.amdhsa_tg_split 0
		.amdhsa_exception_fp_ieee_invalid_op 0
		.amdhsa_exception_fp_denorm_src 0
		.amdhsa_exception_fp_ieee_div_zero 0
		.amdhsa_exception_fp_ieee_overflow 0
		.amdhsa_exception_fp_ieee_underflow 0
		.amdhsa_exception_fp_ieee_inexact 0
		.amdhsa_exception_int_div_zero 0
	.end_amdhsa_kernel
	.section	.text._ZN2at6native12_GLOBAL__N_113renorm_kernelIffKlEEvPT_PT1_T0_S8_llllPS3_,"axG",@progbits,_ZN2at6native12_GLOBAL__N_113renorm_kernelIffKlEEvPT_PT1_T0_S8_llllPS3_,comdat
.Lfunc_end259:
	.size	_ZN2at6native12_GLOBAL__N_113renorm_kernelIffKlEEvPT_PT1_T0_S8_llllPS3_, .Lfunc_end259-_ZN2at6native12_GLOBAL__N_113renorm_kernelIffKlEEvPT_PT1_T0_S8_llllPS3_
                                        ; -- End function
	.section	.AMDGPU.csdata,"",@progbits
; Kernel info:
; codeLenInByte = 3664
; NumSgprs: 48
; NumVgprs: 29
; NumAgprs: 0
; TotalNumVgprs: 29
; ScratchSize: 0
; MemoryBound: 0
; FloatMode: 240
; IeeeMode: 1
; LDSByteSize: 0 bytes/workgroup (compile time only)
; SGPRBlocks: 5
; VGPRBlocks: 3
; NumSGPRsForWavesPerEU: 48
; NumVGPRsForWavesPerEU: 29
; AccumOffset: 32
; Occupancy: 8
; WaveLimiterHint : 1
; COMPUTE_PGM_RSRC2:SCRATCH_EN: 0
; COMPUTE_PGM_RSRC2:USER_SGPR: 2
; COMPUTE_PGM_RSRC2:TRAP_HANDLER: 0
; COMPUTE_PGM_RSRC2:TGID_X_EN: 1
; COMPUTE_PGM_RSRC2:TGID_Y_EN: 0
; COMPUTE_PGM_RSRC2:TGID_Z_EN: 0
; COMPUTE_PGM_RSRC2:TIDIG_COMP_CNT: 0
; COMPUTE_PGM_RSRC3_GFX90A:ACCUM_OFFSET: 7
; COMPUTE_PGM_RSRC3_GFX90A:TG_SPLIT: 0
	.section	.text._ZN2at6native12_GLOBAL__N_113renorm_kernelIN3c104HalfEfKlEEvPT_PT1_T0_SA_llllPS5_,"axG",@progbits,_ZN2at6native12_GLOBAL__N_113renorm_kernelIN3c104HalfEfKlEEvPT_PT1_T0_SA_llllPS5_,comdat
	.globl	_ZN2at6native12_GLOBAL__N_113renorm_kernelIN3c104HalfEfKlEEvPT_PT1_T0_SA_llllPS5_ ; -- Begin function _ZN2at6native12_GLOBAL__N_113renorm_kernelIN3c104HalfEfKlEEvPT_PT1_T0_SA_llllPS5_
	.p2align	8
	.type	_ZN2at6native12_GLOBAL__N_113renorm_kernelIN3c104HalfEfKlEEvPT_PT1_T0_SA_llllPS5_,@function
_ZN2at6native12_GLOBAL__N_113renorm_kernelIN3c104HalfEfKlEEvPT_PT1_T0_SA_llllPS5_: ; @_ZN2at6native12_GLOBAL__N_113renorm_kernelIN3c104HalfEfKlEEvPT_PT1_T0_SA_llllPS5_
; %bb.0:
	s_load_dwordx2 s[4:5], s[0:1], 0x38
	s_mov_b32 s3, 0
	v_mov_b64_e32 v[2:3], s[2:3]
	s_waitcnt lgkmcnt(0)
	s_load_dwordx2 s[4:5], s[4:5], 0x0
	s_waitcnt lgkmcnt(0)
	v_cmp_le_i64_e32 vcc, s[4:5], v[2:3]
	s_cbranch_vccnz .LBB260_28
; %bb.1:
	s_load_dwordx4 s[20:23], s[0:1], 0x0
	s_lshl_b64 s[2:3], s[2:3], 3
	s_waitcnt lgkmcnt(0)
	s_add_u32 s2, s22, s2
	s_addc_u32 s3, s23, s3
	s_load_dwordx2 s[2:3], s[2:3], 0x0
	s_waitcnt lgkmcnt(0)
	v_cmp_lt_i64_e64 s[4:5], s[2:3], 0
	s_and_b64 vcc, exec, s[4:5]
	s_cbranch_vccnz .LBB260_14
; %bb.2:
	s_load_dwordx8 s[12:19], s[0:1], 0x18
	s_getpc_b64 s[4:5]
	s_add_u32 s4, s4, .str.2@rel32@lo+4
	s_addc_u32 s5, s5, .str.2@rel32@hi+12
	s_cmp_eq_u64 s[4:5], 0
	s_cselect_b64 s[4:5], -1, 0
	s_waitcnt lgkmcnt(0)
	v_mov_b32_e32 v2, s14
	v_mov_b32_e32 v3, s15
	v_cmp_ge_i64_e32 vcc, s[2:3], v[2:3]
	s_or_b64 s[10:11], s[4:5], vcc
	s_andn2_b64 vcc, exec, s[10:11]
	s_cbranch_vccz .LBB260_27
; %bb.3:
	s_load_dwordx2 s[22:23], s[0:1], 0x10
	s_mul_i32 s4, s2, s17
	s_mul_hi_u32 s5, s2, s16
	s_add_i32 s4, s5, s4
	s_mul_i32 s3, s3, s16
	v_mov_b32_e32 v1, 0
	s_add_i32 s15, s4, s3
	s_mul_i32 s14, s2, s16
	v_cmp_gt_i64_e64 s[2:3], s[12:13], v[0:1]
	v_mov_b32_e32 v6, v1
	s_and_saveexec_b64 s[16:17], s[2:3]
	s_cbranch_execz .LBB260_16
; %bb.4:
	s_load_dword s6, s[0:1], 0x4c
	s_lshl_b64 s[4:5], s[14:15], 1
	s_add_u32 s24, s20, s4
	s_addc_u32 s25, s21, s5
	s_waitcnt lgkmcnt(0)
	v_cmp_neq_f32_e64 s[26:27], s23, 1.0
	s_and_b32 s33, s6, 0xffff
	v_cmp_neq_f32_e64 s[28:29], s23, 2.0
	v_add_u32_e32 v2, s33, v0
	s_mov_b64 s[30:31], 0
	v_mov_b32_e32 v6, 0
	s_mov_b32 s34, 0x3f2aaaab
	v_mov_b32_e32 v7, 0x3e91f4c4
	s_mov_b32 s35, 0x3f317218
	s_movk_i32 s36, 0x204
	s_mov_b32 s37, 0x7f800000
	s_mov_b32 s38, 0x42b17218
	;; [unrolled: 1-line block ×4, first 2 shown]
	s_brev_b32 s41, -2
	v_mov_b32_e32 v8, 0x37000000
	v_mov_b32_e32 v9, 0x7f800000
	;; [unrolled: 1-line block ×3, first 2 shown]
	v_mov_b64_e32 v[4:5], v[0:1]
                                        ; implicit-def: $vgpr3
	s_branch .LBB260_6
.LBB260_5:                              ;   in Loop: Header=BB260_6 Depth=1
	v_ashrrev_i32_e32 v3, 31, v2
	v_cmp_le_i64_e32 vcc, s[12:13], v[2:3]
	v_add_f32_e32 v6, v6, v4
	v_mov_b64_e32 v[4:5], v[2:3]
	s_or_b64 s[30:31], vcc, s[30:31]
	v_add_u32_e32 v2, s33, v2
	s_andn2_b64 exec, exec, s[30:31]
	s_cbranch_execz .LBB260_15
.LBB260_6:                              ; =>This Inner Loop Header: Depth=1
	v_mul_lo_u32 v3, v5, s18
	v_mul_lo_u32 v11, v4, s19
	v_mad_u64_u32 v[4:5], s[4:5], v4, s18, 0
	v_add3_u32 v5, v5, v11, v3
	v_lshl_add_u64 v[4:5], v[4:5], 1, s[24:25]
	global_load_ushort v4, v[4:5], off
	s_and_b64 vcc, exec, s[26:27]
	s_waitcnt vmcnt(0)
	v_cvt_f32_f16_e32 v3, v4
	s_cbranch_vccz .LBB260_11
; %bb.7:                                ;   in Loop: Header=BB260_6 Depth=1
	s_and_b64 vcc, exec, s[28:29]
	s_cbranch_vccz .LBB260_13
; %bb.8:                                ;   in Loop: Header=BB260_6 Depth=1
	v_mov_b32_e32 v26, s23
	v_cmp_eq_f16_e32 vcc, 1.0, v4
	s_nop 1
	v_cndmask_b32_e64 v27, v26, 1.0, vcc
	v_cmp_eq_f32_e64 s[4:5], 0, v27
	v_cmp_gt_f32_e64 s[8:9], 0, v27
	s_nop 0
	v_cndmask_b32_e64 v28, |v3|, 1.0, s[4:5]
	v_frexp_mant_f32_e32 v4, v28
	v_cmp_gt_f32_e64 s[6:7], s34, v4
	s_nop 1
	v_cndmask_b32_e64 v5, 1.0, 2.0, s[6:7]
	v_mul_f32_e32 v4, v4, v5
	v_add_f32_e32 v11, 1.0, v4
	v_rcp_f32_e32 v18, v11
	v_add_f32_e32 v5, -1.0, v11
	v_sub_f32_e32 v13, v4, v5
	v_add_f32_e32 v5, -1.0, v4
	v_mul_f32_e32 v19, v5, v18
	v_mul_f32_e32 v12, v11, v19
	v_fma_f32 v14, v19, v11, -v12
	v_fmac_f32_e32 v14, v19, v13
	v_add_f32_e32 v4, v12, v14
	v_sub_f32_e32 v13, v5, v4
	v_pk_add_f32 v[16:17], v[4:5], v[12:13] neg_lo:[0,1] neg_hi:[0,1]
	v_mov_b32_e32 v15, v4
	v_pk_add_f32 v[4:5], v[16:17], v[14:15] neg_lo:[0,1] neg_hi:[0,1]
	s_nop 0
	v_add_f32_e32 v4, v4, v5
	v_add_f32_e32 v4, v13, v4
	v_mul_f32_e32 v5, v18, v4
	v_add_f32_e32 v4, v19, v5
	v_sub_f32_e32 v11, v4, v19
	v_sub_f32_e32 v11, v5, v11
	v_mul_f32_e32 v5, v4, v4
	v_fma_f32 v13, v4, v4, -v5
	v_add_f32_e32 v12, v11, v11
	v_fmac_f32_e32 v13, v4, v12
	v_add_f32_e32 v12, v5, v13
	v_fmamk_f32 v14, v12, 0x3e76c4e1, v7
	v_fmaak_f32 v14, v12, v14, 0x3ecccdef
	v_sub_f32_e32 v5, v12, v5
	v_sub_f32_e32 v20, v13, v5
	v_mul_f32_e32 v5, v12, v14
	v_fma_f32 v13, v12, v14, -v5
	v_fmac_f32_e32 v13, v20, v14
	v_add_f32_e32 v14, v5, v13
	v_add_f32_e32 v15, 0x3f2aaaaa, v14
	v_sub_f32_e32 v5, v14, v5
	v_sub_f32_e32 v5, v13, v5
	v_add_f32_e32 v13, 0xbf2aaaaa, v15
	v_add_f32_e32 v5, 0x31739010, v5
	v_sub_f32_e32 v13, v14, v13
	v_pk_mul_f32 v[16:17], v[4:5], v[12:13]
	v_pk_add_f32 v[18:19], v[4:5], v[12:13]
	v_fma_f32 v14, v12, v4, -v16
	v_fmac_f32_e32 v14, v12, v11
	v_mov_b32_e32 v17, v19
	v_fmac_f32_e32 v14, v20, v4
	v_pk_add_f32 v[12:13], v[16:17], v[14:15]
	v_ldexp_f32 v11, v11, 1
	v_sub_f32_e32 v5, v12, v16
	v_sub_f32_e32 v5, v14, v5
	;; [unrolled: 1-line block ×3, first 2 shown]
	v_add_f32_e32 v18, v19, v14
	v_mov_b32_e32 v14, v13
	v_pk_mul_f32 v[14:15], v[12:13], v[14:15]
	v_cvt_f64_f32_e32 v[16:17], v28
	v_frexp_exp_i32_f64_e32 v15, v[16:17]
	v_subbrev_co_u32_e64 v15, s[6:7], 0, v15, s[6:7]
	v_cvt_f32_i32_e32 v15, v15
	v_fma_f32 v16, v12, v13, -v14
	v_fmac_f32_e32 v16, v12, v18
	v_fmac_f32_e32 v16, v5, v13
	v_mul_f32_e32 v12, 0x3f317218, v15
	v_fma_f32 v18, v15, s35, -v12
	v_fmac_f32_e32 v18, 0xb102e308, v15
	v_ldexp_f32 v19, v4, 1
	v_add_f32_e32 v13, v14, v16
	v_pk_add_f32 v[4:5], v[12:13], v[18:19]
	v_mov_b32_e32 v20, v13
	v_mov_b32_e32 v21, v5
	;; [unrolled: 1-line block ×3, first 2 shown]
	v_pk_add_f32 v[14:15], v[20:21], v[14:15] neg_lo:[0,1] neg_hi:[0,1]
	v_mov_b32_e32 v17, v13
	v_pk_add_f32 v[14:15], v[16:17], v[14:15] neg_lo:[0,1] neg_hi:[0,1]
	v_mov_b32_e32 v19, v4
	v_add_f32_e32 v11, v11, v14
	v_add_f32_e32 v13, v11, v15
	v_pk_add_f32 v[14:15], v[4:5], v[12:13] neg_lo:[0,1] neg_hi:[0,1]
	v_pk_add_f32 v[16:17], v[4:5], v[12:13]
	v_mov_b32_e32 v20, v14
	v_mov_b32_e32 v21, v17
	v_pk_add_f32 v[20:21], v[18:19], v[20:21]
	v_pk_add_f32 v[14:15], v[18:19], v[14:15] neg_lo:[0,1] neg_hi:[0,1]
	v_mov_b32_e32 v12, v21
	v_pk_add_f32 v[22:23], v[12:13], v[4:5] neg_lo:[0,1] neg_hi:[0,1]
	v_mov_b32_e32 v20, v17
	v_mov_b32_e32 v11, v22
	;; [unrolled: 1-line block ×4, first 2 shown]
	v_pk_add_f32 v[24:25], v[16:17], v[10:11] neg_lo:[0,1] neg_hi:[0,1]
	v_pk_add_f32 v[4:5], v[20:21], v[4:5] neg_lo:[0,1] neg_hi:[0,1]
	v_mov_b32_e32 v18, v13
	v_pk_add_f32 v[4:5], v[18:19], v[4:5] neg_lo:[0,1] neg_hi:[0,1]
	v_mov_b32_e32 v24, v14
	v_pk_add_f32 v[16:17], v[24:25], v[4:5]
	v_mov_b32_e32 v15, v21
	v_mov_b32_e32 v18, v17
	v_pk_add_f32 v[18:19], v[16:17], v[18:19]
	s_nop 0
	v_pk_add_f32 v[12:13], v[12:13], v[18:19]
	v_mov_b32_e32 v5, v18
	v_mov_b32_e32 v17, v12
	v_pk_add_f32 v[20:21], v[16:17], v[14:15] neg_lo:[0,1] neg_hi:[0,1]
	s_nop 0
	v_sub_f32_e32 v11, v16, v20
	v_pk_add_f32 v[4:5], v[4:5], v[20:21] neg_lo:[0,1] neg_hi:[0,1]
	v_sub_f32_e32 v11, v14, v11
	v_add_f32_e32 v4, v4, v11
	v_add_f32_e32 v4, v4, v5
	v_add_f32_e32 v5, v12, v4
	v_sub_f32_e32 v11, v5, v12
	v_sub_f32_e32 v4, v4, v11
	v_mul_f32_e32 v11, v27, v5
	v_fma_f32 v5, v27, v5, -v11
	v_fmac_f32_e32 v5, v27, v4
	v_add_f32_e32 v4, v11, v5
	v_cmp_class_f32_e64 s[6:7], v11, s36
	v_sub_f32_e32 v12, v4, v11
	v_sub_f32_e32 v5, v5, v12
	v_cndmask_b32_e64 v4, v4, v11, s[6:7]
	v_cmp_eq_f32_e64 s[6:7], s38, v4
	s_nop 1
	v_cndmask_b32_e64 v11, 0, v8, s[6:7]
	v_sub_f32_e32 v12, v4, v11
	v_mul_f32_e32 v13, 0x3fb8aa3b, v12
	v_fma_f32 v14, v12, s39, -v13
	v_rndne_f32_e32 v15, v13
	v_fmac_f32_e32 v14, 0x32a5705f, v12
	v_sub_f32_e32 v13, v13, v15
	v_add_f32_e32 v13, v13, v14
	v_exp_f32_e32 v13, v13
	v_cvt_i32_f32_e32 v14, v15
	v_cmp_neq_f32_e64 s[6:7], |v4|, s37
	s_nop 1
	v_cndmask_b32_e64 v4, 0, v5, s[6:7]
	v_ldexp_f32 v5, v13, v14
	v_cmp_ngt_f32_e64 s[6:7], s40, v12
	v_add_f32_e32 v4, v11, v4
	v_trunc_f32_e32 v11, v27
	v_cndmask_b32_e64 v5, 0, v5, s[6:7]
	v_cmp_nlt_f32_e64 s[6:7], s38, v12
	s_nop 1
	v_cndmask_b32_e64 v5, v9, v5, s[6:7]
	v_fma_f32 v4, v5, v4, v5
	v_cmp_class_f32_e64 s[6:7], v5, s36
	s_nop 1
	v_cndmask_b32_e64 v4, v4, v5, s[6:7]
	v_cndmask_b32_e64 v5, v3, 1.0, s[4:5]
	v_cmp_eq_f32_e64 s[4:5], v11, v27
	v_mul_f32_e32 v11, 0.5, v27
	v_trunc_f32_e32 v12, v11
	v_cmp_neq_f32_e64 s[6:7], v12, v11
	s_and_b64 s[6:7], s[4:5], s[6:7]
	s_nop 0
	v_cndmask_b32_e64 v11, 1.0, v5, s[6:7]
	v_bfi_b32 v4, s41, v4, v11
	v_cndmask_b32_e64 v11, v10, v4, s[4:5]
	v_cmp_gt_f32_e64 s[4:5], 0, v5
	s_nop 1
	v_cndmask_b32_e64 v4, v4, v11, s[4:5]
	v_cndmask_b32_e64 v11, |v26|, 1.0, vcc
	v_cmp_neq_f32_e32 vcc, v27, v11
	v_cmp_gt_f32_e64 s[4:5], 1.0, v28
	s_xor_b64 s[4:5], vcc, s[4:5]
	v_cmp_eq_f32_e32 vcc, 1.0, v28
	v_cndmask_b32_e64 v12, v11, 0, s[4:5]
	v_cmp_eq_f32_e64 s[4:5], 0, v5
	v_cndmask_b32_e32 v12, v12, v28, vcc
	v_cmp_eq_f32_e32 vcc, s37, v11
	s_xor_b64 s[8:9], s[8:9], s[4:5]
	v_cndmask_b32_e64 v11, v9, 0, s[8:9]
	v_cndmask_b32_e32 v4, v4, v12, vcc
	v_cmp_eq_f32_e32 vcc, s37, v28
	v_cndmask_b32_e64 v12, 0, v5, s[6:7]
	v_bfi_b32 v11, s41, v11, v12
	s_or_b64 vcc, vcc, s[4:5]
	v_cndmask_b32_e32 v4, v4, v11, vcc
	v_cmp_o_f32_e32 vcc, v5, v27
	s_nop 1
	v_cndmask_b32_e32 v4, v10, v4, vcc
	s_cbranch_execnz .LBB260_10
.LBB260_9:                              ;   in Loop: Header=BB260_6 Depth=1
	v_mul_f32_e32 v4, v3, v3
.LBB260_10:                             ;   in Loop: Header=BB260_6 Depth=1
	s_cbranch_execnz .LBB260_5
	s_branch .LBB260_12
.LBB260_11:                             ;   in Loop: Header=BB260_6 Depth=1
                                        ; implicit-def: $vgpr4
.LBB260_12:                             ;   in Loop: Header=BB260_6 Depth=1
	v_and_b32_e32 v4, 0x7fffffff, v3
	s_branch .LBB260_5
.LBB260_13:                             ;   in Loop: Header=BB260_6 Depth=1
                                        ; implicit-def: $vgpr4
	s_branch .LBB260_9
.LBB260_14:
	s_mov_b64 s[10:11], -1
	s_branch .LBB260_27
.LBB260_15:
	s_or_b64 exec, exec, s[30:31]
.LBB260_16:
	s_or_b64 exec, exec, s[16:17]
	v_mbcnt_lo_u32_b32 v2, -1, 0
	v_mbcnt_hi_u32_b32 v8, -1, v2
	v_and_b32_e32 v10, 63, v8
	v_cmp_gt_u32_e32 vcc, 32, v10
	s_waitcnt lgkmcnt(0)
	s_barrier
	v_cndmask_b32_e64 v2, 0, 1, vcc
	v_lshlrev_b32_e32 v2, 5, v2
	v_add_lshl_u32 v3, v2, v8, 2
	ds_bpermute_b32 v2, v3, v6
	v_cmp_gt_u32_e32 vcc, 48, v10
	s_waitcnt lgkmcnt(0)
	v_add_f32_e32 v2, v6, v2
	v_cndmask_b32_e64 v4, 0, 1, vcc
	v_lshlrev_b32_e32 v4, 4, v4
	v_add_lshl_u32 v4, v4, v8, 2
	ds_bpermute_b32 v5, v4, v2
	v_cmp_gt_u32_e32 vcc, 56, v10
	s_waitcnt lgkmcnt(0)
	v_add_f32_e32 v2, v2, v5
	;; [unrolled: 7-line block ×4, first 2 shown]
	v_cndmask_b32_e64 v9, 0, 1, vcc
	v_lshlrev_b32_e32 v9, 1, v9
	v_add_lshl_u32 v7, v9, v8, 2
	ds_bpermute_b32 v11, v7, v2
	v_cmp_ne_u32_e32 vcc, 63, v10
	v_and_b32_e32 v9, 63, v0
	s_waitcnt lgkmcnt(0)
	v_add_f32_e32 v2, v2, v11
	v_addc_co_u32_e32 v8, vcc, 0, v8, vcc
	v_lshlrev_b32_e32 v8, 2, v8
	ds_bpermute_b32 v10, v8, v2
	v_cmp_eq_u32_e32 vcc, 0, v9
	s_and_saveexec_b64 s[4:5], vcc
	s_cbranch_execz .LBB260_18
; %bb.17:
	s_waitcnt lgkmcnt(0)
	v_add_f32_e32 v2, v2, v10
	v_lshrrev_b32_e32 v10, 4, v0
	v_add_u32_e32 v10, 0, v10
	ds_write_b32 v10, v2
.LBB260_18:
	s_or_b64 exec, exec, s[4:5]
	s_waitcnt lgkmcnt(0)
	s_barrier
	s_load_dword s16, s[0:1], 0x4c
	v_mov_b32_e32 v2, 0
	s_waitcnt lgkmcnt(0)
	s_bfe_u32 s0, s16, 0xa0006
	v_cmp_gt_u32_e32 vcc, s0, v0
	s_and_saveexec_b64 s[0:1], vcc
	s_cbranch_execnz .LBB260_29
; %bb.19:
	s_or_b64 exec, exec, s[0:1]
	v_cmp_gt_u32_e32 vcc, 64, v0
	s_and_saveexec_b64 s[0:1], vcc
	s_cbranch_execnz .LBB260_30
.LBB260_20:
	s_or_b64 exec, exec, s[0:1]
	v_cmp_eq_u32_e32 vcc, 0, v0
	s_and_saveexec_b64 s[8:9], vcc
	s_cbranch_execz .LBB260_22
.LBB260_21:
	v_div_scale_f32 v3, s[0:1], s23, s23, 1.0
	v_rcp_f32_e32 v4, v3
	v_div_scale_f32 v5, vcc, 1.0, s23, 1.0
	s_mov_b32 s4, 0x3f2aaaab
	v_fma_f32 v6, -v3, v4, 1.0
	v_fmac_f32_e32 v4, v6, v4
	v_mul_f32_e32 v6, v5, v4
	v_fma_f32 v7, -v3, v6, v5
	v_fmac_f32_e32 v6, v7, v4
	v_fma_f32 v3, -v3, v6, v5
	v_div_fmas_f32 v3, v3, v4, v6
	v_div_fixup_f32 v20, v3, s23, 1.0
	s_waitcnt lgkmcnt(0)
	v_cmp_eq_f32_e32 vcc, 1.0, v2
	s_movk_i32 s6, 0x204
	s_mov_b32 s17, 0x42b17218
	v_cndmask_b32_e64 v21, v20, 1.0, vcc
	v_cmp_eq_f32_e64 s[0:1], 0, v21
	s_mov_b32 s7, 0x7f800000
	s_nop 0
	v_cndmask_b32_e64 v22, |v2|, 1.0, s[0:1]
	v_frexp_mant_f32_e32 v3, v22
	v_cmp_gt_f32_e64 s[4:5], s4, v3
	s_nop 1
	v_cndmask_b32_e64 v4, 1.0, 2.0, s[4:5]
	v_mul_f32_e32 v3, v3, v4
	v_add_f32_e32 v4, 1.0, v3
	v_rcp_f32_e32 v12, v4
	v_add_f32_e32 v5, -1.0, v4
	v_sub_f32_e32 v7, v3, v5
	v_add_f32_e32 v5, -1.0, v3
	v_mul_f32_e32 v3, v5, v12
	v_mul_f32_e32 v6, v4, v3
	v_fma_f32 v8, v3, v4, -v6
	v_fmac_f32_e32 v8, v3, v7
	v_add_f32_e32 v4, v6, v8
	v_sub_f32_e32 v7, v5, v4
	v_pk_add_f32 v[10:11], v[4:5], v[6:7] neg_lo:[0,1] neg_hi:[0,1]
	v_mov_b32_e32 v9, v4
	v_pk_add_f32 v[4:5], v[10:11], v[8:9] neg_lo:[0,1] neg_hi:[0,1]
	v_mov_b32_e32 v8, 0x3e91f4c4
	v_add_f32_e32 v4, v4, v5
	v_add_f32_e32 v4, v7, v4
	v_mul_f32_e32 v5, v12, v4
	v_add_f32_e32 v4, v3, v5
	v_sub_f32_e32 v3, v4, v3
	v_sub_f32_e32 v3, v5, v3
	v_mul_f32_e32 v5, v4, v4
	v_fma_f32 v7, v4, v4, -v5
	v_add_f32_e32 v6, v3, v3
	v_fmac_f32_e32 v7, v4, v6
	v_add_f32_e32 v6, v5, v7
	v_fmac_f32_e32 v8, 0x3e76c4e1, v6
	v_fmaak_f32 v8, v6, v8, 0x3ecccdef
	v_sub_f32_e32 v5, v6, v5
	v_sub_f32_e32 v14, v7, v5
	v_mul_f32_e32 v5, v6, v8
	v_fma_f32 v7, v6, v8, -v5
	v_fmac_f32_e32 v7, v14, v8
	v_add_f32_e32 v8, v5, v7
	v_add_f32_e32 v9, 0x3f2aaaaa, v8
	v_sub_f32_e32 v5, v8, v5
	v_sub_f32_e32 v5, v7, v5
	v_add_f32_e32 v7, 0xbf2aaaaa, v9
	v_add_f32_e32 v5, 0x31739010, v5
	v_sub_f32_e32 v7, v8, v7
	v_pk_mul_f32 v[10:11], v[4:5], v[6:7]
	v_pk_add_f32 v[12:13], v[4:5], v[6:7]
	v_fma_f32 v8, v6, v4, -v10
	v_fmac_f32_e32 v8, v6, v3
	v_mov_b32_e32 v11, v13
	v_fmac_f32_e32 v8, v14, v4
	v_pk_add_f32 v[6:7], v[10:11], v[8:9]
	v_ldexp_f32 v3, v3, 1
	v_sub_f32_e32 v5, v6, v10
	v_sub_f32_e32 v5, v8, v5
	;; [unrolled: 1-line block ×3, first 2 shown]
	v_add_f32_e32 v11, v13, v8
	v_mov_b32_e32 v8, v7
	v_pk_mul_f32 v[8:9], v[6:7], v[8:9]
	v_cvt_f64_f32_e32 v[12:13], v22
	v_frexp_exp_i32_f64_e32 v9, v[12:13]
	v_subbrev_co_u32_e64 v9, s[4:5], 0, v9, s[4:5]
	v_cvt_f32_i32_e32 v9, v9
	v_fma_f32 v10, v6, v7, -v8
	v_fmac_f32_e32 v10, v6, v11
	s_mov_b32 s4, 0x3f317218
	v_mul_f32_e32 v6, 0x3f317218, v9
	v_fmac_f32_e32 v10, v5, v7
	v_fma_f32 v5, v9, s4, -v6
	v_fmamk_f32 v12, v9, 0xb102e308, v5
	v_ldexp_f32 v13, v4, 1
	v_add_f32_e32 v7, v8, v10
	v_pk_add_f32 v[4:5], v[6:7], v[12:13]
	v_mov_b32_e32 v14, v7
	v_mov_b32_e32 v15, v5
	;; [unrolled: 1-line block ×3, first 2 shown]
	v_pk_add_f32 v[8:9], v[14:15], v[8:9] neg_lo:[0,1] neg_hi:[0,1]
	v_mov_b32_e32 v11, v7
	v_pk_add_f32 v[8:9], v[10:11], v[8:9] neg_lo:[0,1] neg_hi:[0,1]
	v_mov_b32_e32 v13, v4
	v_add_f32_e32 v3, v3, v8
	v_add_f32_e32 v7, v3, v9
	v_pk_add_f32 v[8:9], v[4:5], v[6:7] neg_lo:[0,1] neg_hi:[0,1]
	v_pk_add_f32 v[10:11], v[4:5], v[6:7]
	v_mov_b32_e32 v14, v8
	v_mov_b32_e32 v15, v11
	v_pk_add_f32 v[14:15], v[12:13], v[14:15]
	v_pk_add_f32 v[8:9], v[12:13], v[8:9] neg_lo:[0,1] neg_hi:[0,1]
	v_mov_b32_e32 v6, v15
	v_pk_add_f32 v[16:17], v[6:7], v[4:5] neg_lo:[0,1] neg_hi:[0,1]
	v_mov_b32_e32 v14, v11
	v_mov_b32_e32 v3, v16
	;; [unrolled: 1-line block ×4, first 2 shown]
	v_pk_add_f32 v[18:19], v[10:11], v[2:3] neg_lo:[0,1] neg_hi:[0,1]
	v_pk_add_f32 v[4:5], v[14:15], v[4:5] neg_lo:[0,1] neg_hi:[0,1]
	v_mov_b32_e32 v12, v7
	v_pk_add_f32 v[4:5], v[12:13], v[4:5] neg_lo:[0,1] neg_hi:[0,1]
	v_mov_b32_e32 v18, v8
	v_pk_add_f32 v[10:11], v[18:19], v[4:5]
	v_mov_b32_e32 v9, v15
	v_mov_b32_e32 v12, v11
	v_pk_add_f32 v[12:13], v[10:11], v[12:13]
	v_cndmask_b32_e64 v2, v2, 1.0, s[0:1]
	v_pk_add_f32 v[6:7], v[6:7], v[12:13]
	v_mov_b32_e32 v5, v12
	v_mov_b32_e32 v11, v6
	v_pk_add_f32 v[14:15], v[10:11], v[8:9] neg_lo:[0,1] neg_hi:[0,1]
	s_nop 0
	v_sub_f32_e32 v3, v10, v14
	v_pk_add_f32 v[4:5], v[4:5], v[14:15] neg_lo:[0,1] neg_hi:[0,1]
	v_sub_f32_e32 v3, v8, v3
	v_add_f32_e32 v3, v4, v3
	v_add_f32_e32 v3, v3, v5
	;; [unrolled: 1-line block ×3, first 2 shown]
	v_sub_f32_e32 v5, v4, v6
	v_sub_f32_e32 v3, v3, v5
	v_mul_f32_e32 v5, v21, v4
	v_fma_f32 v4, v21, v4, -v5
	v_fmac_f32_e32 v4, v21, v3
	v_add_f32_e32 v3, v5, v4
	v_cmp_class_f32_e64 s[4:5], v5, s6
	v_sub_f32_e32 v6, v3, v5
	v_sub_f32_e32 v4, v4, v6
	v_cndmask_b32_e64 v3, v3, v5, s[4:5]
	v_mov_b32_e32 v5, 0x37000000
	v_cmp_eq_f32_e64 s[4:5], s17, v3
	s_nop 1
	v_cndmask_b32_e64 v5, 0, v5, s[4:5]
	v_sub_f32_e32 v6, v3, v5
	s_mov_b32 s4, 0x3fb8aa3b
	v_mul_f32_e32 v7, 0x3fb8aa3b, v6
	v_fma_f32 v8, v6, s4, -v7
	v_rndne_f32_e32 v9, v7
	v_fmamk_f32 v8, v6, 0x32a5705f, v8
	v_sub_f32_e32 v7, v7, v9
	v_add_f32_e32 v7, v7, v8
	v_exp_f32_e32 v7, v7
	v_cvt_i32_f32_e32 v8, v9
	v_cmp_neq_f32_e64 s[4:5], |v3|, s7
	s_nop 1
	v_cndmask_b32_e64 v3, 0, v4, s[4:5]
	s_mov_b32 s4, 0xc2ce8ed0
	v_ldexp_f32 v4, v7, v8
	v_cmp_ngt_f32_e64 s[4:5], s4, v6
	v_add_f32_e32 v3, v5, v3
	v_mov_b32_e32 v5, 0x7f800000
	v_cndmask_b32_e64 v4, 0, v4, s[4:5]
	v_cmp_nlt_f32_e64 s[4:5], s17, v6
	s_brev_b32 s17, -2
	v_mov_b32_e32 v6, 0x7fc00000
	v_cndmask_b32_e64 v4, v5, v4, s[4:5]
	v_fma_f32 v3, v4, v3, v4
	v_cmp_class_f32_e64 s[4:5], v4, s6
	s_nop 1
	v_cndmask_b32_e64 v3, v3, v4, s[4:5]
	v_trunc_f32_e32 v4, v21
	v_cmp_eq_f32_e64 s[0:1], v4, v21
	v_mul_f32_e32 v4, 0.5, v21
	v_trunc_f32_e32 v7, v4
	v_cmp_neq_f32_e64 s[4:5], v7, v4
	s_and_b64 s[4:5], s[0:1], s[4:5]
	s_nop 0
	v_cndmask_b32_e64 v4, 1.0, v2, s[4:5]
	v_bfi_b32 v3, s17, v3, v4
	v_cndmask_b32_e64 v4, v6, v3, s[0:1]
	v_cmp_gt_f32_e64 s[0:1], 0, v2
	s_nop 1
	v_cndmask_b32_e64 v3, v3, v4, s[0:1]
	v_cndmask_b32_e64 v4, |v20|, 1.0, vcc
	v_cmp_neq_f32_e32 vcc, v21, v4
	v_cmp_gt_f32_e64 s[0:1], 1.0, v22
	s_xor_b64 s[0:1], vcc, s[0:1]
	v_cmp_eq_f32_e32 vcc, 1.0, v22
	v_cndmask_b32_e64 v7, v4, 0, s[0:1]
	v_cmp_eq_f32_e64 s[0:1], 0, v2
	v_cndmask_b32_e32 v7, v7, v22, vcc
	v_cmp_eq_f32_e32 vcc, s7, v4
	s_nop 1
	v_cndmask_b32_e32 v3, v3, v7, vcc
	v_cmp_eq_f32_e32 vcc, s7, v22
	v_cmp_gt_f32_e64 s[6:7], 0, v21
	s_xor_b64 s[6:7], s[6:7], s[0:1]
	s_or_b64 vcc, vcc, s[0:1]
	v_cndmask_b32_e64 v4, v5, 0, s[6:7]
	v_cndmask_b32_e64 v5, 0, v2, s[4:5]
	v_bfi_b32 v4, s17, v4, v5
	v_cndmask_b32_e32 v3, v3, v4, vcc
	v_cmp_o_f32_e32 vcc, v2, v21
	s_nop 1
	v_cndmask_b32_e32 v2, v6, v3, vcc
	v_mov_b32_e32 v3, 0
	ds_write_b32 v3, v2
.LBB260_22:
	s_or_b64 exec, exec, s[8:9]
	s_waitcnt lgkmcnt(0)
	v_mov_b32_e32 v2, 0
	s_barrier
	ds_read_b32 v2, v2
	s_waitcnt lgkmcnt(0)
	v_cmp_nlt_f32_e32 vcc, s22, v2
	s_cbranch_vccnz .LBB260_27
; %bb.23:
	s_and_saveexec_b64 s[0:1], s[2:3]
	s_cbranch_execz .LBB260_26
; %bb.24:
	s_mov_b32 s2, 0x9abcaf48
	v_cvt_f64_f32_e32 v[2:3], v2
	s_mov_b32 s3, 0x3e7ad7f2
	v_cvt_f64_f32_e32 v[4:5], s22
	v_add_f64 v[2:3], v[2:3], s[2:3]
	v_div_scale_f64 v[6:7], s[2:3], v[2:3], v[2:3], v[4:5]
	v_rcp_f64_e32 v[8:9], v[6:7]
	s_and_b32 s6, s16, 0xffff
	s_lshl_b64 s[2:3], s[14:15], 1
	s_add_u32 s2, s20, s2
	v_fma_f64 v[10:11], -v[6:7], v[8:9], 1.0
	v_fmac_f64_e32 v[8:9], v[8:9], v[10:11]
	v_fma_f64 v[10:11], -v[6:7], v[8:9], 1.0
	v_fmac_f64_e32 v[8:9], v[8:9], v[10:11]
	v_div_scale_f64 v[10:11], vcc, v[4:5], v[2:3], v[4:5]
	v_mul_f64 v[12:13], v[10:11], v[8:9]
	v_fma_f64 v[6:7], -v[6:7], v[12:13], v[10:11]
	s_addc_u32 s3, s21, s3
	s_nop 0
	v_div_fmas_f64 v[6:7], v[6:7], v[8:9], v[12:13]
	v_div_fixup_f64 v[2:3], v[6:7], v[2:3], v[4:5]
	v_cvt_f32_f64_e32 v2, v[2:3]
	v_cvt_f16_f32_e32 v4, v2
	v_add_u32_e32 v2, s6, v0
	s_mov_b64 s[4:5], 0
.LBB260_25:                             ; =>This Inner Loop Header: Depth=1
	v_mul_lo_u32 v3, v1, s18
	v_mul_lo_u32 v5, v0, s19
	v_mad_u64_u32 v[0:1], s[8:9], v0, s18, 0
	v_add3_u32 v1, v1, v5, v3
	v_lshl_add_u64 v[6:7], v[0:1], 1, s[2:3]
	global_load_ushort v5, v[6:7], off
	v_ashrrev_i32_e32 v3, 31, v2
	v_cmp_le_i64_e32 vcc, s[12:13], v[2:3]
	v_mov_b64_e32 v[0:1], v[2:3]
	v_add_u32_e32 v2, s6, v2
	s_or_b64 s[4:5], vcc, s[4:5]
	s_waitcnt vmcnt(0)
	v_mul_f16_e32 v3, v5, v4
	global_store_short v[6:7], v3, off
	s_andn2_b64 exec, exec, s[4:5]
	s_cbranch_execnz .LBB260_25
.LBB260_26:
	s_or_b64 exec, exec, s[0:1]
.LBB260_27:
	s_and_b64 vcc, exec, s[10:11]
	s_cbranch_vccnz .LBB260_31
.LBB260_28:
	s_endpgm
.LBB260_29:
	v_lshl_add_u32 v2, v9, 2, 0
	ds_read_b32 v2, v2
	s_or_b64 exec, exec, s[0:1]
	v_cmp_gt_u32_e32 vcc, 64, v0
	s_and_saveexec_b64 s[0:1], vcc
	s_cbranch_execz .LBB260_20
.LBB260_30:
	s_waitcnt lgkmcnt(0)
	ds_bpermute_b32 v3, v3, v2
	s_waitcnt lgkmcnt(0)
	v_add_f32_e32 v2, v2, v3
	ds_bpermute_b32 v3, v4, v2
	s_waitcnt lgkmcnt(0)
	v_add_f32_e32 v2, v2, v3
	;; [unrolled: 3-line block ×6, first 2 shown]
	s_or_b64 exec, exec, s[0:1]
	v_cmp_eq_u32_e32 vcc, 0, v0
	s_and_saveexec_b64 s[8:9], vcc
	s_cbranch_execnz .LBB260_21
	s_branch .LBB260_22
.LBB260_31:
	s_trap 2
	; divergent unreachable
	s_endpgm
	.section	.rodata,"a",@progbits
	.p2align	6, 0x0
	.amdhsa_kernel _ZN2at6native12_GLOBAL__N_113renorm_kernelIN3c104HalfEfKlEEvPT_PT1_T0_SA_llllPS5_
		.amdhsa_group_segment_fixed_size 0
		.amdhsa_private_segment_fixed_size 0
		.amdhsa_kernarg_size 320
		.amdhsa_user_sgpr_count 2
		.amdhsa_user_sgpr_dispatch_ptr 0
		.amdhsa_user_sgpr_queue_ptr 0
		.amdhsa_user_sgpr_kernarg_segment_ptr 1
		.amdhsa_user_sgpr_dispatch_id 0
		.amdhsa_user_sgpr_kernarg_preload_length 0
		.amdhsa_user_sgpr_kernarg_preload_offset 0
		.amdhsa_user_sgpr_private_segment_size 0
		.amdhsa_uses_dynamic_stack 0
		.amdhsa_enable_private_segment 0
		.amdhsa_system_sgpr_workgroup_id_x 1
		.amdhsa_system_sgpr_workgroup_id_y 0
		.amdhsa_system_sgpr_workgroup_id_z 0
		.amdhsa_system_sgpr_workgroup_info 0
		.amdhsa_system_vgpr_workitem_id 0
		.amdhsa_next_free_vgpr 29
		.amdhsa_next_free_sgpr 42
		.amdhsa_accum_offset 32
		.amdhsa_reserve_vcc 1
		.amdhsa_float_round_mode_32 0
		.amdhsa_float_round_mode_16_64 0
		.amdhsa_float_denorm_mode_32 3
		.amdhsa_float_denorm_mode_16_64 3
		.amdhsa_dx10_clamp 1
		.amdhsa_ieee_mode 1
		.amdhsa_fp16_overflow 0
		.amdhsa_tg_split 0
		.amdhsa_exception_fp_ieee_invalid_op 0
		.amdhsa_exception_fp_denorm_src 0
		.amdhsa_exception_fp_ieee_div_zero 0
		.amdhsa_exception_fp_ieee_overflow 0
		.amdhsa_exception_fp_ieee_underflow 0
		.amdhsa_exception_fp_ieee_inexact 0
		.amdhsa_exception_int_div_zero 0
	.end_amdhsa_kernel
	.section	.text._ZN2at6native12_GLOBAL__N_113renorm_kernelIN3c104HalfEfKlEEvPT_PT1_T0_SA_llllPS5_,"axG",@progbits,_ZN2at6native12_GLOBAL__N_113renorm_kernelIN3c104HalfEfKlEEvPT_PT1_T0_SA_llllPS5_,comdat
.Lfunc_end260:
	.size	_ZN2at6native12_GLOBAL__N_113renorm_kernelIN3c104HalfEfKlEEvPT_PT1_T0_SA_llllPS5_, .Lfunc_end260-_ZN2at6native12_GLOBAL__N_113renorm_kernelIN3c104HalfEfKlEEvPT_PT1_T0_SA_llllPS5_
                                        ; -- End function
	.section	.AMDGPU.csdata,"",@progbits
; Kernel info:
; codeLenInByte = 3660
; NumSgprs: 48
; NumVgprs: 29
; NumAgprs: 0
; TotalNumVgprs: 29
; ScratchSize: 0
; MemoryBound: 0
; FloatMode: 240
; IeeeMode: 1
; LDSByteSize: 0 bytes/workgroup (compile time only)
; SGPRBlocks: 5
; VGPRBlocks: 3
; NumSGPRsForWavesPerEU: 48
; NumVGPRsForWavesPerEU: 29
; AccumOffset: 32
; Occupancy: 8
; WaveLimiterHint : 1
; COMPUTE_PGM_RSRC2:SCRATCH_EN: 0
; COMPUTE_PGM_RSRC2:USER_SGPR: 2
; COMPUTE_PGM_RSRC2:TRAP_HANDLER: 0
; COMPUTE_PGM_RSRC2:TGID_X_EN: 1
; COMPUTE_PGM_RSRC2:TGID_Y_EN: 0
; COMPUTE_PGM_RSRC2:TGID_Z_EN: 0
; COMPUTE_PGM_RSRC2:TIDIG_COMP_CNT: 0
; COMPUTE_PGM_RSRC3_GFX90A:ACCUM_OFFSET: 7
; COMPUTE_PGM_RSRC3_GFX90A:TG_SPLIT: 0
	.section	.text._ZN2at6native12_GLOBAL__N_113renorm_kernelIN3c108BFloat16EfKlEEvPT_PT1_T0_SA_llllPS5_,"axG",@progbits,_ZN2at6native12_GLOBAL__N_113renorm_kernelIN3c108BFloat16EfKlEEvPT_PT1_T0_SA_llllPS5_,comdat
	.globl	_ZN2at6native12_GLOBAL__N_113renorm_kernelIN3c108BFloat16EfKlEEvPT_PT1_T0_SA_llllPS5_ ; -- Begin function _ZN2at6native12_GLOBAL__N_113renorm_kernelIN3c108BFloat16EfKlEEvPT_PT1_T0_SA_llllPS5_
	.p2align	8
	.type	_ZN2at6native12_GLOBAL__N_113renorm_kernelIN3c108BFloat16EfKlEEvPT_PT1_T0_SA_llllPS5_,@function
_ZN2at6native12_GLOBAL__N_113renorm_kernelIN3c108BFloat16EfKlEEvPT_PT1_T0_SA_llllPS5_: ; @_ZN2at6native12_GLOBAL__N_113renorm_kernelIN3c108BFloat16EfKlEEvPT_PT1_T0_SA_llllPS5_
; %bb.0:
	s_load_dwordx2 s[4:5], s[0:1], 0x38
	s_mov_b32 s3, 0
	v_mov_b64_e32 v[2:3], s[2:3]
	s_waitcnt lgkmcnt(0)
	s_load_dwordx2 s[4:5], s[4:5], 0x0
	s_waitcnt lgkmcnt(0)
	v_cmp_le_i64_e32 vcc, s[4:5], v[2:3]
	s_cbranch_vccnz .LBB261_16
; %bb.1:
	s_load_dwordx4 s[20:23], s[0:1], 0x0
	s_lshl_b64 s[2:3], s[2:3], 3
	s_waitcnt lgkmcnt(0)
	s_add_u32 s2, s22, s2
	s_addc_u32 s3, s23, s3
	s_load_dwordx2 s[2:3], s[2:3], 0x0
	s_waitcnt lgkmcnt(0)
	v_cmp_lt_i64_e64 s[4:5], s[2:3], 0
	s_and_b64 vcc, exec, s[4:5]
	s_cbranch_vccnz .LBB261_14
; %bb.2:
	s_load_dwordx8 s[12:19], s[0:1], 0x18
	s_getpc_b64 s[4:5]
	s_add_u32 s4, s4, .str.2@rel32@lo+4
	s_addc_u32 s5, s5, .str.2@rel32@hi+12
	s_cmp_eq_u64 s[4:5], 0
	s_cselect_b64 s[4:5], -1, 0
	s_waitcnt lgkmcnt(0)
	v_mov_b32_e32 v2, s14
	v_mov_b32_e32 v3, s15
	v_cmp_ge_i64_e32 vcc, s[2:3], v[2:3]
	s_or_b64 s[10:11], s[4:5], vcc
	s_andn2_b64 vcc, exec, s[10:11]
	s_cbranch_vccz .LBB261_15
; %bb.3:
	s_load_dwordx2 s[22:23], s[0:1], 0x10
	s_mul_i32 s4, s2, s17
	s_mul_hi_u32 s5, s2, s16
	s_add_i32 s4, s5, s4
	s_mul_i32 s3, s3, s16
	v_mov_b32_e32 v1, 0
	s_add_i32 s15, s4, s3
	s_mul_i32 s14, s2, s16
	v_cmp_le_i64_e64 s[2:3], s[12:13], v[0:1]
	v_cmp_gt_i64_e32 vcc, s[12:13], v[0:1]
	v_mov_b32_e32 v6, v1
	s_and_saveexec_b64 s[16:17], vcc
	s_cbranch_execz .LBB261_18
; %bb.4:
	s_load_dword s6, s[0:1], 0x4c
	s_lshl_b64 s[4:5], s[14:15], 1
	s_add_u32 s24, s20, s4
	s_addc_u32 s25, s21, s5
	s_waitcnt lgkmcnt(0)
	v_cmp_neq_f32_e64 s[26:27], s23, 1.0
	s_and_b32 s33, s6, 0xffff
	v_cmp_neq_f32_e64 s[28:29], s23, 2.0
	v_add_u32_e32 v2, s33, v0
	s_mov_b64 s[30:31], 0
	v_mov_b32_e32 v6, 0
	s_mov_b32 s34, 0x3f2aaaab
	v_mov_b32_e32 v7, 0x3e91f4c4
	s_mov_b32 s35, 0x3f317218
	s_movk_i32 s36, 0x204
	s_mov_b32 s37, 0x7f800000
	s_mov_b32 s38, 0x42b17218
	;; [unrolled: 1-line block ×4, first 2 shown]
	s_brev_b32 s41, -2
	v_mov_b32_e32 v8, 0x37000000
	v_mov_b32_e32 v9, 0x7f800000
	;; [unrolled: 1-line block ×3, first 2 shown]
	v_mov_b64_e32 v[4:5], v[0:1]
                                        ; implicit-def: $vgpr3
	s_branch .LBB261_6
.LBB261_5:                              ;   in Loop: Header=BB261_6 Depth=1
	v_ashrrev_i32_e32 v3, 31, v2
	v_cmp_le_i64_e32 vcc, s[12:13], v[2:3]
	v_add_f32_e32 v6, v6, v4
	v_mov_b64_e32 v[4:5], v[2:3]
	s_or_b64 s[30:31], vcc, s[30:31]
	v_add_u32_e32 v2, s33, v2
	s_andn2_b64 exec, exec, s[30:31]
	s_cbranch_execz .LBB261_17
.LBB261_6:                              ; =>This Inner Loop Header: Depth=1
	v_mul_lo_u32 v3, v5, s18
	v_mul_lo_u32 v11, v4, s19
	v_mad_u64_u32 v[4:5], s[4:5], v4, s18, 0
	v_add3_u32 v5, v5, v11, v3
	v_lshl_add_u64 v[4:5], v[4:5], 1, s[24:25]
	global_load_ushort v3, v[4:5], off
	s_and_b64 vcc, exec, s[26:27]
	s_waitcnt vmcnt(0)
	v_lshlrev_b32_e32 v3, 16, v3
	s_cbranch_vccz .LBB261_11
; %bb.7:                                ;   in Loop: Header=BB261_6 Depth=1
	s_and_b64 vcc, exec, s[28:29]
	s_cbranch_vccz .LBB261_13
; %bb.8:                                ;   in Loop: Header=BB261_6 Depth=1
	v_mov_b32_e32 v26, s23
	v_cmp_eq_f32_e32 vcc, 1.0, v3
	s_nop 1
	v_cndmask_b32_e64 v27, v26, 1.0, vcc
	v_cmp_eq_f32_e64 s[4:5], 0, v27
	v_cmp_gt_f32_e64 s[8:9], 0, v27
	s_nop 0
	v_cndmask_b32_e64 v28, |v3|, 1.0, s[4:5]
	v_frexp_mant_f32_e32 v4, v28
	v_cmp_gt_f32_e64 s[6:7], s34, v4
	s_nop 1
	v_cndmask_b32_e64 v5, 1.0, 2.0, s[6:7]
	v_mul_f32_e32 v4, v4, v5
	v_add_f32_e32 v11, 1.0, v4
	v_rcp_f32_e32 v18, v11
	v_add_f32_e32 v5, -1.0, v11
	v_sub_f32_e32 v13, v4, v5
	v_add_f32_e32 v5, -1.0, v4
	v_mul_f32_e32 v19, v5, v18
	v_mul_f32_e32 v12, v11, v19
	v_fma_f32 v14, v19, v11, -v12
	v_fmac_f32_e32 v14, v19, v13
	v_add_f32_e32 v4, v12, v14
	v_sub_f32_e32 v13, v5, v4
	v_pk_add_f32 v[16:17], v[4:5], v[12:13] neg_lo:[0,1] neg_hi:[0,1]
	v_mov_b32_e32 v15, v4
	v_pk_add_f32 v[4:5], v[16:17], v[14:15] neg_lo:[0,1] neg_hi:[0,1]
	s_nop 0
	v_add_f32_e32 v4, v4, v5
	v_add_f32_e32 v4, v13, v4
	v_mul_f32_e32 v5, v18, v4
	v_add_f32_e32 v4, v19, v5
	v_sub_f32_e32 v11, v4, v19
	v_sub_f32_e32 v11, v5, v11
	v_mul_f32_e32 v5, v4, v4
	v_fma_f32 v13, v4, v4, -v5
	v_add_f32_e32 v12, v11, v11
	v_fmac_f32_e32 v13, v4, v12
	v_add_f32_e32 v12, v5, v13
	v_fmamk_f32 v14, v12, 0x3e76c4e1, v7
	v_fmaak_f32 v14, v12, v14, 0x3ecccdef
	v_sub_f32_e32 v5, v12, v5
	v_sub_f32_e32 v20, v13, v5
	v_mul_f32_e32 v5, v12, v14
	v_fma_f32 v13, v12, v14, -v5
	v_fmac_f32_e32 v13, v20, v14
	v_add_f32_e32 v14, v5, v13
	v_add_f32_e32 v15, 0x3f2aaaaa, v14
	v_sub_f32_e32 v5, v14, v5
	v_sub_f32_e32 v5, v13, v5
	v_add_f32_e32 v13, 0xbf2aaaaa, v15
	v_add_f32_e32 v5, 0x31739010, v5
	v_sub_f32_e32 v13, v14, v13
	v_pk_mul_f32 v[16:17], v[4:5], v[12:13]
	v_pk_add_f32 v[18:19], v[4:5], v[12:13]
	v_fma_f32 v14, v12, v4, -v16
	v_fmac_f32_e32 v14, v12, v11
	v_mov_b32_e32 v17, v19
	v_fmac_f32_e32 v14, v20, v4
	v_pk_add_f32 v[12:13], v[16:17], v[14:15]
	v_ldexp_f32 v11, v11, 1
	v_sub_f32_e32 v5, v12, v16
	v_sub_f32_e32 v5, v14, v5
	;; [unrolled: 1-line block ×3, first 2 shown]
	v_add_f32_e32 v18, v19, v14
	v_mov_b32_e32 v14, v13
	v_pk_mul_f32 v[14:15], v[12:13], v[14:15]
	v_cvt_f64_f32_e32 v[16:17], v28
	v_frexp_exp_i32_f64_e32 v15, v[16:17]
	v_subbrev_co_u32_e64 v15, s[6:7], 0, v15, s[6:7]
	v_cvt_f32_i32_e32 v15, v15
	v_fma_f32 v16, v12, v13, -v14
	v_fmac_f32_e32 v16, v12, v18
	v_fmac_f32_e32 v16, v5, v13
	v_mul_f32_e32 v12, 0x3f317218, v15
	v_fma_f32 v18, v15, s35, -v12
	v_fmac_f32_e32 v18, 0xb102e308, v15
	v_ldexp_f32 v19, v4, 1
	v_add_f32_e32 v13, v14, v16
	v_pk_add_f32 v[4:5], v[12:13], v[18:19]
	v_mov_b32_e32 v20, v13
	v_mov_b32_e32 v21, v5
	;; [unrolled: 1-line block ×3, first 2 shown]
	v_pk_add_f32 v[14:15], v[20:21], v[14:15] neg_lo:[0,1] neg_hi:[0,1]
	v_mov_b32_e32 v17, v13
	v_pk_add_f32 v[14:15], v[16:17], v[14:15] neg_lo:[0,1] neg_hi:[0,1]
	v_mov_b32_e32 v19, v4
	v_add_f32_e32 v11, v11, v14
	v_add_f32_e32 v13, v11, v15
	v_pk_add_f32 v[14:15], v[4:5], v[12:13] neg_lo:[0,1] neg_hi:[0,1]
	v_pk_add_f32 v[16:17], v[4:5], v[12:13]
	v_mov_b32_e32 v20, v14
	v_mov_b32_e32 v21, v17
	v_pk_add_f32 v[20:21], v[18:19], v[20:21]
	v_pk_add_f32 v[14:15], v[18:19], v[14:15] neg_lo:[0,1] neg_hi:[0,1]
	v_mov_b32_e32 v12, v21
	v_pk_add_f32 v[22:23], v[12:13], v[4:5] neg_lo:[0,1] neg_hi:[0,1]
	v_mov_b32_e32 v20, v17
	v_mov_b32_e32 v11, v22
	;; [unrolled: 1-line block ×4, first 2 shown]
	v_pk_add_f32 v[24:25], v[16:17], v[10:11] neg_lo:[0,1] neg_hi:[0,1]
	v_pk_add_f32 v[4:5], v[20:21], v[4:5] neg_lo:[0,1] neg_hi:[0,1]
	v_mov_b32_e32 v18, v13
	v_pk_add_f32 v[4:5], v[18:19], v[4:5] neg_lo:[0,1] neg_hi:[0,1]
	v_mov_b32_e32 v24, v14
	v_pk_add_f32 v[16:17], v[24:25], v[4:5]
	v_mov_b32_e32 v15, v21
	v_mov_b32_e32 v18, v17
	v_pk_add_f32 v[18:19], v[16:17], v[18:19]
	s_nop 0
	v_pk_add_f32 v[12:13], v[12:13], v[18:19]
	v_mov_b32_e32 v5, v18
	v_mov_b32_e32 v17, v12
	v_pk_add_f32 v[20:21], v[16:17], v[14:15] neg_lo:[0,1] neg_hi:[0,1]
	s_nop 0
	v_sub_f32_e32 v11, v16, v20
	v_pk_add_f32 v[4:5], v[4:5], v[20:21] neg_lo:[0,1] neg_hi:[0,1]
	v_sub_f32_e32 v11, v14, v11
	v_add_f32_e32 v4, v4, v11
	v_add_f32_e32 v4, v4, v5
	;; [unrolled: 1-line block ×3, first 2 shown]
	v_sub_f32_e32 v11, v5, v12
	v_sub_f32_e32 v4, v4, v11
	v_mul_f32_e32 v11, v27, v5
	v_fma_f32 v5, v27, v5, -v11
	v_fmac_f32_e32 v5, v27, v4
	v_add_f32_e32 v4, v11, v5
	v_cmp_class_f32_e64 s[6:7], v11, s36
	v_sub_f32_e32 v12, v4, v11
	v_sub_f32_e32 v5, v5, v12
	v_cndmask_b32_e64 v4, v4, v11, s[6:7]
	v_cmp_eq_f32_e64 s[6:7], s38, v4
	s_nop 1
	v_cndmask_b32_e64 v11, 0, v8, s[6:7]
	v_sub_f32_e32 v12, v4, v11
	v_mul_f32_e32 v13, 0x3fb8aa3b, v12
	v_fma_f32 v14, v12, s39, -v13
	v_rndne_f32_e32 v15, v13
	v_fmac_f32_e32 v14, 0x32a5705f, v12
	v_sub_f32_e32 v13, v13, v15
	v_add_f32_e32 v13, v13, v14
	v_exp_f32_e32 v13, v13
	v_cvt_i32_f32_e32 v14, v15
	v_cmp_neq_f32_e64 s[6:7], |v4|, s37
	s_nop 1
	v_cndmask_b32_e64 v4, 0, v5, s[6:7]
	v_ldexp_f32 v5, v13, v14
	v_cmp_ngt_f32_e64 s[6:7], s40, v12
	v_add_f32_e32 v4, v11, v4
	v_trunc_f32_e32 v11, v27
	v_cndmask_b32_e64 v5, 0, v5, s[6:7]
	v_cmp_nlt_f32_e64 s[6:7], s38, v12
	s_nop 1
	v_cndmask_b32_e64 v5, v9, v5, s[6:7]
	v_fma_f32 v4, v5, v4, v5
	v_cmp_class_f32_e64 s[6:7], v5, s36
	s_nop 1
	v_cndmask_b32_e64 v4, v4, v5, s[6:7]
	v_cndmask_b32_e64 v5, v3, 1.0, s[4:5]
	v_cmp_eq_f32_e64 s[4:5], v11, v27
	v_mul_f32_e32 v11, 0.5, v27
	v_trunc_f32_e32 v12, v11
	v_cmp_neq_f32_e64 s[6:7], v12, v11
	s_and_b64 s[6:7], s[4:5], s[6:7]
	s_nop 0
	v_cndmask_b32_e64 v11, 1.0, v5, s[6:7]
	v_bfi_b32 v4, s41, v4, v11
	v_cndmask_b32_e64 v11, v10, v4, s[4:5]
	v_cmp_gt_f32_e64 s[4:5], 0, v5
	s_nop 1
	v_cndmask_b32_e64 v4, v4, v11, s[4:5]
	v_cndmask_b32_e64 v11, |v26|, 1.0, vcc
	v_cmp_neq_f32_e32 vcc, v27, v11
	v_cmp_gt_f32_e64 s[4:5], 1.0, v28
	s_xor_b64 s[4:5], vcc, s[4:5]
	v_cmp_eq_f32_e32 vcc, 1.0, v28
	v_cndmask_b32_e64 v12, v11, 0, s[4:5]
	v_cmp_eq_f32_e64 s[4:5], 0, v5
	v_cndmask_b32_e32 v12, v12, v28, vcc
	v_cmp_eq_f32_e32 vcc, s37, v11
	s_xor_b64 s[8:9], s[8:9], s[4:5]
	v_cndmask_b32_e64 v11, v9, 0, s[8:9]
	v_cndmask_b32_e32 v4, v4, v12, vcc
	v_cmp_eq_f32_e32 vcc, s37, v28
	v_cndmask_b32_e64 v12, 0, v5, s[6:7]
	v_bfi_b32 v11, s41, v11, v12
	s_or_b64 vcc, vcc, s[4:5]
	v_cndmask_b32_e32 v4, v4, v11, vcc
	v_cmp_o_f32_e32 vcc, v5, v27
	s_nop 1
	v_cndmask_b32_e32 v4, v10, v4, vcc
	s_cbranch_execnz .LBB261_10
.LBB261_9:                              ;   in Loop: Header=BB261_6 Depth=1
	v_mul_f32_e32 v4, v3, v3
.LBB261_10:                             ;   in Loop: Header=BB261_6 Depth=1
	s_cbranch_execnz .LBB261_5
	s_branch .LBB261_12
.LBB261_11:                             ;   in Loop: Header=BB261_6 Depth=1
                                        ; implicit-def: $vgpr4
.LBB261_12:                             ;   in Loop: Header=BB261_6 Depth=1
	v_and_b32_e32 v4, 0x7fffffff, v3
	s_branch .LBB261_5
.LBB261_13:                             ;   in Loop: Header=BB261_6 Depth=1
                                        ; implicit-def: $vgpr4
	s_branch .LBB261_9
.LBB261_14:
	s_mov_b64 s[10:11], -1
.LBB261_15:
	s_and_b64 vcc, exec, s[10:11]
	s_cbranch_vccnz .LBB261_28
.LBB261_16:
	s_endpgm
.LBB261_17:
	s_or_b64 exec, exec, s[30:31]
.LBB261_18:
	s_or_b64 exec, exec, s[16:17]
	v_mbcnt_lo_u32_b32 v2, -1, 0
	v_mbcnt_hi_u32_b32 v8, -1, v2
	v_and_b32_e32 v10, 63, v8
	v_cmp_gt_u32_e32 vcc, 32, v10
	s_waitcnt lgkmcnt(0)
	s_barrier
	v_cndmask_b32_e64 v2, 0, 1, vcc
	v_lshlrev_b32_e32 v2, 5, v2
	v_add_lshl_u32 v3, v2, v8, 2
	ds_bpermute_b32 v2, v3, v6
	v_cmp_gt_u32_e32 vcc, 48, v10
	s_waitcnt lgkmcnt(0)
	v_add_f32_e32 v2, v6, v2
	v_cndmask_b32_e64 v4, 0, 1, vcc
	v_lshlrev_b32_e32 v4, 4, v4
	v_add_lshl_u32 v4, v4, v8, 2
	ds_bpermute_b32 v5, v4, v2
	v_cmp_gt_u32_e32 vcc, 56, v10
	s_waitcnt lgkmcnt(0)
	v_add_f32_e32 v2, v2, v5
	;; [unrolled: 7-line block ×4, first 2 shown]
	v_cndmask_b32_e64 v9, 0, 1, vcc
	v_lshlrev_b32_e32 v9, 1, v9
	v_add_lshl_u32 v7, v9, v8, 2
	ds_bpermute_b32 v11, v7, v2
	v_cmp_ne_u32_e32 vcc, 63, v10
	v_and_b32_e32 v9, 63, v0
	s_waitcnt lgkmcnt(0)
	v_add_f32_e32 v2, v2, v11
	v_addc_co_u32_e32 v8, vcc, 0, v8, vcc
	v_lshlrev_b32_e32 v8, 2, v8
	ds_bpermute_b32 v10, v8, v2
	v_cmp_eq_u32_e32 vcc, 0, v9
	s_and_saveexec_b64 s[4:5], vcc
	s_cbranch_execz .LBB261_20
; %bb.19:
	s_waitcnt lgkmcnt(0)
	v_add_f32_e32 v2, v2, v10
	v_lshrrev_b32_e32 v10, 4, v0
	v_add_u32_e32 v10, 0, v10
	ds_write_b32 v10, v2
.LBB261_20:
	s_or_b64 exec, exec, s[4:5]
	s_waitcnt lgkmcnt(0)
	s_barrier
	s_load_dword s16, s[0:1], 0x4c
	v_mov_b32_e32 v2, 0
	s_waitcnt lgkmcnt(0)
	s_bfe_u32 s0, s16, 0xa0006
	v_cmp_gt_u32_e32 vcc, s0, v0
	s_and_saveexec_b64 s[0:1], vcc
	s_cbranch_execnz .LBB261_29
; %bb.21:
	s_or_b64 exec, exec, s[0:1]
	v_cmp_gt_u32_e32 vcc, 64, v0
	s_and_saveexec_b64 s[0:1], vcc
	s_cbranch_execnz .LBB261_30
.LBB261_22:
	s_or_b64 exec, exec, s[0:1]
	v_cmp_eq_u32_e32 vcc, 0, v0
	s_and_saveexec_b64 s[8:9], vcc
	s_cbranch_execz .LBB261_24
.LBB261_23:
	v_div_scale_f32 v3, s[0:1], s23, s23, 1.0
	v_rcp_f32_e32 v4, v3
	v_div_scale_f32 v5, vcc, 1.0, s23, 1.0
	s_mov_b32 s4, 0x3f2aaaab
	v_fma_f32 v6, -v3, v4, 1.0
	v_fmac_f32_e32 v4, v6, v4
	v_mul_f32_e32 v6, v5, v4
	v_fma_f32 v7, -v3, v6, v5
	v_fmac_f32_e32 v6, v7, v4
	v_fma_f32 v3, -v3, v6, v5
	v_div_fmas_f32 v3, v3, v4, v6
	v_div_fixup_f32 v20, v3, s23, 1.0
	s_waitcnt lgkmcnt(0)
	v_cmp_eq_f32_e32 vcc, 1.0, v2
	s_movk_i32 s6, 0x204
	s_mov_b32 s17, 0x42b17218
	v_cndmask_b32_e64 v21, v20, 1.0, vcc
	v_cmp_eq_f32_e64 s[0:1], 0, v21
	s_mov_b32 s7, 0x7f800000
	s_nop 0
	v_cndmask_b32_e64 v22, |v2|, 1.0, s[0:1]
	v_frexp_mant_f32_e32 v3, v22
	v_cmp_gt_f32_e64 s[4:5], s4, v3
	s_nop 1
	v_cndmask_b32_e64 v4, 1.0, 2.0, s[4:5]
	v_mul_f32_e32 v3, v3, v4
	v_add_f32_e32 v4, 1.0, v3
	v_rcp_f32_e32 v12, v4
	v_add_f32_e32 v5, -1.0, v4
	v_sub_f32_e32 v7, v3, v5
	v_add_f32_e32 v5, -1.0, v3
	v_mul_f32_e32 v3, v5, v12
	v_mul_f32_e32 v6, v4, v3
	v_fma_f32 v8, v3, v4, -v6
	v_fmac_f32_e32 v8, v3, v7
	v_add_f32_e32 v4, v6, v8
	v_sub_f32_e32 v7, v5, v4
	v_pk_add_f32 v[10:11], v[4:5], v[6:7] neg_lo:[0,1] neg_hi:[0,1]
	v_mov_b32_e32 v9, v4
	v_pk_add_f32 v[4:5], v[10:11], v[8:9] neg_lo:[0,1] neg_hi:[0,1]
	v_mov_b32_e32 v8, 0x3e91f4c4
	v_add_f32_e32 v4, v4, v5
	v_add_f32_e32 v4, v7, v4
	v_mul_f32_e32 v5, v12, v4
	v_add_f32_e32 v4, v3, v5
	v_sub_f32_e32 v3, v4, v3
	v_sub_f32_e32 v3, v5, v3
	v_mul_f32_e32 v5, v4, v4
	v_fma_f32 v7, v4, v4, -v5
	v_add_f32_e32 v6, v3, v3
	v_fmac_f32_e32 v7, v4, v6
	v_add_f32_e32 v6, v5, v7
	v_fmac_f32_e32 v8, 0x3e76c4e1, v6
	v_fmaak_f32 v8, v6, v8, 0x3ecccdef
	v_sub_f32_e32 v5, v6, v5
	v_sub_f32_e32 v14, v7, v5
	v_mul_f32_e32 v5, v6, v8
	v_fma_f32 v7, v6, v8, -v5
	v_fmac_f32_e32 v7, v14, v8
	v_add_f32_e32 v8, v5, v7
	v_add_f32_e32 v9, 0x3f2aaaaa, v8
	v_sub_f32_e32 v5, v8, v5
	v_sub_f32_e32 v5, v7, v5
	v_add_f32_e32 v7, 0xbf2aaaaa, v9
	v_add_f32_e32 v5, 0x31739010, v5
	v_sub_f32_e32 v7, v8, v7
	v_pk_mul_f32 v[10:11], v[4:5], v[6:7]
	v_pk_add_f32 v[12:13], v[4:5], v[6:7]
	v_fma_f32 v8, v6, v4, -v10
	v_fmac_f32_e32 v8, v6, v3
	v_mov_b32_e32 v11, v13
	v_fmac_f32_e32 v8, v14, v4
	v_pk_add_f32 v[6:7], v[10:11], v[8:9]
	v_ldexp_f32 v3, v3, 1
	v_sub_f32_e32 v5, v6, v10
	v_sub_f32_e32 v5, v8, v5
	;; [unrolled: 1-line block ×3, first 2 shown]
	v_add_f32_e32 v11, v13, v8
	v_mov_b32_e32 v8, v7
	v_pk_mul_f32 v[8:9], v[6:7], v[8:9]
	v_cvt_f64_f32_e32 v[12:13], v22
	v_frexp_exp_i32_f64_e32 v9, v[12:13]
	v_subbrev_co_u32_e64 v9, s[4:5], 0, v9, s[4:5]
	v_cvt_f32_i32_e32 v9, v9
	v_fma_f32 v10, v6, v7, -v8
	v_fmac_f32_e32 v10, v6, v11
	s_mov_b32 s4, 0x3f317218
	v_mul_f32_e32 v6, 0x3f317218, v9
	v_fmac_f32_e32 v10, v5, v7
	v_fma_f32 v5, v9, s4, -v6
	v_fmamk_f32 v12, v9, 0xb102e308, v5
	v_ldexp_f32 v13, v4, 1
	v_add_f32_e32 v7, v8, v10
	v_pk_add_f32 v[4:5], v[6:7], v[12:13]
	v_mov_b32_e32 v14, v7
	v_mov_b32_e32 v15, v5
	;; [unrolled: 1-line block ×3, first 2 shown]
	v_pk_add_f32 v[8:9], v[14:15], v[8:9] neg_lo:[0,1] neg_hi:[0,1]
	v_mov_b32_e32 v11, v7
	v_pk_add_f32 v[8:9], v[10:11], v[8:9] neg_lo:[0,1] neg_hi:[0,1]
	v_mov_b32_e32 v13, v4
	v_add_f32_e32 v3, v3, v8
	v_add_f32_e32 v7, v3, v9
	v_pk_add_f32 v[8:9], v[4:5], v[6:7] neg_lo:[0,1] neg_hi:[0,1]
	v_pk_add_f32 v[10:11], v[4:5], v[6:7]
	v_mov_b32_e32 v14, v8
	v_mov_b32_e32 v15, v11
	v_pk_add_f32 v[14:15], v[12:13], v[14:15]
	v_pk_add_f32 v[8:9], v[12:13], v[8:9] neg_lo:[0,1] neg_hi:[0,1]
	v_mov_b32_e32 v6, v15
	v_pk_add_f32 v[16:17], v[6:7], v[4:5] neg_lo:[0,1] neg_hi:[0,1]
	v_mov_b32_e32 v14, v11
	v_mov_b32_e32 v3, v16
	;; [unrolled: 1-line block ×4, first 2 shown]
	v_pk_add_f32 v[18:19], v[10:11], v[2:3] neg_lo:[0,1] neg_hi:[0,1]
	v_pk_add_f32 v[4:5], v[14:15], v[4:5] neg_lo:[0,1] neg_hi:[0,1]
	v_mov_b32_e32 v12, v7
	v_pk_add_f32 v[4:5], v[12:13], v[4:5] neg_lo:[0,1] neg_hi:[0,1]
	v_mov_b32_e32 v18, v8
	v_pk_add_f32 v[10:11], v[18:19], v[4:5]
	v_mov_b32_e32 v9, v15
	v_mov_b32_e32 v12, v11
	v_pk_add_f32 v[12:13], v[10:11], v[12:13]
	v_cndmask_b32_e64 v2, v2, 1.0, s[0:1]
	v_pk_add_f32 v[6:7], v[6:7], v[12:13]
	v_mov_b32_e32 v5, v12
	v_mov_b32_e32 v11, v6
	v_pk_add_f32 v[14:15], v[10:11], v[8:9] neg_lo:[0,1] neg_hi:[0,1]
	s_nop 0
	v_sub_f32_e32 v3, v10, v14
	v_pk_add_f32 v[4:5], v[4:5], v[14:15] neg_lo:[0,1] neg_hi:[0,1]
	v_sub_f32_e32 v3, v8, v3
	v_add_f32_e32 v3, v4, v3
	v_add_f32_e32 v3, v3, v5
	;; [unrolled: 1-line block ×3, first 2 shown]
	v_sub_f32_e32 v5, v4, v6
	v_sub_f32_e32 v3, v3, v5
	v_mul_f32_e32 v5, v21, v4
	v_fma_f32 v4, v21, v4, -v5
	v_fmac_f32_e32 v4, v21, v3
	v_add_f32_e32 v3, v5, v4
	v_cmp_class_f32_e64 s[4:5], v5, s6
	v_sub_f32_e32 v6, v3, v5
	v_sub_f32_e32 v4, v4, v6
	v_cndmask_b32_e64 v3, v3, v5, s[4:5]
	v_mov_b32_e32 v5, 0x37000000
	v_cmp_eq_f32_e64 s[4:5], s17, v3
	s_nop 1
	v_cndmask_b32_e64 v5, 0, v5, s[4:5]
	v_sub_f32_e32 v6, v3, v5
	s_mov_b32 s4, 0x3fb8aa3b
	v_mul_f32_e32 v7, 0x3fb8aa3b, v6
	v_fma_f32 v8, v6, s4, -v7
	v_rndne_f32_e32 v9, v7
	v_fmamk_f32 v8, v6, 0x32a5705f, v8
	v_sub_f32_e32 v7, v7, v9
	v_add_f32_e32 v7, v7, v8
	v_exp_f32_e32 v7, v7
	v_cvt_i32_f32_e32 v8, v9
	v_cmp_neq_f32_e64 s[4:5], |v3|, s7
	s_nop 1
	v_cndmask_b32_e64 v3, 0, v4, s[4:5]
	s_mov_b32 s4, 0xc2ce8ed0
	v_ldexp_f32 v4, v7, v8
	v_cmp_ngt_f32_e64 s[4:5], s4, v6
	v_add_f32_e32 v3, v5, v3
	v_mov_b32_e32 v5, 0x7f800000
	v_cndmask_b32_e64 v4, 0, v4, s[4:5]
	v_cmp_nlt_f32_e64 s[4:5], s17, v6
	s_brev_b32 s17, -2
	v_mov_b32_e32 v6, 0x7fc00000
	v_cndmask_b32_e64 v4, v5, v4, s[4:5]
	v_fma_f32 v3, v4, v3, v4
	v_cmp_class_f32_e64 s[4:5], v4, s6
	s_nop 1
	v_cndmask_b32_e64 v3, v3, v4, s[4:5]
	v_trunc_f32_e32 v4, v21
	v_cmp_eq_f32_e64 s[0:1], v4, v21
	v_mul_f32_e32 v4, 0.5, v21
	v_trunc_f32_e32 v7, v4
	v_cmp_neq_f32_e64 s[4:5], v7, v4
	s_and_b64 s[4:5], s[0:1], s[4:5]
	s_nop 0
	v_cndmask_b32_e64 v4, 1.0, v2, s[4:5]
	v_bfi_b32 v3, s17, v3, v4
	v_cndmask_b32_e64 v4, v6, v3, s[0:1]
	v_cmp_gt_f32_e64 s[0:1], 0, v2
	s_nop 1
	v_cndmask_b32_e64 v3, v3, v4, s[0:1]
	v_cndmask_b32_e64 v4, |v20|, 1.0, vcc
	v_cmp_neq_f32_e32 vcc, v21, v4
	v_cmp_gt_f32_e64 s[0:1], 1.0, v22
	s_xor_b64 s[0:1], vcc, s[0:1]
	v_cmp_eq_f32_e32 vcc, 1.0, v22
	v_cndmask_b32_e64 v7, v4, 0, s[0:1]
	v_cmp_eq_f32_e64 s[0:1], 0, v2
	v_cndmask_b32_e32 v7, v7, v22, vcc
	v_cmp_eq_f32_e32 vcc, s7, v4
	s_nop 1
	v_cndmask_b32_e32 v3, v3, v7, vcc
	v_cmp_eq_f32_e32 vcc, s7, v22
	v_cmp_gt_f32_e64 s[6:7], 0, v21
	s_xor_b64 s[6:7], s[6:7], s[0:1]
	s_or_b64 vcc, vcc, s[0:1]
	v_cndmask_b32_e64 v4, v5, 0, s[6:7]
	v_cndmask_b32_e64 v5, 0, v2, s[4:5]
	v_bfi_b32 v4, s17, v4, v5
	v_cndmask_b32_e32 v3, v3, v4, vcc
	v_cmp_o_f32_e32 vcc, v2, v21
	s_nop 1
	v_cndmask_b32_e32 v2, v6, v3, vcc
	v_mov_b32_e32 v3, 0
	ds_write_b32 v3, v2
.LBB261_24:
	s_or_b64 exec, exec, s[8:9]
	s_waitcnt lgkmcnt(0)
	v_mov_b32_e32 v2, 0
	s_barrier
	ds_read_b32 v2, v2
	s_xor_b64 s[0:1], s[2:3], -1
	s_waitcnt lgkmcnt(0)
	v_cmp_lt_f32_e32 vcc, s22, v2
	s_and_b64 s[2:3], vcc, s[0:1]
	s_and_saveexec_b64 s[0:1], s[2:3]
	s_cbranch_execz .LBB261_27
; %bb.25:
	s_mov_b32 s2, 0x9abcaf48
	v_cvt_f64_f32_e32 v[2:3], v2
	s_mov_b32 s3, 0x3e7ad7f2
	v_cvt_f64_f32_e32 v[4:5], s22
	v_add_f64 v[2:3], v[2:3], s[2:3]
	v_div_scale_f64 v[6:7], s[2:3], v[2:3], v[2:3], v[4:5]
	v_rcp_f64_e32 v[8:9], v[6:7]
	s_and_b32 s6, s16, 0xffff
	s_lshl_b64 s[2:3], s[14:15], 1
	s_add_u32 s2, s20, s2
	v_fma_f64 v[10:11], -v[6:7], v[8:9], 1.0
	v_fmac_f64_e32 v[8:9], v[8:9], v[10:11]
	v_fma_f64 v[10:11], -v[6:7], v[8:9], 1.0
	v_fmac_f64_e32 v[8:9], v[8:9], v[10:11]
	v_div_scale_f64 v[10:11], vcc, v[4:5], v[2:3], v[4:5]
	v_mul_f64 v[12:13], v[10:11], v[8:9]
	v_fma_f64 v[6:7], -v[6:7], v[12:13], v[10:11]
	s_movk_i32 s7, 0x7fff
	s_nop 0
	v_div_fmas_f64 v[6:7], v[6:7], v[8:9], v[12:13]
	v_div_fixup_f64 v[2:3], v[6:7], v[2:3], v[4:5]
	v_cvt_f32_f64_e32 v2, v[2:3]
	v_bfe_u32 v3, v2, 16, 1
	v_add_u32_e32 v3, v2, v3
	v_add_u32_e32 v3, 0x7fff, v3
	v_and_b32_e32 v3, 0xffff0000, v3
	v_mov_b32_e32 v4, 0x7fc00000
	v_cmp_o_f32_e32 vcc, v2, v2
	s_addc_u32 s3, s21, s3
	v_add_u32_e32 v2, s6, v0
	v_cndmask_b32_e32 v4, v4, v3, vcc
	s_mov_b64 s[4:5], 0
	v_mov_b32_e32 v5, 0x7fc0
.LBB261_26:                             ; =>This Inner Loop Header: Depth=1
	v_mul_lo_u32 v3, v1, s18
	v_mul_lo_u32 v6, v0, s19
	v_mad_u64_u32 v[0:1], s[8:9], v0, s18, 0
	v_add3_u32 v1, v1, v6, v3
	v_lshl_add_u64 v[6:7], v[0:1], 1, s[2:3]
	global_load_ushort v8, v[6:7], off
	v_ashrrev_i32_e32 v3, 31, v2
	v_mov_b64_e32 v[0:1], v[2:3]
	v_cmp_le_i64_e32 vcc, s[12:13], v[2:3]
	s_or_b64 s[4:5], vcc, s[4:5]
	v_add_u32_e32 v2, s6, v2
	s_waitcnt vmcnt(0)
	v_lshlrev_b32_e32 v3, 16, v8
	v_mul_f32_e32 v3, v4, v3
	v_bfe_u32 v8, v3, 16, 1
	v_add3_u32 v8, v3, v8, s7
	v_lshrrev_b32_e32 v8, 16, v8
	v_cmp_o_f32_e32 vcc, v3, v3
	s_nop 1
	v_cndmask_b32_e32 v3, v5, v8, vcc
	global_store_short v[6:7], v3, off
	s_andn2_b64 exec, exec, s[4:5]
	s_cbranch_execnz .LBB261_26
.LBB261_27:
	s_or_b64 exec, exec, s[0:1]
	s_and_b64 vcc, exec, s[10:11]
	s_cbranch_vccz .LBB261_16
.LBB261_28:
	s_trap 2
	; divergent unreachable
	s_endpgm
.LBB261_29:
	v_lshl_add_u32 v2, v9, 2, 0
	ds_read_b32 v2, v2
	s_or_b64 exec, exec, s[0:1]
	v_cmp_gt_u32_e32 vcc, 64, v0
	s_and_saveexec_b64 s[0:1], vcc
	s_cbranch_execz .LBB261_22
.LBB261_30:
	s_waitcnt lgkmcnt(0)
	ds_bpermute_b32 v3, v3, v2
	s_waitcnt lgkmcnt(0)
	v_add_f32_e32 v2, v2, v3
	ds_bpermute_b32 v3, v4, v2
	s_waitcnt lgkmcnt(0)
	v_add_f32_e32 v2, v2, v3
	;; [unrolled: 3-line block ×6, first 2 shown]
	s_or_b64 exec, exec, s[0:1]
	v_cmp_eq_u32_e32 vcc, 0, v0
	s_and_saveexec_b64 s[8:9], vcc
	s_cbranch_execnz .LBB261_23
	s_branch .LBB261_24
	.section	.rodata,"a",@progbits
	.p2align	6, 0x0
	.amdhsa_kernel _ZN2at6native12_GLOBAL__N_113renorm_kernelIN3c108BFloat16EfKlEEvPT_PT1_T0_SA_llllPS5_
		.amdhsa_group_segment_fixed_size 0
		.amdhsa_private_segment_fixed_size 0
		.amdhsa_kernarg_size 320
		.amdhsa_user_sgpr_count 2
		.amdhsa_user_sgpr_dispatch_ptr 0
		.amdhsa_user_sgpr_queue_ptr 0
		.amdhsa_user_sgpr_kernarg_segment_ptr 1
		.amdhsa_user_sgpr_dispatch_id 0
		.amdhsa_user_sgpr_kernarg_preload_length 0
		.amdhsa_user_sgpr_kernarg_preload_offset 0
		.amdhsa_user_sgpr_private_segment_size 0
		.amdhsa_uses_dynamic_stack 0
		.amdhsa_enable_private_segment 0
		.amdhsa_system_sgpr_workgroup_id_x 1
		.amdhsa_system_sgpr_workgroup_id_y 0
		.amdhsa_system_sgpr_workgroup_id_z 0
		.amdhsa_system_sgpr_workgroup_info 0
		.amdhsa_system_vgpr_workitem_id 0
		.amdhsa_next_free_vgpr 29
		.amdhsa_next_free_sgpr 42
		.amdhsa_accum_offset 32
		.amdhsa_reserve_vcc 1
		.amdhsa_float_round_mode_32 0
		.amdhsa_float_round_mode_16_64 0
		.amdhsa_float_denorm_mode_32 3
		.amdhsa_float_denorm_mode_16_64 3
		.amdhsa_dx10_clamp 1
		.amdhsa_ieee_mode 1
		.amdhsa_fp16_overflow 0
		.amdhsa_tg_split 0
		.amdhsa_exception_fp_ieee_invalid_op 0
		.amdhsa_exception_fp_denorm_src 0
		.amdhsa_exception_fp_ieee_div_zero 0
		.amdhsa_exception_fp_ieee_overflow 0
		.amdhsa_exception_fp_ieee_underflow 0
		.amdhsa_exception_fp_ieee_inexact 0
		.amdhsa_exception_int_div_zero 0
	.end_amdhsa_kernel
	.section	.text._ZN2at6native12_GLOBAL__N_113renorm_kernelIN3c108BFloat16EfKlEEvPT_PT1_T0_SA_llllPS5_,"axG",@progbits,_ZN2at6native12_GLOBAL__N_113renorm_kernelIN3c108BFloat16EfKlEEvPT_PT1_T0_SA_llllPS5_,comdat
.Lfunc_end261:
	.size	_ZN2at6native12_GLOBAL__N_113renorm_kernelIN3c108BFloat16EfKlEEvPT_PT1_T0_SA_llllPS5_, .Lfunc_end261-_ZN2at6native12_GLOBAL__N_113renorm_kernelIN3c108BFloat16EfKlEEvPT_PT1_T0_SA_llllPS5_
                                        ; -- End function
	.section	.AMDGPU.csdata,"",@progbits
; Kernel info:
; codeLenInByte = 3760
; NumSgprs: 48
; NumVgprs: 29
; NumAgprs: 0
; TotalNumVgprs: 29
; ScratchSize: 0
; MemoryBound: 0
; FloatMode: 240
; IeeeMode: 1
; LDSByteSize: 0 bytes/workgroup (compile time only)
; SGPRBlocks: 5
; VGPRBlocks: 3
; NumSGPRsForWavesPerEU: 48
; NumVGPRsForWavesPerEU: 29
; AccumOffset: 32
; Occupancy: 8
; WaveLimiterHint : 1
; COMPUTE_PGM_RSRC2:SCRATCH_EN: 0
; COMPUTE_PGM_RSRC2:USER_SGPR: 2
; COMPUTE_PGM_RSRC2:TRAP_HANDLER: 0
; COMPUTE_PGM_RSRC2:TGID_X_EN: 1
; COMPUTE_PGM_RSRC2:TGID_Y_EN: 0
; COMPUTE_PGM_RSRC2:TGID_Z_EN: 0
; COMPUTE_PGM_RSRC2:TIDIG_COMP_CNT: 0
; COMPUTE_PGM_RSRC3_GFX90A:ACCUM_OFFSET: 7
; COMPUTE_PGM_RSRC3_GFX90A:TG_SPLIT: 0
	.text
	.p2alignl 6, 3212836864
	.fill 256, 4, 3212836864
	.type	.str.2,@object                  ; @.str.2
	.section	.rodata.str1.1,"aMS",@progbits,1
.str.2:
	.asciz	"embedding_renorm_: index out of bounds"
	.size	.str.2, 39

	.type	__hip_cuid_bfce14c143b8c0dd,@object ; @__hip_cuid_bfce14c143b8c0dd
	.section	.bss,"aw",@nobits
	.globl	__hip_cuid_bfce14c143b8c0dd
__hip_cuid_bfce14c143b8c0dd:
	.byte	0                               ; 0x0
	.size	__hip_cuid_bfce14c143b8c0dd, 1

	.ident	"AMD clang version 19.0.0git (https://github.com/RadeonOpenCompute/llvm-project roc-6.4.0 25133 c7fe45cf4b819c5991fe208aaa96edf142730f1d)"
	.section	".note.GNU-stack","",@progbits
	.addrsig
	.addrsig_sym __hip_cuid_bfce14c143b8c0dd
	.amdgpu_metadata
---
amdhsa.kernels:
  - .agpr_count:     0
    .args:
      - .address_space:  global
        .offset:         0
        .size:           8
        .value_kind:     global_buffer
      - .actual_access:  read_only
        .address_space:  global
        .offset:         8
        .size:           8
        .value_kind:     global_buffer
      - .address_space:  global
        .offset:         16
        .size:           8
        .value_kind:     global_buffer
      - .offset:         24
        .size:           4
        .value_kind:     by_value
      - .offset:         32
        .size:           8
        .value_kind:     by_value
      - .offset:         40
        .size:           4
        .value_kind:     by_value
      - .offset:         48
        .size:           4
        .value_kind:     hidden_block_count_x
      - .offset:         52
        .size:           4
        .value_kind:     hidden_block_count_y
      - .offset:         56
        .size:           4
        .value_kind:     hidden_block_count_z
      - .offset:         60
        .size:           2
        .value_kind:     hidden_group_size_x
      - .offset:         62
        .size:           2
        .value_kind:     hidden_group_size_y
      - .offset:         64
        .size:           2
        .value_kind:     hidden_group_size_z
      - .offset:         66
        .size:           2
        .value_kind:     hidden_remainder_x
      - .offset:         68
        .size:           2
        .value_kind:     hidden_remainder_y
      - .offset:         70
        .size:           2
        .value_kind:     hidden_remainder_z
      - .offset:         88
        .size:           8
        .value_kind:     hidden_global_offset_x
      - .offset:         96
        .size:           8
        .value_kind:     hidden_global_offset_y
      - .offset:         104
        .size:           8
        .value_kind:     hidden_global_offset_z
      - .offset:         112
        .size:           2
        .value_kind:     hidden_grid_dims
      - .offset:         168
        .size:           4
        .value_kind:     hidden_dynamic_lds_size
    .group_segment_fixed_size: 0
    .kernarg_segment_align: 8
    .kernarg_segment_size: 304
    .language:       OpenCL C
    .language_version:
      - 2
      - 0
    .max_flat_workgroup_size: 1024
    .name:           _ZN2at6native12_GLOBAL__N_133embedding_backward_feature_kernelIddiEEvPKT1_PKT_PS6_ili
    .private_segment_fixed_size: 0
    .sgpr_count:     29
    .sgpr_spill_count: 0
    .symbol:         _ZN2at6native12_GLOBAL__N_133embedding_backward_feature_kernelIddiEEvPKT1_PKT_PS6_ili.kd
    .uniform_work_group_size: 1
    .uses_dynamic_stack: false
    .vgpr_count:     24
    .vgpr_spill_count: 0
    .wavefront_size: 64
  - .agpr_count:     0
    .args:
      - .address_space:  global
        .offset:         0
        .size:           8
        .value_kind:     global_buffer
      - .actual_access:  read_only
        .address_space:  global
        .offset:         8
        .size:           8
        .value_kind:     global_buffer
      - .address_space:  global
        .offset:         16
        .size:           8
        .value_kind:     global_buffer
      - .offset:         24
        .size:           4
        .value_kind:     by_value
      - .offset:         32
        .size:           8
        .value_kind:     by_value
      - .offset:         40
        .size:           4
        .value_kind:     by_value
      - .offset:         48
        .size:           4
        .value_kind:     hidden_block_count_x
      - .offset:         52
        .size:           4
        .value_kind:     hidden_block_count_y
      - .offset:         56
        .size:           4
        .value_kind:     hidden_block_count_z
      - .offset:         60
        .size:           2
        .value_kind:     hidden_group_size_x
      - .offset:         62
        .size:           2
        .value_kind:     hidden_group_size_y
      - .offset:         64
        .size:           2
        .value_kind:     hidden_group_size_z
      - .offset:         66
        .size:           2
        .value_kind:     hidden_remainder_x
      - .offset:         68
        .size:           2
        .value_kind:     hidden_remainder_y
      - .offset:         70
        .size:           2
        .value_kind:     hidden_remainder_z
      - .offset:         88
        .size:           8
        .value_kind:     hidden_global_offset_x
      - .offset:         96
        .size:           8
        .value_kind:     hidden_global_offset_y
      - .offset:         104
        .size:           8
        .value_kind:     hidden_global_offset_z
      - .offset:         112
        .size:           2
        .value_kind:     hidden_grid_dims
      - .offset:         168
        .size:           4
        .value_kind:     hidden_dynamic_lds_size
    .group_segment_fixed_size: 0
    .kernarg_segment_align: 8
    .kernarg_segment_size: 304
    .language:       OpenCL C
    .language_version:
      - 2
      - 0
    .max_flat_workgroup_size: 1024
    .name:           _ZN2at6native12_GLOBAL__N_133embedding_backward_feature_kernelIddlEEvPKT1_PKT_PS6_ili
    .private_segment_fixed_size: 0
    .sgpr_count:     29
    .sgpr_spill_count: 0
    .symbol:         _ZN2at6native12_GLOBAL__N_133embedding_backward_feature_kernelIddlEEvPKT1_PKT_PS6_ili.kd
    .uniform_work_group_size: 1
    .uses_dynamic_stack: false
    .vgpr_count:     24
    .vgpr_spill_count: 0
    .wavefront_size: 64
  - .agpr_count:     0
    .args:
      - .address_space:  global
        .offset:         0
        .size:           8
        .value_kind:     global_buffer
      - .actual_access:  read_only
        .address_space:  global
        .offset:         8
        .size:           8
        .value_kind:     global_buffer
      - .address_space:  global
        .offset:         16
        .size:           8
        .value_kind:     global_buffer
      - .offset:         24
        .size:           4
        .value_kind:     by_value
      - .offset:         32
        .size:           8
        .value_kind:     by_value
      - .offset:         40
        .size:           4
        .value_kind:     by_value
      - .offset:         48
        .size:           4
        .value_kind:     hidden_block_count_x
      - .offset:         52
        .size:           4
        .value_kind:     hidden_block_count_y
      - .offset:         56
        .size:           4
        .value_kind:     hidden_block_count_z
      - .offset:         60
        .size:           2
        .value_kind:     hidden_group_size_x
      - .offset:         62
        .size:           2
        .value_kind:     hidden_group_size_y
      - .offset:         64
        .size:           2
        .value_kind:     hidden_group_size_z
      - .offset:         66
        .size:           2
        .value_kind:     hidden_remainder_x
      - .offset:         68
        .size:           2
        .value_kind:     hidden_remainder_y
      - .offset:         70
        .size:           2
        .value_kind:     hidden_remainder_z
      - .offset:         88
        .size:           8
        .value_kind:     hidden_global_offset_x
      - .offset:         96
        .size:           8
        .value_kind:     hidden_global_offset_y
      - .offset:         104
        .size:           8
        .value_kind:     hidden_global_offset_z
      - .offset:         112
        .size:           2
        .value_kind:     hidden_grid_dims
      - .offset:         168
        .size:           4
        .value_kind:     hidden_dynamic_lds_size
    .group_segment_fixed_size: 0
    .kernarg_segment_align: 8
    .kernarg_segment_size: 304
    .language:       OpenCL C
    .language_version:
      - 2
      - 0
    .max_flat_workgroup_size: 1024
    .name:           _ZN2at6native12_GLOBAL__N_133embedding_backward_feature_kernelIffiEEvPKT1_PKT_PS6_ili
    .private_segment_fixed_size: 0
    .sgpr_count:     29
    .sgpr_spill_count: 0
    .symbol:         _ZN2at6native12_GLOBAL__N_133embedding_backward_feature_kernelIffiEEvPKT1_PKT_PS6_ili.kd
    .uniform_work_group_size: 1
    .uses_dynamic_stack: false
    .vgpr_count:     22
    .vgpr_spill_count: 0
    .wavefront_size: 64
  - .agpr_count:     0
    .args:
      - .address_space:  global
        .offset:         0
        .size:           8
        .value_kind:     global_buffer
      - .actual_access:  read_only
        .address_space:  global
        .offset:         8
        .size:           8
        .value_kind:     global_buffer
      - .address_space:  global
        .offset:         16
        .size:           8
        .value_kind:     global_buffer
      - .offset:         24
        .size:           4
        .value_kind:     by_value
      - .offset:         32
        .size:           8
        .value_kind:     by_value
      - .offset:         40
        .size:           4
        .value_kind:     by_value
      - .offset:         48
        .size:           4
        .value_kind:     hidden_block_count_x
      - .offset:         52
        .size:           4
        .value_kind:     hidden_block_count_y
      - .offset:         56
        .size:           4
        .value_kind:     hidden_block_count_z
      - .offset:         60
        .size:           2
        .value_kind:     hidden_group_size_x
      - .offset:         62
        .size:           2
        .value_kind:     hidden_group_size_y
      - .offset:         64
        .size:           2
        .value_kind:     hidden_group_size_z
      - .offset:         66
        .size:           2
        .value_kind:     hidden_remainder_x
      - .offset:         68
        .size:           2
        .value_kind:     hidden_remainder_y
      - .offset:         70
        .size:           2
        .value_kind:     hidden_remainder_z
      - .offset:         88
        .size:           8
        .value_kind:     hidden_global_offset_x
      - .offset:         96
        .size:           8
        .value_kind:     hidden_global_offset_y
      - .offset:         104
        .size:           8
        .value_kind:     hidden_global_offset_z
      - .offset:         112
        .size:           2
        .value_kind:     hidden_grid_dims
      - .offset:         168
        .size:           4
        .value_kind:     hidden_dynamic_lds_size
    .group_segment_fixed_size: 0
    .kernarg_segment_align: 8
    .kernarg_segment_size: 304
    .language:       OpenCL C
    .language_version:
      - 2
      - 0
    .max_flat_workgroup_size: 1024
    .name:           _ZN2at6native12_GLOBAL__N_133embedding_backward_feature_kernelIfflEEvPKT1_PKT_PS6_ili
    .private_segment_fixed_size: 0
    .sgpr_count:     29
    .sgpr_spill_count: 0
    .symbol:         _ZN2at6native12_GLOBAL__N_133embedding_backward_feature_kernelIfflEEvPKT1_PKT_PS6_ili.kd
    .uniform_work_group_size: 1
    .uses_dynamic_stack: false
    .vgpr_count:     22
    .vgpr_spill_count: 0
    .wavefront_size: 64
  - .agpr_count:     0
    .args:
      - .address_space:  global
        .offset:         0
        .size:           8
        .value_kind:     global_buffer
      - .actual_access:  read_only
        .address_space:  global
        .offset:         8
        .size:           8
        .value_kind:     global_buffer
      - .address_space:  global
        .offset:         16
        .size:           8
        .value_kind:     global_buffer
      - .offset:         24
        .size:           4
        .value_kind:     by_value
      - .offset:         32
        .size:           8
        .value_kind:     by_value
      - .offset:         40
        .size:           4
        .value_kind:     by_value
      - .offset:         48
        .size:           4
        .value_kind:     hidden_block_count_x
      - .offset:         52
        .size:           4
        .value_kind:     hidden_block_count_y
      - .offset:         56
        .size:           4
        .value_kind:     hidden_block_count_z
      - .offset:         60
        .size:           2
        .value_kind:     hidden_group_size_x
      - .offset:         62
        .size:           2
        .value_kind:     hidden_group_size_y
      - .offset:         64
        .size:           2
        .value_kind:     hidden_group_size_z
      - .offset:         66
        .size:           2
        .value_kind:     hidden_remainder_x
      - .offset:         68
        .size:           2
        .value_kind:     hidden_remainder_y
      - .offset:         70
        .size:           2
        .value_kind:     hidden_remainder_z
      - .offset:         88
        .size:           8
        .value_kind:     hidden_global_offset_x
      - .offset:         96
        .size:           8
        .value_kind:     hidden_global_offset_y
      - .offset:         104
        .size:           8
        .value_kind:     hidden_global_offset_z
      - .offset:         112
        .size:           2
        .value_kind:     hidden_grid_dims
      - .offset:         168
        .size:           4
        .value_kind:     hidden_dynamic_lds_size
    .group_segment_fixed_size: 0
    .kernarg_segment_align: 8
    .kernarg_segment_size: 304
    .language:       OpenCL C
    .language_version:
      - 2
      - 0
    .max_flat_workgroup_size: 1024
    .name:           _ZN2at6native12_GLOBAL__N_133embedding_backward_feature_kernelIN3c104HalfEfiEEvPKT1_PKT_PS8_ili
    .private_segment_fixed_size: 0
    .sgpr_count:     29
    .sgpr_spill_count: 0
    .symbol:         _ZN2at6native12_GLOBAL__N_133embedding_backward_feature_kernelIN3c104HalfEfiEEvPKT1_PKT_PS8_ili.kd
    .uniform_work_group_size: 1
    .uses_dynamic_stack: false
    .vgpr_count:     22
    .vgpr_spill_count: 0
    .wavefront_size: 64
  - .agpr_count:     0
    .args:
      - .address_space:  global
        .offset:         0
        .size:           8
        .value_kind:     global_buffer
      - .actual_access:  read_only
        .address_space:  global
        .offset:         8
        .size:           8
        .value_kind:     global_buffer
      - .address_space:  global
        .offset:         16
        .size:           8
        .value_kind:     global_buffer
      - .offset:         24
        .size:           4
        .value_kind:     by_value
      - .offset:         32
        .size:           8
        .value_kind:     by_value
      - .offset:         40
        .size:           4
        .value_kind:     by_value
      - .offset:         48
        .size:           4
        .value_kind:     hidden_block_count_x
      - .offset:         52
        .size:           4
        .value_kind:     hidden_block_count_y
      - .offset:         56
        .size:           4
        .value_kind:     hidden_block_count_z
      - .offset:         60
        .size:           2
        .value_kind:     hidden_group_size_x
      - .offset:         62
        .size:           2
        .value_kind:     hidden_group_size_y
      - .offset:         64
        .size:           2
        .value_kind:     hidden_group_size_z
      - .offset:         66
        .size:           2
        .value_kind:     hidden_remainder_x
      - .offset:         68
        .size:           2
        .value_kind:     hidden_remainder_y
      - .offset:         70
        .size:           2
        .value_kind:     hidden_remainder_z
      - .offset:         88
        .size:           8
        .value_kind:     hidden_global_offset_x
      - .offset:         96
        .size:           8
        .value_kind:     hidden_global_offset_y
      - .offset:         104
        .size:           8
        .value_kind:     hidden_global_offset_z
      - .offset:         112
        .size:           2
        .value_kind:     hidden_grid_dims
      - .offset:         168
        .size:           4
        .value_kind:     hidden_dynamic_lds_size
    .group_segment_fixed_size: 0
    .kernarg_segment_align: 8
    .kernarg_segment_size: 304
    .language:       OpenCL C
    .language_version:
      - 2
      - 0
    .max_flat_workgroup_size: 1024
    .name:           _ZN2at6native12_GLOBAL__N_133embedding_backward_feature_kernelIN3c104HalfEflEEvPKT1_PKT_PS8_ili
    .private_segment_fixed_size: 0
    .sgpr_count:     29
    .sgpr_spill_count: 0
    .symbol:         _ZN2at6native12_GLOBAL__N_133embedding_backward_feature_kernelIN3c104HalfEflEEvPKT1_PKT_PS8_ili.kd
    .uniform_work_group_size: 1
    .uses_dynamic_stack: false
    .vgpr_count:     22
    .vgpr_spill_count: 0
    .wavefront_size: 64
  - .agpr_count:     0
    .args:
      - .address_space:  global
        .offset:         0
        .size:           8
        .value_kind:     global_buffer
      - .actual_access:  read_only
        .address_space:  global
        .offset:         8
        .size:           8
        .value_kind:     global_buffer
      - .address_space:  global
        .offset:         16
        .size:           8
        .value_kind:     global_buffer
      - .offset:         24
        .size:           4
        .value_kind:     by_value
      - .offset:         32
        .size:           8
        .value_kind:     by_value
      - .offset:         40
        .size:           4
        .value_kind:     by_value
      - .offset:         48
        .size:           4
        .value_kind:     hidden_block_count_x
      - .offset:         52
        .size:           4
        .value_kind:     hidden_block_count_y
      - .offset:         56
        .size:           4
        .value_kind:     hidden_block_count_z
      - .offset:         60
        .size:           2
        .value_kind:     hidden_group_size_x
      - .offset:         62
        .size:           2
        .value_kind:     hidden_group_size_y
      - .offset:         64
        .size:           2
        .value_kind:     hidden_group_size_z
      - .offset:         66
        .size:           2
        .value_kind:     hidden_remainder_x
      - .offset:         68
        .size:           2
        .value_kind:     hidden_remainder_y
      - .offset:         70
        .size:           2
        .value_kind:     hidden_remainder_z
      - .offset:         88
        .size:           8
        .value_kind:     hidden_global_offset_x
      - .offset:         96
        .size:           8
        .value_kind:     hidden_global_offset_y
      - .offset:         104
        .size:           8
        .value_kind:     hidden_global_offset_z
      - .offset:         112
        .size:           2
        .value_kind:     hidden_grid_dims
      - .offset:         168
        .size:           4
        .value_kind:     hidden_dynamic_lds_size
    .group_segment_fixed_size: 0
    .kernarg_segment_align: 8
    .kernarg_segment_size: 304
    .language:       OpenCL C
    .language_version:
      - 2
      - 0
    .max_flat_workgroup_size: 1024
    .name:           _ZN2at6native12_GLOBAL__N_133embedding_backward_feature_kernelIN3c108BFloat16EfiEEvPKT1_PKT_PS8_ili
    .private_segment_fixed_size: 0
    .sgpr_count:     30
    .sgpr_spill_count: 0
    .symbol:         _ZN2at6native12_GLOBAL__N_133embedding_backward_feature_kernelIN3c108BFloat16EfiEEvPKT1_PKT_PS8_ili.kd
    .uniform_work_group_size: 1
    .uses_dynamic_stack: false
    .vgpr_count:     24
    .vgpr_spill_count: 0
    .wavefront_size: 64
  - .agpr_count:     0
    .args:
      - .address_space:  global
        .offset:         0
        .size:           8
        .value_kind:     global_buffer
      - .actual_access:  read_only
        .address_space:  global
        .offset:         8
        .size:           8
        .value_kind:     global_buffer
      - .address_space:  global
        .offset:         16
        .size:           8
        .value_kind:     global_buffer
      - .offset:         24
        .size:           4
        .value_kind:     by_value
      - .offset:         32
        .size:           8
        .value_kind:     by_value
      - .offset:         40
        .size:           4
        .value_kind:     by_value
      - .offset:         48
        .size:           4
        .value_kind:     hidden_block_count_x
      - .offset:         52
        .size:           4
        .value_kind:     hidden_block_count_y
      - .offset:         56
        .size:           4
        .value_kind:     hidden_block_count_z
      - .offset:         60
        .size:           2
        .value_kind:     hidden_group_size_x
      - .offset:         62
        .size:           2
        .value_kind:     hidden_group_size_y
      - .offset:         64
        .size:           2
        .value_kind:     hidden_group_size_z
      - .offset:         66
        .size:           2
        .value_kind:     hidden_remainder_x
      - .offset:         68
        .size:           2
        .value_kind:     hidden_remainder_y
      - .offset:         70
        .size:           2
        .value_kind:     hidden_remainder_z
      - .offset:         88
        .size:           8
        .value_kind:     hidden_global_offset_x
      - .offset:         96
        .size:           8
        .value_kind:     hidden_global_offset_y
      - .offset:         104
        .size:           8
        .value_kind:     hidden_global_offset_z
      - .offset:         112
        .size:           2
        .value_kind:     hidden_grid_dims
      - .offset:         168
        .size:           4
        .value_kind:     hidden_dynamic_lds_size
    .group_segment_fixed_size: 0
    .kernarg_segment_align: 8
    .kernarg_segment_size: 304
    .language:       OpenCL C
    .language_version:
      - 2
      - 0
    .max_flat_workgroup_size: 1024
    .name:           _ZN2at6native12_GLOBAL__N_133embedding_backward_feature_kernelIN3c108BFloat16EflEEvPKT1_PKT_PS8_ili
    .private_segment_fixed_size: 0
    .sgpr_count:     30
    .sgpr_spill_count: 0
    .symbol:         _ZN2at6native12_GLOBAL__N_133embedding_backward_feature_kernelIN3c108BFloat16EflEEvPKT1_PKT_PS8_ili.kd
    .uniform_work_group_size: 1
    .uses_dynamic_stack: false
    .vgpr_count:     24
    .vgpr_spill_count: 0
    .wavefront_size: 64
  - .agpr_count:     0
    .args:
      - .address_space:  global
        .offset:         0
        .size:           8
        .value_kind:     global_buffer
      - .offset:         8
        .size:           4
        .value_kind:     by_value
      - .offset:         12
        .size:           4
        .value_kind:     by_value
      - .address_space:  global
        .offset:         16
        .size:           8
        .value_kind:     global_buffer
      - .address_space:  global
        .offset:         24
        .size:           8
        .value_kind:     global_buffer
      - .actual_access:  write_only
        .address_space:  global
        .offset:         32
        .size:           8
        .value_kind:     global_buffer
      - .offset:         40
        .size:           8
        .value_kind:     by_value
      - .offset:         48
        .size:           4
        .value_kind:     by_value
      - .offset:         52
        .size:           1
        .value_kind:     by_value
      - .offset:         56
        .size:           4
        .value_kind:     hidden_block_count_x
      - .offset:         60
        .size:           4
        .value_kind:     hidden_block_count_y
      - .offset:         64
        .size:           4
        .value_kind:     hidden_block_count_z
      - .offset:         68
        .size:           2
        .value_kind:     hidden_group_size_x
      - .offset:         70
        .size:           2
        .value_kind:     hidden_group_size_y
      - .offset:         72
        .size:           2
        .value_kind:     hidden_group_size_z
      - .offset:         74
        .size:           2
        .value_kind:     hidden_remainder_x
      - .offset:         76
        .size:           2
        .value_kind:     hidden_remainder_y
      - .offset:         78
        .size:           2
        .value_kind:     hidden_remainder_z
      - .offset:         96
        .size:           8
        .value_kind:     hidden_global_offset_x
      - .offset:         104
        .size:           8
        .value_kind:     hidden_global_offset_y
      - .offset:         112
        .size:           8
        .value_kind:     hidden_global_offset_z
      - .offset:         120
        .size:           2
        .value_kind:     hidden_grid_dims
    .group_segment_fixed_size: 0
    .kernarg_segment_align: 8
    .kernarg_segment_size: 312
    .language:       OpenCL C
    .language_version:
      - 2
      - 0
    .max_flat_workgroup_size: 256
    .name:           _ZN7rocprim17ROCPRIM_400000_NS6detail30init_device_scan_by_key_kernelINS1_19lookback_scan_stateINS0_5tupleIJibEEELb0ELb1EEEPKijNS1_16block_id_wrapperIjLb0EEEEEvT_jjPNSB_10value_typeET0_PNSt15iterator_traitsISE_E10value_typeEmT1_T2_
    .private_segment_fixed_size: 0
    .sgpr_count:     26
    .sgpr_spill_count: 0
    .symbol:         _ZN7rocprim17ROCPRIM_400000_NS6detail30init_device_scan_by_key_kernelINS1_19lookback_scan_stateINS0_5tupleIJibEEELb0ELb1EEEPKijNS1_16block_id_wrapperIjLb0EEEEEvT_jjPNSB_10value_typeET0_PNSt15iterator_traitsISE_E10value_typeEmT1_T2_.kd
    .uniform_work_group_size: 1
    .uses_dynamic_stack: false
    .vgpr_count:     10
    .vgpr_spill_count: 0
    .wavefront_size: 64
  - .agpr_count:     0
    .args:
      - .address_space:  global
        .offset:         0
        .size:           8
        .value_kind:     global_buffer
      - .offset:         8
        .size:           4
        .value_kind:     by_value
      - .offset:         12
        .size:           4
        .value_kind:     by_value
      - .address_space:  global
        .offset:         16
        .size:           8
        .value_kind:     global_buffer
      - .offset:         24
        .size:           1
        .value_kind:     by_value
      - .offset:         32
        .size:           4
        .value_kind:     hidden_block_count_x
      - .offset:         36
        .size:           4
        .value_kind:     hidden_block_count_y
      - .offset:         40
        .size:           4
        .value_kind:     hidden_block_count_z
      - .offset:         44
        .size:           2
        .value_kind:     hidden_group_size_x
      - .offset:         46
        .size:           2
        .value_kind:     hidden_group_size_y
      - .offset:         48
        .size:           2
        .value_kind:     hidden_group_size_z
      - .offset:         50
        .size:           2
        .value_kind:     hidden_remainder_x
      - .offset:         52
        .size:           2
        .value_kind:     hidden_remainder_y
      - .offset:         54
        .size:           2
        .value_kind:     hidden_remainder_z
      - .offset:         72
        .size:           8
        .value_kind:     hidden_global_offset_x
      - .offset:         80
        .size:           8
        .value_kind:     hidden_global_offset_y
      - .offset:         88
        .size:           8
        .value_kind:     hidden_global_offset_z
      - .offset:         96
        .size:           2
        .value_kind:     hidden_grid_dims
    .group_segment_fixed_size: 0
    .kernarg_segment_align: 8
    .kernarg_segment_size: 288
    .language:       OpenCL C
    .language_version:
      - 2
      - 0
    .max_flat_workgroup_size: 256
    .name:           _ZN7rocprim17ROCPRIM_400000_NS6detail30init_device_scan_by_key_kernelINS1_19lookback_scan_stateINS0_5tupleIJibEEELb0ELb1EEENS1_16block_id_wrapperIjLb0EEEEEvT_jjPNS9_10value_typeET0_
    .private_segment_fixed_size: 0
    .sgpr_count:     20
    .sgpr_spill_count: 0
    .symbol:         _ZN7rocprim17ROCPRIM_400000_NS6detail30init_device_scan_by_key_kernelINS1_19lookback_scan_stateINS0_5tupleIJibEEELb0ELb1EEENS1_16block_id_wrapperIjLb0EEEEEvT_jjPNS9_10value_typeET0_.kd
    .uniform_work_group_size: 1
    .uses_dynamic_stack: false
    .vgpr_count:     10
    .vgpr_spill_count: 0
    .wavefront_size: 64
  - .agpr_count:     0
    .args:
      - .offset:         0
        .size:           120
        .value_kind:     by_value
    .group_segment_fixed_size: 0
    .kernarg_segment_align: 8
    .kernarg_segment_size: 120
    .language:       OpenCL C
    .language_version:
      - 2
      - 0
    .max_flat_workgroup_size: 256
    .name:           _ZN7rocprim17ROCPRIM_400000_NS6detail17trampoline_kernelINS0_14default_configENS1_27scan_by_key_config_selectorIiiEEZZNS1_16scan_by_key_implILNS1_25lookback_scan_determinismE0ELb0ES3_PKiN6hipcub16HIPCUB_304000_NS21ConstantInputIteratorIilEEPiiNSB_3SumENSB_8EqualityEiEE10hipError_tPvRmT2_T3_T4_T5_mT6_T7_P12ihipStream_tbENKUlT_T0_E_clISt17integral_constantIbLb0EESX_EEDaSS_ST_EUlSS_E_NS1_11comp_targetILNS1_3genE0ELNS1_11target_archE4294967295ELNS1_3gpuE0ELNS1_3repE0EEENS1_30default_config_static_selectorELNS0_4arch9wavefront6targetE1EEEvT1_
    .private_segment_fixed_size: 0
    .sgpr_count:     6
    .sgpr_spill_count: 0
    .symbol:         _ZN7rocprim17ROCPRIM_400000_NS6detail17trampoline_kernelINS0_14default_configENS1_27scan_by_key_config_selectorIiiEEZZNS1_16scan_by_key_implILNS1_25lookback_scan_determinismE0ELb0ES3_PKiN6hipcub16HIPCUB_304000_NS21ConstantInputIteratorIilEEPiiNSB_3SumENSB_8EqualityEiEE10hipError_tPvRmT2_T3_T4_T5_mT6_T7_P12ihipStream_tbENKUlT_T0_E_clISt17integral_constantIbLb0EESX_EEDaSS_ST_EUlSS_E_NS1_11comp_targetILNS1_3genE0ELNS1_11target_archE4294967295ELNS1_3gpuE0ELNS1_3repE0EEENS1_30default_config_static_selectorELNS0_4arch9wavefront6targetE1EEEvT1_.kd
    .uniform_work_group_size: 1
    .uses_dynamic_stack: false
    .vgpr_count:     0
    .vgpr_spill_count: 0
    .wavefront_size: 64
  - .agpr_count:     0
    .args:
      - .offset:         0
        .size:           120
        .value_kind:     by_value
    .group_segment_fixed_size: 0
    .kernarg_segment_align: 8
    .kernarg_segment_size: 120
    .language:       OpenCL C
    .language_version:
      - 2
      - 0
    .max_flat_workgroup_size: 256
    .name:           _ZN7rocprim17ROCPRIM_400000_NS6detail17trampoline_kernelINS0_14default_configENS1_27scan_by_key_config_selectorIiiEEZZNS1_16scan_by_key_implILNS1_25lookback_scan_determinismE0ELb0ES3_PKiN6hipcub16HIPCUB_304000_NS21ConstantInputIteratorIilEEPiiNSB_3SumENSB_8EqualityEiEE10hipError_tPvRmT2_T3_T4_T5_mT6_T7_P12ihipStream_tbENKUlT_T0_E_clISt17integral_constantIbLb0EESX_EEDaSS_ST_EUlSS_E_NS1_11comp_targetILNS1_3genE10ELNS1_11target_archE1201ELNS1_3gpuE5ELNS1_3repE0EEENS1_30default_config_static_selectorELNS0_4arch9wavefront6targetE1EEEvT1_
    .private_segment_fixed_size: 0
    .sgpr_count:     6
    .sgpr_spill_count: 0
    .symbol:         _ZN7rocprim17ROCPRIM_400000_NS6detail17trampoline_kernelINS0_14default_configENS1_27scan_by_key_config_selectorIiiEEZZNS1_16scan_by_key_implILNS1_25lookback_scan_determinismE0ELb0ES3_PKiN6hipcub16HIPCUB_304000_NS21ConstantInputIteratorIilEEPiiNSB_3SumENSB_8EqualityEiEE10hipError_tPvRmT2_T3_T4_T5_mT6_T7_P12ihipStream_tbENKUlT_T0_E_clISt17integral_constantIbLb0EESX_EEDaSS_ST_EUlSS_E_NS1_11comp_targetILNS1_3genE10ELNS1_11target_archE1201ELNS1_3gpuE5ELNS1_3repE0EEENS1_30default_config_static_selectorELNS0_4arch9wavefront6targetE1EEEvT1_.kd
    .uniform_work_group_size: 1
    .uses_dynamic_stack: false
    .vgpr_count:     0
    .vgpr_spill_count: 0
    .wavefront_size: 64
  - .agpr_count:     0
    .args:
      - .offset:         0
        .size:           120
        .value_kind:     by_value
    .group_segment_fixed_size: 25600
    .kernarg_segment_align: 8
    .kernarg_segment_size: 120
    .language:       OpenCL C
    .language_version:
      - 2
      - 0
    .max_flat_workgroup_size: 256
    .name:           _ZN7rocprim17ROCPRIM_400000_NS6detail17trampoline_kernelINS0_14default_configENS1_27scan_by_key_config_selectorIiiEEZZNS1_16scan_by_key_implILNS1_25lookback_scan_determinismE0ELb0ES3_PKiN6hipcub16HIPCUB_304000_NS21ConstantInputIteratorIilEEPiiNSB_3SumENSB_8EqualityEiEE10hipError_tPvRmT2_T3_T4_T5_mT6_T7_P12ihipStream_tbENKUlT_T0_E_clISt17integral_constantIbLb0EESX_EEDaSS_ST_EUlSS_E_NS1_11comp_targetILNS1_3genE5ELNS1_11target_archE942ELNS1_3gpuE9ELNS1_3repE0EEENS1_30default_config_static_selectorELNS0_4arch9wavefront6targetE1EEEvT1_
    .private_segment_fixed_size: 0
    .sgpr_count:     86
    .sgpr_spill_count: 0
    .symbol:         _ZN7rocprim17ROCPRIM_400000_NS6detail17trampoline_kernelINS0_14default_configENS1_27scan_by_key_config_selectorIiiEEZZNS1_16scan_by_key_implILNS1_25lookback_scan_determinismE0ELb0ES3_PKiN6hipcub16HIPCUB_304000_NS21ConstantInputIteratorIilEEPiiNSB_3SumENSB_8EqualityEiEE10hipError_tPvRmT2_T3_T4_T5_mT6_T7_P12ihipStream_tbENKUlT_T0_E_clISt17integral_constantIbLb0EESX_EEDaSS_ST_EUlSS_E_NS1_11comp_targetILNS1_3genE5ELNS1_11target_archE942ELNS1_3gpuE9ELNS1_3repE0EEENS1_30default_config_static_selectorELNS0_4arch9wavefront6targetE1EEEvT1_.kd
    .uniform_work_group_size: 1
    .uses_dynamic_stack: false
    .vgpr_count:     81
    .vgpr_spill_count: 0
    .wavefront_size: 64
  - .agpr_count:     0
    .args:
      - .offset:         0
        .size:           120
        .value_kind:     by_value
    .group_segment_fixed_size: 0
    .kernarg_segment_align: 8
    .kernarg_segment_size: 120
    .language:       OpenCL C
    .language_version:
      - 2
      - 0
    .max_flat_workgroup_size: 256
    .name:           _ZN7rocprim17ROCPRIM_400000_NS6detail17trampoline_kernelINS0_14default_configENS1_27scan_by_key_config_selectorIiiEEZZNS1_16scan_by_key_implILNS1_25lookback_scan_determinismE0ELb0ES3_PKiN6hipcub16HIPCUB_304000_NS21ConstantInputIteratorIilEEPiiNSB_3SumENSB_8EqualityEiEE10hipError_tPvRmT2_T3_T4_T5_mT6_T7_P12ihipStream_tbENKUlT_T0_E_clISt17integral_constantIbLb0EESX_EEDaSS_ST_EUlSS_E_NS1_11comp_targetILNS1_3genE4ELNS1_11target_archE910ELNS1_3gpuE8ELNS1_3repE0EEENS1_30default_config_static_selectorELNS0_4arch9wavefront6targetE1EEEvT1_
    .private_segment_fixed_size: 0
    .sgpr_count:     6
    .sgpr_spill_count: 0
    .symbol:         _ZN7rocprim17ROCPRIM_400000_NS6detail17trampoline_kernelINS0_14default_configENS1_27scan_by_key_config_selectorIiiEEZZNS1_16scan_by_key_implILNS1_25lookback_scan_determinismE0ELb0ES3_PKiN6hipcub16HIPCUB_304000_NS21ConstantInputIteratorIilEEPiiNSB_3SumENSB_8EqualityEiEE10hipError_tPvRmT2_T3_T4_T5_mT6_T7_P12ihipStream_tbENKUlT_T0_E_clISt17integral_constantIbLb0EESX_EEDaSS_ST_EUlSS_E_NS1_11comp_targetILNS1_3genE4ELNS1_11target_archE910ELNS1_3gpuE8ELNS1_3repE0EEENS1_30default_config_static_selectorELNS0_4arch9wavefront6targetE1EEEvT1_.kd
    .uniform_work_group_size: 1
    .uses_dynamic_stack: false
    .vgpr_count:     0
    .vgpr_spill_count: 0
    .wavefront_size: 64
  - .agpr_count:     0
    .args:
      - .offset:         0
        .size:           120
        .value_kind:     by_value
    .group_segment_fixed_size: 0
    .kernarg_segment_align: 8
    .kernarg_segment_size: 120
    .language:       OpenCL C
    .language_version:
      - 2
      - 0
    .max_flat_workgroup_size: 256
    .name:           _ZN7rocprim17ROCPRIM_400000_NS6detail17trampoline_kernelINS0_14default_configENS1_27scan_by_key_config_selectorIiiEEZZNS1_16scan_by_key_implILNS1_25lookback_scan_determinismE0ELb0ES3_PKiN6hipcub16HIPCUB_304000_NS21ConstantInputIteratorIilEEPiiNSB_3SumENSB_8EqualityEiEE10hipError_tPvRmT2_T3_T4_T5_mT6_T7_P12ihipStream_tbENKUlT_T0_E_clISt17integral_constantIbLb0EESX_EEDaSS_ST_EUlSS_E_NS1_11comp_targetILNS1_3genE3ELNS1_11target_archE908ELNS1_3gpuE7ELNS1_3repE0EEENS1_30default_config_static_selectorELNS0_4arch9wavefront6targetE1EEEvT1_
    .private_segment_fixed_size: 0
    .sgpr_count:     6
    .sgpr_spill_count: 0
    .symbol:         _ZN7rocprim17ROCPRIM_400000_NS6detail17trampoline_kernelINS0_14default_configENS1_27scan_by_key_config_selectorIiiEEZZNS1_16scan_by_key_implILNS1_25lookback_scan_determinismE0ELb0ES3_PKiN6hipcub16HIPCUB_304000_NS21ConstantInputIteratorIilEEPiiNSB_3SumENSB_8EqualityEiEE10hipError_tPvRmT2_T3_T4_T5_mT6_T7_P12ihipStream_tbENKUlT_T0_E_clISt17integral_constantIbLb0EESX_EEDaSS_ST_EUlSS_E_NS1_11comp_targetILNS1_3genE3ELNS1_11target_archE908ELNS1_3gpuE7ELNS1_3repE0EEENS1_30default_config_static_selectorELNS0_4arch9wavefront6targetE1EEEvT1_.kd
    .uniform_work_group_size: 1
    .uses_dynamic_stack: false
    .vgpr_count:     0
    .vgpr_spill_count: 0
    .wavefront_size: 64
  - .agpr_count:     0
    .args:
      - .offset:         0
        .size:           120
        .value_kind:     by_value
    .group_segment_fixed_size: 0
    .kernarg_segment_align: 8
    .kernarg_segment_size: 120
    .language:       OpenCL C
    .language_version:
      - 2
      - 0
    .max_flat_workgroup_size: 256
    .name:           _ZN7rocprim17ROCPRIM_400000_NS6detail17trampoline_kernelINS0_14default_configENS1_27scan_by_key_config_selectorIiiEEZZNS1_16scan_by_key_implILNS1_25lookback_scan_determinismE0ELb0ES3_PKiN6hipcub16HIPCUB_304000_NS21ConstantInputIteratorIilEEPiiNSB_3SumENSB_8EqualityEiEE10hipError_tPvRmT2_T3_T4_T5_mT6_T7_P12ihipStream_tbENKUlT_T0_E_clISt17integral_constantIbLb0EESX_EEDaSS_ST_EUlSS_E_NS1_11comp_targetILNS1_3genE2ELNS1_11target_archE906ELNS1_3gpuE6ELNS1_3repE0EEENS1_30default_config_static_selectorELNS0_4arch9wavefront6targetE1EEEvT1_
    .private_segment_fixed_size: 0
    .sgpr_count:     6
    .sgpr_spill_count: 0
    .symbol:         _ZN7rocprim17ROCPRIM_400000_NS6detail17trampoline_kernelINS0_14default_configENS1_27scan_by_key_config_selectorIiiEEZZNS1_16scan_by_key_implILNS1_25lookback_scan_determinismE0ELb0ES3_PKiN6hipcub16HIPCUB_304000_NS21ConstantInputIteratorIilEEPiiNSB_3SumENSB_8EqualityEiEE10hipError_tPvRmT2_T3_T4_T5_mT6_T7_P12ihipStream_tbENKUlT_T0_E_clISt17integral_constantIbLb0EESX_EEDaSS_ST_EUlSS_E_NS1_11comp_targetILNS1_3genE2ELNS1_11target_archE906ELNS1_3gpuE6ELNS1_3repE0EEENS1_30default_config_static_selectorELNS0_4arch9wavefront6targetE1EEEvT1_.kd
    .uniform_work_group_size: 1
    .uses_dynamic_stack: false
    .vgpr_count:     0
    .vgpr_spill_count: 0
    .wavefront_size: 64
  - .agpr_count:     0
    .args:
      - .offset:         0
        .size:           120
        .value_kind:     by_value
    .group_segment_fixed_size: 0
    .kernarg_segment_align: 8
    .kernarg_segment_size: 120
    .language:       OpenCL C
    .language_version:
      - 2
      - 0
    .max_flat_workgroup_size: 256
    .name:           _ZN7rocprim17ROCPRIM_400000_NS6detail17trampoline_kernelINS0_14default_configENS1_27scan_by_key_config_selectorIiiEEZZNS1_16scan_by_key_implILNS1_25lookback_scan_determinismE0ELb0ES3_PKiN6hipcub16HIPCUB_304000_NS21ConstantInputIteratorIilEEPiiNSB_3SumENSB_8EqualityEiEE10hipError_tPvRmT2_T3_T4_T5_mT6_T7_P12ihipStream_tbENKUlT_T0_E_clISt17integral_constantIbLb0EESX_EEDaSS_ST_EUlSS_E_NS1_11comp_targetILNS1_3genE10ELNS1_11target_archE1200ELNS1_3gpuE4ELNS1_3repE0EEENS1_30default_config_static_selectorELNS0_4arch9wavefront6targetE1EEEvT1_
    .private_segment_fixed_size: 0
    .sgpr_count:     6
    .sgpr_spill_count: 0
    .symbol:         _ZN7rocprim17ROCPRIM_400000_NS6detail17trampoline_kernelINS0_14default_configENS1_27scan_by_key_config_selectorIiiEEZZNS1_16scan_by_key_implILNS1_25lookback_scan_determinismE0ELb0ES3_PKiN6hipcub16HIPCUB_304000_NS21ConstantInputIteratorIilEEPiiNSB_3SumENSB_8EqualityEiEE10hipError_tPvRmT2_T3_T4_T5_mT6_T7_P12ihipStream_tbENKUlT_T0_E_clISt17integral_constantIbLb0EESX_EEDaSS_ST_EUlSS_E_NS1_11comp_targetILNS1_3genE10ELNS1_11target_archE1200ELNS1_3gpuE4ELNS1_3repE0EEENS1_30default_config_static_selectorELNS0_4arch9wavefront6targetE1EEEvT1_.kd
    .uniform_work_group_size: 1
    .uses_dynamic_stack: false
    .vgpr_count:     0
    .vgpr_spill_count: 0
    .wavefront_size: 64
  - .agpr_count:     0
    .args:
      - .offset:         0
        .size:           120
        .value_kind:     by_value
    .group_segment_fixed_size: 0
    .kernarg_segment_align: 8
    .kernarg_segment_size: 120
    .language:       OpenCL C
    .language_version:
      - 2
      - 0
    .max_flat_workgroup_size: 256
    .name:           _ZN7rocprim17ROCPRIM_400000_NS6detail17trampoline_kernelINS0_14default_configENS1_27scan_by_key_config_selectorIiiEEZZNS1_16scan_by_key_implILNS1_25lookback_scan_determinismE0ELb0ES3_PKiN6hipcub16HIPCUB_304000_NS21ConstantInputIteratorIilEEPiiNSB_3SumENSB_8EqualityEiEE10hipError_tPvRmT2_T3_T4_T5_mT6_T7_P12ihipStream_tbENKUlT_T0_E_clISt17integral_constantIbLb0EESX_EEDaSS_ST_EUlSS_E_NS1_11comp_targetILNS1_3genE9ELNS1_11target_archE1100ELNS1_3gpuE3ELNS1_3repE0EEENS1_30default_config_static_selectorELNS0_4arch9wavefront6targetE1EEEvT1_
    .private_segment_fixed_size: 0
    .sgpr_count:     6
    .sgpr_spill_count: 0
    .symbol:         _ZN7rocprim17ROCPRIM_400000_NS6detail17trampoline_kernelINS0_14default_configENS1_27scan_by_key_config_selectorIiiEEZZNS1_16scan_by_key_implILNS1_25lookback_scan_determinismE0ELb0ES3_PKiN6hipcub16HIPCUB_304000_NS21ConstantInputIteratorIilEEPiiNSB_3SumENSB_8EqualityEiEE10hipError_tPvRmT2_T3_T4_T5_mT6_T7_P12ihipStream_tbENKUlT_T0_E_clISt17integral_constantIbLb0EESX_EEDaSS_ST_EUlSS_E_NS1_11comp_targetILNS1_3genE9ELNS1_11target_archE1100ELNS1_3gpuE3ELNS1_3repE0EEENS1_30default_config_static_selectorELNS0_4arch9wavefront6targetE1EEEvT1_.kd
    .uniform_work_group_size: 1
    .uses_dynamic_stack: false
    .vgpr_count:     0
    .vgpr_spill_count: 0
    .wavefront_size: 64
  - .agpr_count:     0
    .args:
      - .offset:         0
        .size:           120
        .value_kind:     by_value
    .group_segment_fixed_size: 0
    .kernarg_segment_align: 8
    .kernarg_segment_size: 120
    .language:       OpenCL C
    .language_version:
      - 2
      - 0
    .max_flat_workgroup_size: 256
    .name:           _ZN7rocprim17ROCPRIM_400000_NS6detail17trampoline_kernelINS0_14default_configENS1_27scan_by_key_config_selectorIiiEEZZNS1_16scan_by_key_implILNS1_25lookback_scan_determinismE0ELb0ES3_PKiN6hipcub16HIPCUB_304000_NS21ConstantInputIteratorIilEEPiiNSB_3SumENSB_8EqualityEiEE10hipError_tPvRmT2_T3_T4_T5_mT6_T7_P12ihipStream_tbENKUlT_T0_E_clISt17integral_constantIbLb0EESX_EEDaSS_ST_EUlSS_E_NS1_11comp_targetILNS1_3genE8ELNS1_11target_archE1030ELNS1_3gpuE2ELNS1_3repE0EEENS1_30default_config_static_selectorELNS0_4arch9wavefront6targetE1EEEvT1_
    .private_segment_fixed_size: 0
    .sgpr_count:     6
    .sgpr_spill_count: 0
    .symbol:         _ZN7rocprim17ROCPRIM_400000_NS6detail17trampoline_kernelINS0_14default_configENS1_27scan_by_key_config_selectorIiiEEZZNS1_16scan_by_key_implILNS1_25lookback_scan_determinismE0ELb0ES3_PKiN6hipcub16HIPCUB_304000_NS21ConstantInputIteratorIilEEPiiNSB_3SumENSB_8EqualityEiEE10hipError_tPvRmT2_T3_T4_T5_mT6_T7_P12ihipStream_tbENKUlT_T0_E_clISt17integral_constantIbLb0EESX_EEDaSS_ST_EUlSS_E_NS1_11comp_targetILNS1_3genE8ELNS1_11target_archE1030ELNS1_3gpuE2ELNS1_3repE0EEENS1_30default_config_static_selectorELNS0_4arch9wavefront6targetE1EEEvT1_.kd
    .uniform_work_group_size: 1
    .uses_dynamic_stack: false
    .vgpr_count:     0
    .vgpr_spill_count: 0
    .wavefront_size: 64
  - .agpr_count:     0
    .args:
      - .address_space:  global
        .offset:         0
        .size:           8
        .value_kind:     global_buffer
      - .offset:         8
        .size:           4
        .value_kind:     by_value
      - .offset:         12
        .size:           4
        .value_kind:     by_value
      - .address_space:  global
        .offset:         16
        .size:           8
        .value_kind:     global_buffer
      - .address_space:  global
        .offset:         24
        .size:           8
        .value_kind:     global_buffer
      - .actual_access:  write_only
        .address_space:  global
        .offset:         32
        .size:           8
        .value_kind:     global_buffer
      - .offset:         40
        .size:           8
        .value_kind:     by_value
      - .offset:         48
        .size:           4
        .value_kind:     by_value
      - .address_space:  global
        .offset:         56
        .size:           8
        .value_kind:     global_buffer
      - .offset:         64
        .size:           4
        .value_kind:     hidden_block_count_x
      - .offset:         68
        .size:           4
        .value_kind:     hidden_block_count_y
      - .offset:         72
        .size:           4
        .value_kind:     hidden_block_count_z
      - .offset:         76
        .size:           2
        .value_kind:     hidden_group_size_x
      - .offset:         78
        .size:           2
        .value_kind:     hidden_group_size_y
      - .offset:         80
        .size:           2
        .value_kind:     hidden_group_size_z
      - .offset:         82
        .size:           2
        .value_kind:     hidden_remainder_x
      - .offset:         84
        .size:           2
        .value_kind:     hidden_remainder_y
      - .offset:         86
        .size:           2
        .value_kind:     hidden_remainder_z
      - .offset:         104
        .size:           8
        .value_kind:     hidden_global_offset_x
      - .offset:         112
        .size:           8
        .value_kind:     hidden_global_offset_y
      - .offset:         120
        .size:           8
        .value_kind:     hidden_global_offset_z
      - .offset:         128
        .size:           2
        .value_kind:     hidden_grid_dims
    .group_segment_fixed_size: 0
    .kernarg_segment_align: 8
    .kernarg_segment_size: 320
    .language:       OpenCL C
    .language_version:
      - 2
      - 0
    .max_flat_workgroup_size: 256
    .name:           _ZN7rocprim17ROCPRIM_400000_NS6detail30init_device_scan_by_key_kernelINS1_19lookback_scan_stateINS0_5tupleIJibEEELb1ELb1EEEPKijNS1_16block_id_wrapperIjLb1EEEEEvT_jjPNSB_10value_typeET0_PNSt15iterator_traitsISE_E10value_typeEmT1_T2_
    .private_segment_fixed_size: 0
    .sgpr_count:     26
    .sgpr_spill_count: 0
    .symbol:         _ZN7rocprim17ROCPRIM_400000_NS6detail30init_device_scan_by_key_kernelINS1_19lookback_scan_stateINS0_5tupleIJibEEELb1ELb1EEEPKijNS1_16block_id_wrapperIjLb1EEEEEvT_jjPNSB_10value_typeET0_PNSt15iterator_traitsISE_E10value_typeEmT1_T2_.kd
    .uniform_work_group_size: 1
    .uses_dynamic_stack: false
    .vgpr_count:     10
    .vgpr_spill_count: 0
    .wavefront_size: 64
  - .agpr_count:     0
    .args:
      - .address_space:  global
        .offset:         0
        .size:           8
        .value_kind:     global_buffer
      - .offset:         8
        .size:           4
        .value_kind:     by_value
      - .offset:         12
        .size:           4
        .value_kind:     by_value
      - .address_space:  global
        .offset:         16
        .size:           8
        .value_kind:     global_buffer
      - .address_space:  global
        .offset:         24
        .size:           8
        .value_kind:     global_buffer
      - .offset:         32
        .size:           4
        .value_kind:     hidden_block_count_x
      - .offset:         36
        .size:           4
        .value_kind:     hidden_block_count_y
      - .offset:         40
        .size:           4
        .value_kind:     hidden_block_count_z
      - .offset:         44
        .size:           2
        .value_kind:     hidden_group_size_x
      - .offset:         46
        .size:           2
        .value_kind:     hidden_group_size_y
      - .offset:         48
        .size:           2
        .value_kind:     hidden_group_size_z
      - .offset:         50
        .size:           2
        .value_kind:     hidden_remainder_x
      - .offset:         52
        .size:           2
        .value_kind:     hidden_remainder_y
      - .offset:         54
        .size:           2
        .value_kind:     hidden_remainder_z
      - .offset:         72
        .size:           8
        .value_kind:     hidden_global_offset_x
      - .offset:         80
        .size:           8
        .value_kind:     hidden_global_offset_y
      - .offset:         88
        .size:           8
        .value_kind:     hidden_global_offset_z
      - .offset:         96
        .size:           2
        .value_kind:     hidden_grid_dims
    .group_segment_fixed_size: 0
    .kernarg_segment_align: 8
    .kernarg_segment_size: 288
    .language:       OpenCL C
    .language_version:
      - 2
      - 0
    .max_flat_workgroup_size: 256
    .name:           _ZN7rocprim17ROCPRIM_400000_NS6detail30init_device_scan_by_key_kernelINS1_19lookback_scan_stateINS0_5tupleIJibEEELb1ELb1EEENS1_16block_id_wrapperIjLb1EEEEEvT_jjPNS9_10value_typeET0_
    .private_segment_fixed_size: 0
    .sgpr_count:     22
    .sgpr_spill_count: 0
    .symbol:         _ZN7rocprim17ROCPRIM_400000_NS6detail30init_device_scan_by_key_kernelINS1_19lookback_scan_stateINS0_5tupleIJibEEELb1ELb1EEENS1_16block_id_wrapperIjLb1EEEEEvT_jjPNS9_10value_typeET0_.kd
    .uniform_work_group_size: 1
    .uses_dynamic_stack: false
    .vgpr_count:     10
    .vgpr_spill_count: 0
    .wavefront_size: 64
  - .agpr_count:     0
    .args:
      - .offset:         0
        .size:           120
        .value_kind:     by_value
    .group_segment_fixed_size: 0
    .kernarg_segment_align: 8
    .kernarg_segment_size: 120
    .language:       OpenCL C
    .language_version:
      - 2
      - 0
    .max_flat_workgroup_size: 256
    .name:           _ZN7rocprim17ROCPRIM_400000_NS6detail17trampoline_kernelINS0_14default_configENS1_27scan_by_key_config_selectorIiiEEZZNS1_16scan_by_key_implILNS1_25lookback_scan_determinismE0ELb0ES3_PKiN6hipcub16HIPCUB_304000_NS21ConstantInputIteratorIilEEPiiNSB_3SumENSB_8EqualityEiEE10hipError_tPvRmT2_T3_T4_T5_mT6_T7_P12ihipStream_tbENKUlT_T0_E_clISt17integral_constantIbLb1EESX_EEDaSS_ST_EUlSS_E_NS1_11comp_targetILNS1_3genE0ELNS1_11target_archE4294967295ELNS1_3gpuE0ELNS1_3repE0EEENS1_30default_config_static_selectorELNS0_4arch9wavefront6targetE1EEEvT1_
    .private_segment_fixed_size: 0
    .sgpr_count:     6
    .sgpr_spill_count: 0
    .symbol:         _ZN7rocprim17ROCPRIM_400000_NS6detail17trampoline_kernelINS0_14default_configENS1_27scan_by_key_config_selectorIiiEEZZNS1_16scan_by_key_implILNS1_25lookback_scan_determinismE0ELb0ES3_PKiN6hipcub16HIPCUB_304000_NS21ConstantInputIteratorIilEEPiiNSB_3SumENSB_8EqualityEiEE10hipError_tPvRmT2_T3_T4_T5_mT6_T7_P12ihipStream_tbENKUlT_T0_E_clISt17integral_constantIbLb1EESX_EEDaSS_ST_EUlSS_E_NS1_11comp_targetILNS1_3genE0ELNS1_11target_archE4294967295ELNS1_3gpuE0ELNS1_3repE0EEENS1_30default_config_static_selectorELNS0_4arch9wavefront6targetE1EEEvT1_.kd
    .uniform_work_group_size: 1
    .uses_dynamic_stack: false
    .vgpr_count:     0
    .vgpr_spill_count: 0
    .wavefront_size: 64
  - .agpr_count:     0
    .args:
      - .offset:         0
        .size:           120
        .value_kind:     by_value
    .group_segment_fixed_size: 0
    .kernarg_segment_align: 8
    .kernarg_segment_size: 120
    .language:       OpenCL C
    .language_version:
      - 2
      - 0
    .max_flat_workgroup_size: 256
    .name:           _ZN7rocprim17ROCPRIM_400000_NS6detail17trampoline_kernelINS0_14default_configENS1_27scan_by_key_config_selectorIiiEEZZNS1_16scan_by_key_implILNS1_25lookback_scan_determinismE0ELb0ES3_PKiN6hipcub16HIPCUB_304000_NS21ConstantInputIteratorIilEEPiiNSB_3SumENSB_8EqualityEiEE10hipError_tPvRmT2_T3_T4_T5_mT6_T7_P12ihipStream_tbENKUlT_T0_E_clISt17integral_constantIbLb1EESX_EEDaSS_ST_EUlSS_E_NS1_11comp_targetILNS1_3genE10ELNS1_11target_archE1201ELNS1_3gpuE5ELNS1_3repE0EEENS1_30default_config_static_selectorELNS0_4arch9wavefront6targetE1EEEvT1_
    .private_segment_fixed_size: 0
    .sgpr_count:     6
    .sgpr_spill_count: 0
    .symbol:         _ZN7rocprim17ROCPRIM_400000_NS6detail17trampoline_kernelINS0_14default_configENS1_27scan_by_key_config_selectorIiiEEZZNS1_16scan_by_key_implILNS1_25lookback_scan_determinismE0ELb0ES3_PKiN6hipcub16HIPCUB_304000_NS21ConstantInputIteratorIilEEPiiNSB_3SumENSB_8EqualityEiEE10hipError_tPvRmT2_T3_T4_T5_mT6_T7_P12ihipStream_tbENKUlT_T0_E_clISt17integral_constantIbLb1EESX_EEDaSS_ST_EUlSS_E_NS1_11comp_targetILNS1_3genE10ELNS1_11target_archE1201ELNS1_3gpuE5ELNS1_3repE0EEENS1_30default_config_static_selectorELNS0_4arch9wavefront6targetE1EEEvT1_.kd
    .uniform_work_group_size: 1
    .uses_dynamic_stack: false
    .vgpr_count:     0
    .vgpr_spill_count: 0
    .wavefront_size: 64
  - .agpr_count:     0
    .args:
      - .offset:         0
        .size:           120
        .value_kind:     by_value
    .group_segment_fixed_size: 25600
    .kernarg_segment_align: 8
    .kernarg_segment_size: 120
    .language:       OpenCL C
    .language_version:
      - 2
      - 0
    .max_flat_workgroup_size: 256
    .name:           _ZN7rocprim17ROCPRIM_400000_NS6detail17trampoline_kernelINS0_14default_configENS1_27scan_by_key_config_selectorIiiEEZZNS1_16scan_by_key_implILNS1_25lookback_scan_determinismE0ELb0ES3_PKiN6hipcub16HIPCUB_304000_NS21ConstantInputIteratorIilEEPiiNSB_3SumENSB_8EqualityEiEE10hipError_tPvRmT2_T3_T4_T5_mT6_T7_P12ihipStream_tbENKUlT_T0_E_clISt17integral_constantIbLb1EESX_EEDaSS_ST_EUlSS_E_NS1_11comp_targetILNS1_3genE5ELNS1_11target_archE942ELNS1_3gpuE9ELNS1_3repE0EEENS1_30default_config_static_selectorELNS0_4arch9wavefront6targetE1EEEvT1_
    .private_segment_fixed_size: 0
    .sgpr_count:     90
    .sgpr_spill_count: 0
    .symbol:         _ZN7rocprim17ROCPRIM_400000_NS6detail17trampoline_kernelINS0_14default_configENS1_27scan_by_key_config_selectorIiiEEZZNS1_16scan_by_key_implILNS1_25lookback_scan_determinismE0ELb0ES3_PKiN6hipcub16HIPCUB_304000_NS21ConstantInputIteratorIilEEPiiNSB_3SumENSB_8EqualityEiEE10hipError_tPvRmT2_T3_T4_T5_mT6_T7_P12ihipStream_tbENKUlT_T0_E_clISt17integral_constantIbLb1EESX_EEDaSS_ST_EUlSS_E_NS1_11comp_targetILNS1_3genE5ELNS1_11target_archE942ELNS1_3gpuE9ELNS1_3repE0EEENS1_30default_config_static_selectorELNS0_4arch9wavefront6targetE1EEEvT1_.kd
    .uniform_work_group_size: 1
    .uses_dynamic_stack: false
    .vgpr_count:     81
    .vgpr_spill_count: 0
    .wavefront_size: 64
  - .agpr_count:     0
    .args:
      - .offset:         0
        .size:           120
        .value_kind:     by_value
    .group_segment_fixed_size: 0
    .kernarg_segment_align: 8
    .kernarg_segment_size: 120
    .language:       OpenCL C
    .language_version:
      - 2
      - 0
    .max_flat_workgroup_size: 256
    .name:           _ZN7rocprim17ROCPRIM_400000_NS6detail17trampoline_kernelINS0_14default_configENS1_27scan_by_key_config_selectorIiiEEZZNS1_16scan_by_key_implILNS1_25lookback_scan_determinismE0ELb0ES3_PKiN6hipcub16HIPCUB_304000_NS21ConstantInputIteratorIilEEPiiNSB_3SumENSB_8EqualityEiEE10hipError_tPvRmT2_T3_T4_T5_mT6_T7_P12ihipStream_tbENKUlT_T0_E_clISt17integral_constantIbLb1EESX_EEDaSS_ST_EUlSS_E_NS1_11comp_targetILNS1_3genE4ELNS1_11target_archE910ELNS1_3gpuE8ELNS1_3repE0EEENS1_30default_config_static_selectorELNS0_4arch9wavefront6targetE1EEEvT1_
    .private_segment_fixed_size: 0
    .sgpr_count:     6
    .sgpr_spill_count: 0
    .symbol:         _ZN7rocprim17ROCPRIM_400000_NS6detail17trampoline_kernelINS0_14default_configENS1_27scan_by_key_config_selectorIiiEEZZNS1_16scan_by_key_implILNS1_25lookback_scan_determinismE0ELb0ES3_PKiN6hipcub16HIPCUB_304000_NS21ConstantInputIteratorIilEEPiiNSB_3SumENSB_8EqualityEiEE10hipError_tPvRmT2_T3_T4_T5_mT6_T7_P12ihipStream_tbENKUlT_T0_E_clISt17integral_constantIbLb1EESX_EEDaSS_ST_EUlSS_E_NS1_11comp_targetILNS1_3genE4ELNS1_11target_archE910ELNS1_3gpuE8ELNS1_3repE0EEENS1_30default_config_static_selectorELNS0_4arch9wavefront6targetE1EEEvT1_.kd
    .uniform_work_group_size: 1
    .uses_dynamic_stack: false
    .vgpr_count:     0
    .vgpr_spill_count: 0
    .wavefront_size: 64
  - .agpr_count:     0
    .args:
      - .offset:         0
        .size:           120
        .value_kind:     by_value
    .group_segment_fixed_size: 0
    .kernarg_segment_align: 8
    .kernarg_segment_size: 120
    .language:       OpenCL C
    .language_version:
      - 2
      - 0
    .max_flat_workgroup_size: 256
    .name:           _ZN7rocprim17ROCPRIM_400000_NS6detail17trampoline_kernelINS0_14default_configENS1_27scan_by_key_config_selectorIiiEEZZNS1_16scan_by_key_implILNS1_25lookback_scan_determinismE0ELb0ES3_PKiN6hipcub16HIPCUB_304000_NS21ConstantInputIteratorIilEEPiiNSB_3SumENSB_8EqualityEiEE10hipError_tPvRmT2_T3_T4_T5_mT6_T7_P12ihipStream_tbENKUlT_T0_E_clISt17integral_constantIbLb1EESX_EEDaSS_ST_EUlSS_E_NS1_11comp_targetILNS1_3genE3ELNS1_11target_archE908ELNS1_3gpuE7ELNS1_3repE0EEENS1_30default_config_static_selectorELNS0_4arch9wavefront6targetE1EEEvT1_
    .private_segment_fixed_size: 0
    .sgpr_count:     6
    .sgpr_spill_count: 0
    .symbol:         _ZN7rocprim17ROCPRIM_400000_NS6detail17trampoline_kernelINS0_14default_configENS1_27scan_by_key_config_selectorIiiEEZZNS1_16scan_by_key_implILNS1_25lookback_scan_determinismE0ELb0ES3_PKiN6hipcub16HIPCUB_304000_NS21ConstantInputIteratorIilEEPiiNSB_3SumENSB_8EqualityEiEE10hipError_tPvRmT2_T3_T4_T5_mT6_T7_P12ihipStream_tbENKUlT_T0_E_clISt17integral_constantIbLb1EESX_EEDaSS_ST_EUlSS_E_NS1_11comp_targetILNS1_3genE3ELNS1_11target_archE908ELNS1_3gpuE7ELNS1_3repE0EEENS1_30default_config_static_selectorELNS0_4arch9wavefront6targetE1EEEvT1_.kd
    .uniform_work_group_size: 1
    .uses_dynamic_stack: false
    .vgpr_count:     0
    .vgpr_spill_count: 0
    .wavefront_size: 64
  - .agpr_count:     0
    .args:
      - .offset:         0
        .size:           120
        .value_kind:     by_value
    .group_segment_fixed_size: 0
    .kernarg_segment_align: 8
    .kernarg_segment_size: 120
    .language:       OpenCL C
    .language_version:
      - 2
      - 0
    .max_flat_workgroup_size: 256
    .name:           _ZN7rocprim17ROCPRIM_400000_NS6detail17trampoline_kernelINS0_14default_configENS1_27scan_by_key_config_selectorIiiEEZZNS1_16scan_by_key_implILNS1_25lookback_scan_determinismE0ELb0ES3_PKiN6hipcub16HIPCUB_304000_NS21ConstantInputIteratorIilEEPiiNSB_3SumENSB_8EqualityEiEE10hipError_tPvRmT2_T3_T4_T5_mT6_T7_P12ihipStream_tbENKUlT_T0_E_clISt17integral_constantIbLb1EESX_EEDaSS_ST_EUlSS_E_NS1_11comp_targetILNS1_3genE2ELNS1_11target_archE906ELNS1_3gpuE6ELNS1_3repE0EEENS1_30default_config_static_selectorELNS0_4arch9wavefront6targetE1EEEvT1_
    .private_segment_fixed_size: 0
    .sgpr_count:     6
    .sgpr_spill_count: 0
    .symbol:         _ZN7rocprim17ROCPRIM_400000_NS6detail17trampoline_kernelINS0_14default_configENS1_27scan_by_key_config_selectorIiiEEZZNS1_16scan_by_key_implILNS1_25lookback_scan_determinismE0ELb0ES3_PKiN6hipcub16HIPCUB_304000_NS21ConstantInputIteratorIilEEPiiNSB_3SumENSB_8EqualityEiEE10hipError_tPvRmT2_T3_T4_T5_mT6_T7_P12ihipStream_tbENKUlT_T0_E_clISt17integral_constantIbLb1EESX_EEDaSS_ST_EUlSS_E_NS1_11comp_targetILNS1_3genE2ELNS1_11target_archE906ELNS1_3gpuE6ELNS1_3repE0EEENS1_30default_config_static_selectorELNS0_4arch9wavefront6targetE1EEEvT1_.kd
    .uniform_work_group_size: 1
    .uses_dynamic_stack: false
    .vgpr_count:     0
    .vgpr_spill_count: 0
    .wavefront_size: 64
  - .agpr_count:     0
    .args:
      - .offset:         0
        .size:           120
        .value_kind:     by_value
    .group_segment_fixed_size: 0
    .kernarg_segment_align: 8
    .kernarg_segment_size: 120
    .language:       OpenCL C
    .language_version:
      - 2
      - 0
    .max_flat_workgroup_size: 256
    .name:           _ZN7rocprim17ROCPRIM_400000_NS6detail17trampoline_kernelINS0_14default_configENS1_27scan_by_key_config_selectorIiiEEZZNS1_16scan_by_key_implILNS1_25lookback_scan_determinismE0ELb0ES3_PKiN6hipcub16HIPCUB_304000_NS21ConstantInputIteratorIilEEPiiNSB_3SumENSB_8EqualityEiEE10hipError_tPvRmT2_T3_T4_T5_mT6_T7_P12ihipStream_tbENKUlT_T0_E_clISt17integral_constantIbLb1EESX_EEDaSS_ST_EUlSS_E_NS1_11comp_targetILNS1_3genE10ELNS1_11target_archE1200ELNS1_3gpuE4ELNS1_3repE0EEENS1_30default_config_static_selectorELNS0_4arch9wavefront6targetE1EEEvT1_
    .private_segment_fixed_size: 0
    .sgpr_count:     6
    .sgpr_spill_count: 0
    .symbol:         _ZN7rocprim17ROCPRIM_400000_NS6detail17trampoline_kernelINS0_14default_configENS1_27scan_by_key_config_selectorIiiEEZZNS1_16scan_by_key_implILNS1_25lookback_scan_determinismE0ELb0ES3_PKiN6hipcub16HIPCUB_304000_NS21ConstantInputIteratorIilEEPiiNSB_3SumENSB_8EqualityEiEE10hipError_tPvRmT2_T3_T4_T5_mT6_T7_P12ihipStream_tbENKUlT_T0_E_clISt17integral_constantIbLb1EESX_EEDaSS_ST_EUlSS_E_NS1_11comp_targetILNS1_3genE10ELNS1_11target_archE1200ELNS1_3gpuE4ELNS1_3repE0EEENS1_30default_config_static_selectorELNS0_4arch9wavefront6targetE1EEEvT1_.kd
    .uniform_work_group_size: 1
    .uses_dynamic_stack: false
    .vgpr_count:     0
    .vgpr_spill_count: 0
    .wavefront_size: 64
  - .agpr_count:     0
    .args:
      - .offset:         0
        .size:           120
        .value_kind:     by_value
    .group_segment_fixed_size: 0
    .kernarg_segment_align: 8
    .kernarg_segment_size: 120
    .language:       OpenCL C
    .language_version:
      - 2
      - 0
    .max_flat_workgroup_size: 256
    .name:           _ZN7rocprim17ROCPRIM_400000_NS6detail17trampoline_kernelINS0_14default_configENS1_27scan_by_key_config_selectorIiiEEZZNS1_16scan_by_key_implILNS1_25lookback_scan_determinismE0ELb0ES3_PKiN6hipcub16HIPCUB_304000_NS21ConstantInputIteratorIilEEPiiNSB_3SumENSB_8EqualityEiEE10hipError_tPvRmT2_T3_T4_T5_mT6_T7_P12ihipStream_tbENKUlT_T0_E_clISt17integral_constantIbLb1EESX_EEDaSS_ST_EUlSS_E_NS1_11comp_targetILNS1_3genE9ELNS1_11target_archE1100ELNS1_3gpuE3ELNS1_3repE0EEENS1_30default_config_static_selectorELNS0_4arch9wavefront6targetE1EEEvT1_
    .private_segment_fixed_size: 0
    .sgpr_count:     6
    .sgpr_spill_count: 0
    .symbol:         _ZN7rocprim17ROCPRIM_400000_NS6detail17trampoline_kernelINS0_14default_configENS1_27scan_by_key_config_selectorIiiEEZZNS1_16scan_by_key_implILNS1_25lookback_scan_determinismE0ELb0ES3_PKiN6hipcub16HIPCUB_304000_NS21ConstantInputIteratorIilEEPiiNSB_3SumENSB_8EqualityEiEE10hipError_tPvRmT2_T3_T4_T5_mT6_T7_P12ihipStream_tbENKUlT_T0_E_clISt17integral_constantIbLb1EESX_EEDaSS_ST_EUlSS_E_NS1_11comp_targetILNS1_3genE9ELNS1_11target_archE1100ELNS1_3gpuE3ELNS1_3repE0EEENS1_30default_config_static_selectorELNS0_4arch9wavefront6targetE1EEEvT1_.kd
    .uniform_work_group_size: 1
    .uses_dynamic_stack: false
    .vgpr_count:     0
    .vgpr_spill_count: 0
    .wavefront_size: 64
  - .agpr_count:     0
    .args:
      - .offset:         0
        .size:           120
        .value_kind:     by_value
    .group_segment_fixed_size: 0
    .kernarg_segment_align: 8
    .kernarg_segment_size: 120
    .language:       OpenCL C
    .language_version:
      - 2
      - 0
    .max_flat_workgroup_size: 256
    .name:           _ZN7rocprim17ROCPRIM_400000_NS6detail17trampoline_kernelINS0_14default_configENS1_27scan_by_key_config_selectorIiiEEZZNS1_16scan_by_key_implILNS1_25lookback_scan_determinismE0ELb0ES3_PKiN6hipcub16HIPCUB_304000_NS21ConstantInputIteratorIilEEPiiNSB_3SumENSB_8EqualityEiEE10hipError_tPvRmT2_T3_T4_T5_mT6_T7_P12ihipStream_tbENKUlT_T0_E_clISt17integral_constantIbLb1EESX_EEDaSS_ST_EUlSS_E_NS1_11comp_targetILNS1_3genE8ELNS1_11target_archE1030ELNS1_3gpuE2ELNS1_3repE0EEENS1_30default_config_static_selectorELNS0_4arch9wavefront6targetE1EEEvT1_
    .private_segment_fixed_size: 0
    .sgpr_count:     6
    .sgpr_spill_count: 0
    .symbol:         _ZN7rocprim17ROCPRIM_400000_NS6detail17trampoline_kernelINS0_14default_configENS1_27scan_by_key_config_selectorIiiEEZZNS1_16scan_by_key_implILNS1_25lookback_scan_determinismE0ELb0ES3_PKiN6hipcub16HIPCUB_304000_NS21ConstantInputIteratorIilEEPiiNSB_3SumENSB_8EqualityEiEE10hipError_tPvRmT2_T3_T4_T5_mT6_T7_P12ihipStream_tbENKUlT_T0_E_clISt17integral_constantIbLb1EESX_EEDaSS_ST_EUlSS_E_NS1_11comp_targetILNS1_3genE8ELNS1_11target_archE1030ELNS1_3gpuE2ELNS1_3repE0EEENS1_30default_config_static_selectorELNS0_4arch9wavefront6targetE1EEEvT1_.kd
    .uniform_work_group_size: 1
    .uses_dynamic_stack: false
    .vgpr_count:     0
    .vgpr_spill_count: 0
    .wavefront_size: 64
  - .agpr_count:     0
    .args:
      - .address_space:  global
        .offset:         0
        .size:           8
        .value_kind:     global_buffer
      - .offset:         8
        .size:           4
        .value_kind:     by_value
      - .offset:         12
        .size:           4
        .value_kind:     by_value
      - .address_space:  global
        .offset:         16
        .size:           8
        .value_kind:     global_buffer
      - .address_space:  global
        .offset:         24
        .size:           8
        .value_kind:     global_buffer
      - .actual_access:  write_only
        .address_space:  global
        .offset:         32
        .size:           8
        .value_kind:     global_buffer
      - .offset:         40
        .size:           8
        .value_kind:     by_value
      - .offset:         48
        .size:           4
        .value_kind:     by_value
      - .offset:         52
        .size:           1
        .value_kind:     by_value
      - .offset:         56
        .size:           4
        .value_kind:     hidden_block_count_x
      - .offset:         60
        .size:           4
        .value_kind:     hidden_block_count_y
      - .offset:         64
        .size:           4
        .value_kind:     hidden_block_count_z
      - .offset:         68
        .size:           2
        .value_kind:     hidden_group_size_x
      - .offset:         70
        .size:           2
        .value_kind:     hidden_group_size_y
      - .offset:         72
        .size:           2
        .value_kind:     hidden_group_size_z
      - .offset:         74
        .size:           2
        .value_kind:     hidden_remainder_x
      - .offset:         76
        .size:           2
        .value_kind:     hidden_remainder_y
      - .offset:         78
        .size:           2
        .value_kind:     hidden_remainder_z
      - .offset:         96
        .size:           8
        .value_kind:     hidden_global_offset_x
      - .offset:         104
        .size:           8
        .value_kind:     hidden_global_offset_y
      - .offset:         112
        .size:           8
        .value_kind:     hidden_global_offset_z
      - .offset:         120
        .size:           2
        .value_kind:     hidden_grid_dims
    .group_segment_fixed_size: 0
    .kernarg_segment_align: 8
    .kernarg_segment_size: 312
    .language:       OpenCL C
    .language_version:
      - 2
      - 0
    .max_flat_workgroup_size: 256
    .name:           _ZN7rocprim17ROCPRIM_400000_NS6detail30init_device_scan_by_key_kernelINS1_19lookback_scan_stateINS0_5tupleIJibEEELb1ELb1EEEPKijNS1_16block_id_wrapperIjLb0EEEEEvT_jjPNSB_10value_typeET0_PNSt15iterator_traitsISE_E10value_typeEmT1_T2_
    .private_segment_fixed_size: 0
    .sgpr_count:     26
    .sgpr_spill_count: 0
    .symbol:         _ZN7rocprim17ROCPRIM_400000_NS6detail30init_device_scan_by_key_kernelINS1_19lookback_scan_stateINS0_5tupleIJibEEELb1ELb1EEEPKijNS1_16block_id_wrapperIjLb0EEEEEvT_jjPNSB_10value_typeET0_PNSt15iterator_traitsISE_E10value_typeEmT1_T2_.kd
    .uniform_work_group_size: 1
    .uses_dynamic_stack: false
    .vgpr_count:     10
    .vgpr_spill_count: 0
    .wavefront_size: 64
  - .agpr_count:     0
    .args:
      - .address_space:  global
        .offset:         0
        .size:           8
        .value_kind:     global_buffer
      - .offset:         8
        .size:           4
        .value_kind:     by_value
      - .offset:         12
        .size:           4
        .value_kind:     by_value
      - .address_space:  global
        .offset:         16
        .size:           8
        .value_kind:     global_buffer
      - .offset:         24
        .size:           1
        .value_kind:     by_value
      - .offset:         32
        .size:           4
        .value_kind:     hidden_block_count_x
      - .offset:         36
        .size:           4
        .value_kind:     hidden_block_count_y
      - .offset:         40
        .size:           4
        .value_kind:     hidden_block_count_z
      - .offset:         44
        .size:           2
        .value_kind:     hidden_group_size_x
      - .offset:         46
        .size:           2
        .value_kind:     hidden_group_size_y
      - .offset:         48
        .size:           2
        .value_kind:     hidden_group_size_z
      - .offset:         50
        .size:           2
        .value_kind:     hidden_remainder_x
      - .offset:         52
        .size:           2
        .value_kind:     hidden_remainder_y
      - .offset:         54
        .size:           2
        .value_kind:     hidden_remainder_z
      - .offset:         72
        .size:           8
        .value_kind:     hidden_global_offset_x
      - .offset:         80
        .size:           8
        .value_kind:     hidden_global_offset_y
      - .offset:         88
        .size:           8
        .value_kind:     hidden_global_offset_z
      - .offset:         96
        .size:           2
        .value_kind:     hidden_grid_dims
    .group_segment_fixed_size: 0
    .kernarg_segment_align: 8
    .kernarg_segment_size: 288
    .language:       OpenCL C
    .language_version:
      - 2
      - 0
    .max_flat_workgroup_size: 256
    .name:           _ZN7rocprim17ROCPRIM_400000_NS6detail30init_device_scan_by_key_kernelINS1_19lookback_scan_stateINS0_5tupleIJibEEELb1ELb1EEENS1_16block_id_wrapperIjLb0EEEEEvT_jjPNS9_10value_typeET0_
    .private_segment_fixed_size: 0
    .sgpr_count:     20
    .sgpr_spill_count: 0
    .symbol:         _ZN7rocprim17ROCPRIM_400000_NS6detail30init_device_scan_by_key_kernelINS1_19lookback_scan_stateINS0_5tupleIJibEEELb1ELb1EEENS1_16block_id_wrapperIjLb0EEEEEvT_jjPNS9_10value_typeET0_.kd
    .uniform_work_group_size: 1
    .uses_dynamic_stack: false
    .vgpr_count:     10
    .vgpr_spill_count: 0
    .wavefront_size: 64
  - .agpr_count:     0
    .args:
      - .offset:         0
        .size:           120
        .value_kind:     by_value
    .group_segment_fixed_size: 0
    .kernarg_segment_align: 8
    .kernarg_segment_size: 120
    .language:       OpenCL C
    .language_version:
      - 2
      - 0
    .max_flat_workgroup_size: 256
    .name:           _ZN7rocprim17ROCPRIM_400000_NS6detail17trampoline_kernelINS0_14default_configENS1_27scan_by_key_config_selectorIiiEEZZNS1_16scan_by_key_implILNS1_25lookback_scan_determinismE0ELb0ES3_PKiN6hipcub16HIPCUB_304000_NS21ConstantInputIteratorIilEEPiiNSB_3SumENSB_8EqualityEiEE10hipError_tPvRmT2_T3_T4_T5_mT6_T7_P12ihipStream_tbENKUlT_T0_E_clISt17integral_constantIbLb1EESW_IbLb0EEEEDaSS_ST_EUlSS_E_NS1_11comp_targetILNS1_3genE0ELNS1_11target_archE4294967295ELNS1_3gpuE0ELNS1_3repE0EEENS1_30default_config_static_selectorELNS0_4arch9wavefront6targetE1EEEvT1_
    .private_segment_fixed_size: 0
    .sgpr_count:     6
    .sgpr_spill_count: 0
    .symbol:         _ZN7rocprim17ROCPRIM_400000_NS6detail17trampoline_kernelINS0_14default_configENS1_27scan_by_key_config_selectorIiiEEZZNS1_16scan_by_key_implILNS1_25lookback_scan_determinismE0ELb0ES3_PKiN6hipcub16HIPCUB_304000_NS21ConstantInputIteratorIilEEPiiNSB_3SumENSB_8EqualityEiEE10hipError_tPvRmT2_T3_T4_T5_mT6_T7_P12ihipStream_tbENKUlT_T0_E_clISt17integral_constantIbLb1EESW_IbLb0EEEEDaSS_ST_EUlSS_E_NS1_11comp_targetILNS1_3genE0ELNS1_11target_archE4294967295ELNS1_3gpuE0ELNS1_3repE0EEENS1_30default_config_static_selectorELNS0_4arch9wavefront6targetE1EEEvT1_.kd
    .uniform_work_group_size: 1
    .uses_dynamic_stack: false
    .vgpr_count:     0
    .vgpr_spill_count: 0
    .wavefront_size: 64
  - .agpr_count:     0
    .args:
      - .offset:         0
        .size:           120
        .value_kind:     by_value
    .group_segment_fixed_size: 0
    .kernarg_segment_align: 8
    .kernarg_segment_size: 120
    .language:       OpenCL C
    .language_version:
      - 2
      - 0
    .max_flat_workgroup_size: 256
    .name:           _ZN7rocprim17ROCPRIM_400000_NS6detail17trampoline_kernelINS0_14default_configENS1_27scan_by_key_config_selectorIiiEEZZNS1_16scan_by_key_implILNS1_25lookback_scan_determinismE0ELb0ES3_PKiN6hipcub16HIPCUB_304000_NS21ConstantInputIteratorIilEEPiiNSB_3SumENSB_8EqualityEiEE10hipError_tPvRmT2_T3_T4_T5_mT6_T7_P12ihipStream_tbENKUlT_T0_E_clISt17integral_constantIbLb1EESW_IbLb0EEEEDaSS_ST_EUlSS_E_NS1_11comp_targetILNS1_3genE10ELNS1_11target_archE1201ELNS1_3gpuE5ELNS1_3repE0EEENS1_30default_config_static_selectorELNS0_4arch9wavefront6targetE1EEEvT1_
    .private_segment_fixed_size: 0
    .sgpr_count:     6
    .sgpr_spill_count: 0
    .symbol:         _ZN7rocprim17ROCPRIM_400000_NS6detail17trampoline_kernelINS0_14default_configENS1_27scan_by_key_config_selectorIiiEEZZNS1_16scan_by_key_implILNS1_25lookback_scan_determinismE0ELb0ES3_PKiN6hipcub16HIPCUB_304000_NS21ConstantInputIteratorIilEEPiiNSB_3SumENSB_8EqualityEiEE10hipError_tPvRmT2_T3_T4_T5_mT6_T7_P12ihipStream_tbENKUlT_T0_E_clISt17integral_constantIbLb1EESW_IbLb0EEEEDaSS_ST_EUlSS_E_NS1_11comp_targetILNS1_3genE10ELNS1_11target_archE1201ELNS1_3gpuE5ELNS1_3repE0EEENS1_30default_config_static_selectorELNS0_4arch9wavefront6targetE1EEEvT1_.kd
    .uniform_work_group_size: 1
    .uses_dynamic_stack: false
    .vgpr_count:     0
    .vgpr_spill_count: 0
    .wavefront_size: 64
  - .agpr_count:     0
    .args:
      - .offset:         0
        .size:           120
        .value_kind:     by_value
    .group_segment_fixed_size: 25600
    .kernarg_segment_align: 8
    .kernarg_segment_size: 120
    .language:       OpenCL C
    .language_version:
      - 2
      - 0
    .max_flat_workgroup_size: 256
    .name:           _ZN7rocprim17ROCPRIM_400000_NS6detail17trampoline_kernelINS0_14default_configENS1_27scan_by_key_config_selectorIiiEEZZNS1_16scan_by_key_implILNS1_25lookback_scan_determinismE0ELb0ES3_PKiN6hipcub16HIPCUB_304000_NS21ConstantInputIteratorIilEEPiiNSB_3SumENSB_8EqualityEiEE10hipError_tPvRmT2_T3_T4_T5_mT6_T7_P12ihipStream_tbENKUlT_T0_E_clISt17integral_constantIbLb1EESW_IbLb0EEEEDaSS_ST_EUlSS_E_NS1_11comp_targetILNS1_3genE5ELNS1_11target_archE942ELNS1_3gpuE9ELNS1_3repE0EEENS1_30default_config_static_selectorELNS0_4arch9wavefront6targetE1EEEvT1_
    .private_segment_fixed_size: 0
    .sgpr_count:     86
    .sgpr_spill_count: 0
    .symbol:         _ZN7rocprim17ROCPRIM_400000_NS6detail17trampoline_kernelINS0_14default_configENS1_27scan_by_key_config_selectorIiiEEZZNS1_16scan_by_key_implILNS1_25lookback_scan_determinismE0ELb0ES3_PKiN6hipcub16HIPCUB_304000_NS21ConstantInputIteratorIilEEPiiNSB_3SumENSB_8EqualityEiEE10hipError_tPvRmT2_T3_T4_T5_mT6_T7_P12ihipStream_tbENKUlT_T0_E_clISt17integral_constantIbLb1EESW_IbLb0EEEEDaSS_ST_EUlSS_E_NS1_11comp_targetILNS1_3genE5ELNS1_11target_archE942ELNS1_3gpuE9ELNS1_3repE0EEENS1_30default_config_static_selectorELNS0_4arch9wavefront6targetE1EEEvT1_.kd
    .uniform_work_group_size: 1
    .uses_dynamic_stack: false
    .vgpr_count:     81
    .vgpr_spill_count: 0
    .wavefront_size: 64
  - .agpr_count:     0
    .args:
      - .offset:         0
        .size:           120
        .value_kind:     by_value
    .group_segment_fixed_size: 0
    .kernarg_segment_align: 8
    .kernarg_segment_size: 120
    .language:       OpenCL C
    .language_version:
      - 2
      - 0
    .max_flat_workgroup_size: 256
    .name:           _ZN7rocprim17ROCPRIM_400000_NS6detail17trampoline_kernelINS0_14default_configENS1_27scan_by_key_config_selectorIiiEEZZNS1_16scan_by_key_implILNS1_25lookback_scan_determinismE0ELb0ES3_PKiN6hipcub16HIPCUB_304000_NS21ConstantInputIteratorIilEEPiiNSB_3SumENSB_8EqualityEiEE10hipError_tPvRmT2_T3_T4_T5_mT6_T7_P12ihipStream_tbENKUlT_T0_E_clISt17integral_constantIbLb1EESW_IbLb0EEEEDaSS_ST_EUlSS_E_NS1_11comp_targetILNS1_3genE4ELNS1_11target_archE910ELNS1_3gpuE8ELNS1_3repE0EEENS1_30default_config_static_selectorELNS0_4arch9wavefront6targetE1EEEvT1_
    .private_segment_fixed_size: 0
    .sgpr_count:     6
    .sgpr_spill_count: 0
    .symbol:         _ZN7rocprim17ROCPRIM_400000_NS6detail17trampoline_kernelINS0_14default_configENS1_27scan_by_key_config_selectorIiiEEZZNS1_16scan_by_key_implILNS1_25lookback_scan_determinismE0ELb0ES3_PKiN6hipcub16HIPCUB_304000_NS21ConstantInputIteratorIilEEPiiNSB_3SumENSB_8EqualityEiEE10hipError_tPvRmT2_T3_T4_T5_mT6_T7_P12ihipStream_tbENKUlT_T0_E_clISt17integral_constantIbLb1EESW_IbLb0EEEEDaSS_ST_EUlSS_E_NS1_11comp_targetILNS1_3genE4ELNS1_11target_archE910ELNS1_3gpuE8ELNS1_3repE0EEENS1_30default_config_static_selectorELNS0_4arch9wavefront6targetE1EEEvT1_.kd
    .uniform_work_group_size: 1
    .uses_dynamic_stack: false
    .vgpr_count:     0
    .vgpr_spill_count: 0
    .wavefront_size: 64
  - .agpr_count:     0
    .args:
      - .offset:         0
        .size:           120
        .value_kind:     by_value
    .group_segment_fixed_size: 0
    .kernarg_segment_align: 8
    .kernarg_segment_size: 120
    .language:       OpenCL C
    .language_version:
      - 2
      - 0
    .max_flat_workgroup_size: 256
    .name:           _ZN7rocprim17ROCPRIM_400000_NS6detail17trampoline_kernelINS0_14default_configENS1_27scan_by_key_config_selectorIiiEEZZNS1_16scan_by_key_implILNS1_25lookback_scan_determinismE0ELb0ES3_PKiN6hipcub16HIPCUB_304000_NS21ConstantInputIteratorIilEEPiiNSB_3SumENSB_8EqualityEiEE10hipError_tPvRmT2_T3_T4_T5_mT6_T7_P12ihipStream_tbENKUlT_T0_E_clISt17integral_constantIbLb1EESW_IbLb0EEEEDaSS_ST_EUlSS_E_NS1_11comp_targetILNS1_3genE3ELNS1_11target_archE908ELNS1_3gpuE7ELNS1_3repE0EEENS1_30default_config_static_selectorELNS0_4arch9wavefront6targetE1EEEvT1_
    .private_segment_fixed_size: 0
    .sgpr_count:     6
    .sgpr_spill_count: 0
    .symbol:         _ZN7rocprim17ROCPRIM_400000_NS6detail17trampoline_kernelINS0_14default_configENS1_27scan_by_key_config_selectorIiiEEZZNS1_16scan_by_key_implILNS1_25lookback_scan_determinismE0ELb0ES3_PKiN6hipcub16HIPCUB_304000_NS21ConstantInputIteratorIilEEPiiNSB_3SumENSB_8EqualityEiEE10hipError_tPvRmT2_T3_T4_T5_mT6_T7_P12ihipStream_tbENKUlT_T0_E_clISt17integral_constantIbLb1EESW_IbLb0EEEEDaSS_ST_EUlSS_E_NS1_11comp_targetILNS1_3genE3ELNS1_11target_archE908ELNS1_3gpuE7ELNS1_3repE0EEENS1_30default_config_static_selectorELNS0_4arch9wavefront6targetE1EEEvT1_.kd
    .uniform_work_group_size: 1
    .uses_dynamic_stack: false
    .vgpr_count:     0
    .vgpr_spill_count: 0
    .wavefront_size: 64
  - .agpr_count:     0
    .args:
      - .offset:         0
        .size:           120
        .value_kind:     by_value
    .group_segment_fixed_size: 0
    .kernarg_segment_align: 8
    .kernarg_segment_size: 120
    .language:       OpenCL C
    .language_version:
      - 2
      - 0
    .max_flat_workgroup_size: 256
    .name:           _ZN7rocprim17ROCPRIM_400000_NS6detail17trampoline_kernelINS0_14default_configENS1_27scan_by_key_config_selectorIiiEEZZNS1_16scan_by_key_implILNS1_25lookback_scan_determinismE0ELb0ES3_PKiN6hipcub16HIPCUB_304000_NS21ConstantInputIteratorIilEEPiiNSB_3SumENSB_8EqualityEiEE10hipError_tPvRmT2_T3_T4_T5_mT6_T7_P12ihipStream_tbENKUlT_T0_E_clISt17integral_constantIbLb1EESW_IbLb0EEEEDaSS_ST_EUlSS_E_NS1_11comp_targetILNS1_3genE2ELNS1_11target_archE906ELNS1_3gpuE6ELNS1_3repE0EEENS1_30default_config_static_selectorELNS0_4arch9wavefront6targetE1EEEvT1_
    .private_segment_fixed_size: 0
    .sgpr_count:     6
    .sgpr_spill_count: 0
    .symbol:         _ZN7rocprim17ROCPRIM_400000_NS6detail17trampoline_kernelINS0_14default_configENS1_27scan_by_key_config_selectorIiiEEZZNS1_16scan_by_key_implILNS1_25lookback_scan_determinismE0ELb0ES3_PKiN6hipcub16HIPCUB_304000_NS21ConstantInputIteratorIilEEPiiNSB_3SumENSB_8EqualityEiEE10hipError_tPvRmT2_T3_T4_T5_mT6_T7_P12ihipStream_tbENKUlT_T0_E_clISt17integral_constantIbLb1EESW_IbLb0EEEEDaSS_ST_EUlSS_E_NS1_11comp_targetILNS1_3genE2ELNS1_11target_archE906ELNS1_3gpuE6ELNS1_3repE0EEENS1_30default_config_static_selectorELNS0_4arch9wavefront6targetE1EEEvT1_.kd
    .uniform_work_group_size: 1
    .uses_dynamic_stack: false
    .vgpr_count:     0
    .vgpr_spill_count: 0
    .wavefront_size: 64
  - .agpr_count:     0
    .args:
      - .offset:         0
        .size:           120
        .value_kind:     by_value
    .group_segment_fixed_size: 0
    .kernarg_segment_align: 8
    .kernarg_segment_size: 120
    .language:       OpenCL C
    .language_version:
      - 2
      - 0
    .max_flat_workgroup_size: 256
    .name:           _ZN7rocprim17ROCPRIM_400000_NS6detail17trampoline_kernelINS0_14default_configENS1_27scan_by_key_config_selectorIiiEEZZNS1_16scan_by_key_implILNS1_25lookback_scan_determinismE0ELb0ES3_PKiN6hipcub16HIPCUB_304000_NS21ConstantInputIteratorIilEEPiiNSB_3SumENSB_8EqualityEiEE10hipError_tPvRmT2_T3_T4_T5_mT6_T7_P12ihipStream_tbENKUlT_T0_E_clISt17integral_constantIbLb1EESW_IbLb0EEEEDaSS_ST_EUlSS_E_NS1_11comp_targetILNS1_3genE10ELNS1_11target_archE1200ELNS1_3gpuE4ELNS1_3repE0EEENS1_30default_config_static_selectorELNS0_4arch9wavefront6targetE1EEEvT1_
    .private_segment_fixed_size: 0
    .sgpr_count:     6
    .sgpr_spill_count: 0
    .symbol:         _ZN7rocprim17ROCPRIM_400000_NS6detail17trampoline_kernelINS0_14default_configENS1_27scan_by_key_config_selectorIiiEEZZNS1_16scan_by_key_implILNS1_25lookback_scan_determinismE0ELb0ES3_PKiN6hipcub16HIPCUB_304000_NS21ConstantInputIteratorIilEEPiiNSB_3SumENSB_8EqualityEiEE10hipError_tPvRmT2_T3_T4_T5_mT6_T7_P12ihipStream_tbENKUlT_T0_E_clISt17integral_constantIbLb1EESW_IbLb0EEEEDaSS_ST_EUlSS_E_NS1_11comp_targetILNS1_3genE10ELNS1_11target_archE1200ELNS1_3gpuE4ELNS1_3repE0EEENS1_30default_config_static_selectorELNS0_4arch9wavefront6targetE1EEEvT1_.kd
    .uniform_work_group_size: 1
    .uses_dynamic_stack: false
    .vgpr_count:     0
    .vgpr_spill_count: 0
    .wavefront_size: 64
  - .agpr_count:     0
    .args:
      - .offset:         0
        .size:           120
        .value_kind:     by_value
    .group_segment_fixed_size: 0
    .kernarg_segment_align: 8
    .kernarg_segment_size: 120
    .language:       OpenCL C
    .language_version:
      - 2
      - 0
    .max_flat_workgroup_size: 256
    .name:           _ZN7rocprim17ROCPRIM_400000_NS6detail17trampoline_kernelINS0_14default_configENS1_27scan_by_key_config_selectorIiiEEZZNS1_16scan_by_key_implILNS1_25lookback_scan_determinismE0ELb0ES3_PKiN6hipcub16HIPCUB_304000_NS21ConstantInputIteratorIilEEPiiNSB_3SumENSB_8EqualityEiEE10hipError_tPvRmT2_T3_T4_T5_mT6_T7_P12ihipStream_tbENKUlT_T0_E_clISt17integral_constantIbLb1EESW_IbLb0EEEEDaSS_ST_EUlSS_E_NS1_11comp_targetILNS1_3genE9ELNS1_11target_archE1100ELNS1_3gpuE3ELNS1_3repE0EEENS1_30default_config_static_selectorELNS0_4arch9wavefront6targetE1EEEvT1_
    .private_segment_fixed_size: 0
    .sgpr_count:     6
    .sgpr_spill_count: 0
    .symbol:         _ZN7rocprim17ROCPRIM_400000_NS6detail17trampoline_kernelINS0_14default_configENS1_27scan_by_key_config_selectorIiiEEZZNS1_16scan_by_key_implILNS1_25lookback_scan_determinismE0ELb0ES3_PKiN6hipcub16HIPCUB_304000_NS21ConstantInputIteratorIilEEPiiNSB_3SumENSB_8EqualityEiEE10hipError_tPvRmT2_T3_T4_T5_mT6_T7_P12ihipStream_tbENKUlT_T0_E_clISt17integral_constantIbLb1EESW_IbLb0EEEEDaSS_ST_EUlSS_E_NS1_11comp_targetILNS1_3genE9ELNS1_11target_archE1100ELNS1_3gpuE3ELNS1_3repE0EEENS1_30default_config_static_selectorELNS0_4arch9wavefront6targetE1EEEvT1_.kd
    .uniform_work_group_size: 1
    .uses_dynamic_stack: false
    .vgpr_count:     0
    .vgpr_spill_count: 0
    .wavefront_size: 64
  - .agpr_count:     0
    .args:
      - .offset:         0
        .size:           120
        .value_kind:     by_value
    .group_segment_fixed_size: 0
    .kernarg_segment_align: 8
    .kernarg_segment_size: 120
    .language:       OpenCL C
    .language_version:
      - 2
      - 0
    .max_flat_workgroup_size: 256
    .name:           _ZN7rocprim17ROCPRIM_400000_NS6detail17trampoline_kernelINS0_14default_configENS1_27scan_by_key_config_selectorIiiEEZZNS1_16scan_by_key_implILNS1_25lookback_scan_determinismE0ELb0ES3_PKiN6hipcub16HIPCUB_304000_NS21ConstantInputIteratorIilEEPiiNSB_3SumENSB_8EqualityEiEE10hipError_tPvRmT2_T3_T4_T5_mT6_T7_P12ihipStream_tbENKUlT_T0_E_clISt17integral_constantIbLb1EESW_IbLb0EEEEDaSS_ST_EUlSS_E_NS1_11comp_targetILNS1_3genE8ELNS1_11target_archE1030ELNS1_3gpuE2ELNS1_3repE0EEENS1_30default_config_static_selectorELNS0_4arch9wavefront6targetE1EEEvT1_
    .private_segment_fixed_size: 0
    .sgpr_count:     6
    .sgpr_spill_count: 0
    .symbol:         _ZN7rocprim17ROCPRIM_400000_NS6detail17trampoline_kernelINS0_14default_configENS1_27scan_by_key_config_selectorIiiEEZZNS1_16scan_by_key_implILNS1_25lookback_scan_determinismE0ELb0ES3_PKiN6hipcub16HIPCUB_304000_NS21ConstantInputIteratorIilEEPiiNSB_3SumENSB_8EqualityEiEE10hipError_tPvRmT2_T3_T4_T5_mT6_T7_P12ihipStream_tbENKUlT_T0_E_clISt17integral_constantIbLb1EESW_IbLb0EEEEDaSS_ST_EUlSS_E_NS1_11comp_targetILNS1_3genE8ELNS1_11target_archE1030ELNS1_3gpuE2ELNS1_3repE0EEENS1_30default_config_static_selectorELNS0_4arch9wavefront6targetE1EEEvT1_.kd
    .uniform_work_group_size: 1
    .uses_dynamic_stack: false
    .vgpr_count:     0
    .vgpr_spill_count: 0
    .wavefront_size: 64
  - .agpr_count:     0
    .args:
      - .address_space:  global
        .offset:         0
        .size:           8
        .value_kind:     global_buffer
      - .offset:         8
        .size:           4
        .value_kind:     by_value
      - .offset:         12
        .size:           4
        .value_kind:     by_value
      - .address_space:  global
        .offset:         16
        .size:           8
        .value_kind:     global_buffer
      - .address_space:  global
        .offset:         24
        .size:           8
        .value_kind:     global_buffer
      - .actual_access:  write_only
        .address_space:  global
        .offset:         32
        .size:           8
        .value_kind:     global_buffer
      - .offset:         40
        .size:           8
        .value_kind:     by_value
      - .offset:         48
        .size:           4
        .value_kind:     by_value
      - .address_space:  global
        .offset:         56
        .size:           8
        .value_kind:     global_buffer
      - .offset:         64
        .size:           4
        .value_kind:     hidden_block_count_x
      - .offset:         68
        .size:           4
        .value_kind:     hidden_block_count_y
      - .offset:         72
        .size:           4
        .value_kind:     hidden_block_count_z
      - .offset:         76
        .size:           2
        .value_kind:     hidden_group_size_x
      - .offset:         78
        .size:           2
        .value_kind:     hidden_group_size_y
      - .offset:         80
        .size:           2
        .value_kind:     hidden_group_size_z
      - .offset:         82
        .size:           2
        .value_kind:     hidden_remainder_x
      - .offset:         84
        .size:           2
        .value_kind:     hidden_remainder_y
      - .offset:         86
        .size:           2
        .value_kind:     hidden_remainder_z
      - .offset:         104
        .size:           8
        .value_kind:     hidden_global_offset_x
      - .offset:         112
        .size:           8
        .value_kind:     hidden_global_offset_y
      - .offset:         120
        .size:           8
        .value_kind:     hidden_global_offset_z
      - .offset:         128
        .size:           2
        .value_kind:     hidden_grid_dims
    .group_segment_fixed_size: 0
    .kernarg_segment_align: 8
    .kernarg_segment_size: 320
    .language:       OpenCL C
    .language_version:
      - 2
      - 0
    .max_flat_workgroup_size: 256
    .name:           _ZN7rocprim17ROCPRIM_400000_NS6detail30init_device_scan_by_key_kernelINS1_19lookback_scan_stateINS0_5tupleIJibEEELb0ELb1EEEPKijNS1_16block_id_wrapperIjLb1EEEEEvT_jjPNSB_10value_typeET0_PNSt15iterator_traitsISE_E10value_typeEmT1_T2_
    .private_segment_fixed_size: 0
    .sgpr_count:     26
    .sgpr_spill_count: 0
    .symbol:         _ZN7rocprim17ROCPRIM_400000_NS6detail30init_device_scan_by_key_kernelINS1_19lookback_scan_stateINS0_5tupleIJibEEELb0ELb1EEEPKijNS1_16block_id_wrapperIjLb1EEEEEvT_jjPNSB_10value_typeET0_PNSt15iterator_traitsISE_E10value_typeEmT1_T2_.kd
    .uniform_work_group_size: 1
    .uses_dynamic_stack: false
    .vgpr_count:     10
    .vgpr_spill_count: 0
    .wavefront_size: 64
  - .agpr_count:     0
    .args:
      - .address_space:  global
        .offset:         0
        .size:           8
        .value_kind:     global_buffer
      - .offset:         8
        .size:           4
        .value_kind:     by_value
      - .offset:         12
        .size:           4
        .value_kind:     by_value
      - .address_space:  global
        .offset:         16
        .size:           8
        .value_kind:     global_buffer
      - .address_space:  global
        .offset:         24
        .size:           8
        .value_kind:     global_buffer
      - .offset:         32
        .size:           4
        .value_kind:     hidden_block_count_x
      - .offset:         36
        .size:           4
        .value_kind:     hidden_block_count_y
      - .offset:         40
        .size:           4
        .value_kind:     hidden_block_count_z
      - .offset:         44
        .size:           2
        .value_kind:     hidden_group_size_x
      - .offset:         46
        .size:           2
        .value_kind:     hidden_group_size_y
      - .offset:         48
        .size:           2
        .value_kind:     hidden_group_size_z
      - .offset:         50
        .size:           2
        .value_kind:     hidden_remainder_x
      - .offset:         52
        .size:           2
        .value_kind:     hidden_remainder_y
      - .offset:         54
        .size:           2
        .value_kind:     hidden_remainder_z
      - .offset:         72
        .size:           8
        .value_kind:     hidden_global_offset_x
      - .offset:         80
        .size:           8
        .value_kind:     hidden_global_offset_y
      - .offset:         88
        .size:           8
        .value_kind:     hidden_global_offset_z
      - .offset:         96
        .size:           2
        .value_kind:     hidden_grid_dims
    .group_segment_fixed_size: 0
    .kernarg_segment_align: 8
    .kernarg_segment_size: 288
    .language:       OpenCL C
    .language_version:
      - 2
      - 0
    .max_flat_workgroup_size: 256
    .name:           _ZN7rocprim17ROCPRIM_400000_NS6detail30init_device_scan_by_key_kernelINS1_19lookback_scan_stateINS0_5tupleIJibEEELb0ELb1EEENS1_16block_id_wrapperIjLb1EEEEEvT_jjPNS9_10value_typeET0_
    .private_segment_fixed_size: 0
    .sgpr_count:     22
    .sgpr_spill_count: 0
    .symbol:         _ZN7rocprim17ROCPRIM_400000_NS6detail30init_device_scan_by_key_kernelINS1_19lookback_scan_stateINS0_5tupleIJibEEELb0ELb1EEENS1_16block_id_wrapperIjLb1EEEEEvT_jjPNS9_10value_typeET0_.kd
    .uniform_work_group_size: 1
    .uses_dynamic_stack: false
    .vgpr_count:     10
    .vgpr_spill_count: 0
    .wavefront_size: 64
  - .agpr_count:     0
    .args:
      - .offset:         0
        .size:           120
        .value_kind:     by_value
    .group_segment_fixed_size: 0
    .kernarg_segment_align: 8
    .kernarg_segment_size: 120
    .language:       OpenCL C
    .language_version:
      - 2
      - 0
    .max_flat_workgroup_size: 256
    .name:           _ZN7rocprim17ROCPRIM_400000_NS6detail17trampoline_kernelINS0_14default_configENS1_27scan_by_key_config_selectorIiiEEZZNS1_16scan_by_key_implILNS1_25lookback_scan_determinismE0ELb0ES3_PKiN6hipcub16HIPCUB_304000_NS21ConstantInputIteratorIilEEPiiNSB_3SumENSB_8EqualityEiEE10hipError_tPvRmT2_T3_T4_T5_mT6_T7_P12ihipStream_tbENKUlT_T0_E_clISt17integral_constantIbLb0EESW_IbLb1EEEEDaSS_ST_EUlSS_E_NS1_11comp_targetILNS1_3genE0ELNS1_11target_archE4294967295ELNS1_3gpuE0ELNS1_3repE0EEENS1_30default_config_static_selectorELNS0_4arch9wavefront6targetE1EEEvT1_
    .private_segment_fixed_size: 0
    .sgpr_count:     6
    .sgpr_spill_count: 0
    .symbol:         _ZN7rocprim17ROCPRIM_400000_NS6detail17trampoline_kernelINS0_14default_configENS1_27scan_by_key_config_selectorIiiEEZZNS1_16scan_by_key_implILNS1_25lookback_scan_determinismE0ELb0ES3_PKiN6hipcub16HIPCUB_304000_NS21ConstantInputIteratorIilEEPiiNSB_3SumENSB_8EqualityEiEE10hipError_tPvRmT2_T3_T4_T5_mT6_T7_P12ihipStream_tbENKUlT_T0_E_clISt17integral_constantIbLb0EESW_IbLb1EEEEDaSS_ST_EUlSS_E_NS1_11comp_targetILNS1_3genE0ELNS1_11target_archE4294967295ELNS1_3gpuE0ELNS1_3repE0EEENS1_30default_config_static_selectorELNS0_4arch9wavefront6targetE1EEEvT1_.kd
    .uniform_work_group_size: 1
    .uses_dynamic_stack: false
    .vgpr_count:     0
    .vgpr_spill_count: 0
    .wavefront_size: 64
  - .agpr_count:     0
    .args:
      - .offset:         0
        .size:           120
        .value_kind:     by_value
    .group_segment_fixed_size: 0
    .kernarg_segment_align: 8
    .kernarg_segment_size: 120
    .language:       OpenCL C
    .language_version:
      - 2
      - 0
    .max_flat_workgroup_size: 256
    .name:           _ZN7rocprim17ROCPRIM_400000_NS6detail17trampoline_kernelINS0_14default_configENS1_27scan_by_key_config_selectorIiiEEZZNS1_16scan_by_key_implILNS1_25lookback_scan_determinismE0ELb0ES3_PKiN6hipcub16HIPCUB_304000_NS21ConstantInputIteratorIilEEPiiNSB_3SumENSB_8EqualityEiEE10hipError_tPvRmT2_T3_T4_T5_mT6_T7_P12ihipStream_tbENKUlT_T0_E_clISt17integral_constantIbLb0EESW_IbLb1EEEEDaSS_ST_EUlSS_E_NS1_11comp_targetILNS1_3genE10ELNS1_11target_archE1201ELNS1_3gpuE5ELNS1_3repE0EEENS1_30default_config_static_selectorELNS0_4arch9wavefront6targetE1EEEvT1_
    .private_segment_fixed_size: 0
    .sgpr_count:     6
    .sgpr_spill_count: 0
    .symbol:         _ZN7rocprim17ROCPRIM_400000_NS6detail17trampoline_kernelINS0_14default_configENS1_27scan_by_key_config_selectorIiiEEZZNS1_16scan_by_key_implILNS1_25lookback_scan_determinismE0ELb0ES3_PKiN6hipcub16HIPCUB_304000_NS21ConstantInputIteratorIilEEPiiNSB_3SumENSB_8EqualityEiEE10hipError_tPvRmT2_T3_T4_T5_mT6_T7_P12ihipStream_tbENKUlT_T0_E_clISt17integral_constantIbLb0EESW_IbLb1EEEEDaSS_ST_EUlSS_E_NS1_11comp_targetILNS1_3genE10ELNS1_11target_archE1201ELNS1_3gpuE5ELNS1_3repE0EEENS1_30default_config_static_selectorELNS0_4arch9wavefront6targetE1EEEvT1_.kd
    .uniform_work_group_size: 1
    .uses_dynamic_stack: false
    .vgpr_count:     0
    .vgpr_spill_count: 0
    .wavefront_size: 64
  - .agpr_count:     0
    .args:
      - .offset:         0
        .size:           120
        .value_kind:     by_value
    .group_segment_fixed_size: 25600
    .kernarg_segment_align: 8
    .kernarg_segment_size: 120
    .language:       OpenCL C
    .language_version:
      - 2
      - 0
    .max_flat_workgroup_size: 256
    .name:           _ZN7rocprim17ROCPRIM_400000_NS6detail17trampoline_kernelINS0_14default_configENS1_27scan_by_key_config_selectorIiiEEZZNS1_16scan_by_key_implILNS1_25lookback_scan_determinismE0ELb0ES3_PKiN6hipcub16HIPCUB_304000_NS21ConstantInputIteratorIilEEPiiNSB_3SumENSB_8EqualityEiEE10hipError_tPvRmT2_T3_T4_T5_mT6_T7_P12ihipStream_tbENKUlT_T0_E_clISt17integral_constantIbLb0EESW_IbLb1EEEEDaSS_ST_EUlSS_E_NS1_11comp_targetILNS1_3genE5ELNS1_11target_archE942ELNS1_3gpuE9ELNS1_3repE0EEENS1_30default_config_static_selectorELNS0_4arch9wavefront6targetE1EEEvT1_
    .private_segment_fixed_size: 0
    .sgpr_count:     90
    .sgpr_spill_count: 0
    .symbol:         _ZN7rocprim17ROCPRIM_400000_NS6detail17trampoline_kernelINS0_14default_configENS1_27scan_by_key_config_selectorIiiEEZZNS1_16scan_by_key_implILNS1_25lookback_scan_determinismE0ELb0ES3_PKiN6hipcub16HIPCUB_304000_NS21ConstantInputIteratorIilEEPiiNSB_3SumENSB_8EqualityEiEE10hipError_tPvRmT2_T3_T4_T5_mT6_T7_P12ihipStream_tbENKUlT_T0_E_clISt17integral_constantIbLb0EESW_IbLb1EEEEDaSS_ST_EUlSS_E_NS1_11comp_targetILNS1_3genE5ELNS1_11target_archE942ELNS1_3gpuE9ELNS1_3repE0EEENS1_30default_config_static_selectorELNS0_4arch9wavefront6targetE1EEEvT1_.kd
    .uniform_work_group_size: 1
    .uses_dynamic_stack: false
    .vgpr_count:     81
    .vgpr_spill_count: 0
    .wavefront_size: 64
  - .agpr_count:     0
    .args:
      - .offset:         0
        .size:           120
        .value_kind:     by_value
    .group_segment_fixed_size: 0
    .kernarg_segment_align: 8
    .kernarg_segment_size: 120
    .language:       OpenCL C
    .language_version:
      - 2
      - 0
    .max_flat_workgroup_size: 256
    .name:           _ZN7rocprim17ROCPRIM_400000_NS6detail17trampoline_kernelINS0_14default_configENS1_27scan_by_key_config_selectorIiiEEZZNS1_16scan_by_key_implILNS1_25lookback_scan_determinismE0ELb0ES3_PKiN6hipcub16HIPCUB_304000_NS21ConstantInputIteratorIilEEPiiNSB_3SumENSB_8EqualityEiEE10hipError_tPvRmT2_T3_T4_T5_mT6_T7_P12ihipStream_tbENKUlT_T0_E_clISt17integral_constantIbLb0EESW_IbLb1EEEEDaSS_ST_EUlSS_E_NS1_11comp_targetILNS1_3genE4ELNS1_11target_archE910ELNS1_3gpuE8ELNS1_3repE0EEENS1_30default_config_static_selectorELNS0_4arch9wavefront6targetE1EEEvT1_
    .private_segment_fixed_size: 0
    .sgpr_count:     6
    .sgpr_spill_count: 0
    .symbol:         _ZN7rocprim17ROCPRIM_400000_NS6detail17trampoline_kernelINS0_14default_configENS1_27scan_by_key_config_selectorIiiEEZZNS1_16scan_by_key_implILNS1_25lookback_scan_determinismE0ELb0ES3_PKiN6hipcub16HIPCUB_304000_NS21ConstantInputIteratorIilEEPiiNSB_3SumENSB_8EqualityEiEE10hipError_tPvRmT2_T3_T4_T5_mT6_T7_P12ihipStream_tbENKUlT_T0_E_clISt17integral_constantIbLb0EESW_IbLb1EEEEDaSS_ST_EUlSS_E_NS1_11comp_targetILNS1_3genE4ELNS1_11target_archE910ELNS1_3gpuE8ELNS1_3repE0EEENS1_30default_config_static_selectorELNS0_4arch9wavefront6targetE1EEEvT1_.kd
    .uniform_work_group_size: 1
    .uses_dynamic_stack: false
    .vgpr_count:     0
    .vgpr_spill_count: 0
    .wavefront_size: 64
  - .agpr_count:     0
    .args:
      - .offset:         0
        .size:           120
        .value_kind:     by_value
    .group_segment_fixed_size: 0
    .kernarg_segment_align: 8
    .kernarg_segment_size: 120
    .language:       OpenCL C
    .language_version:
      - 2
      - 0
    .max_flat_workgroup_size: 256
    .name:           _ZN7rocprim17ROCPRIM_400000_NS6detail17trampoline_kernelINS0_14default_configENS1_27scan_by_key_config_selectorIiiEEZZNS1_16scan_by_key_implILNS1_25lookback_scan_determinismE0ELb0ES3_PKiN6hipcub16HIPCUB_304000_NS21ConstantInputIteratorIilEEPiiNSB_3SumENSB_8EqualityEiEE10hipError_tPvRmT2_T3_T4_T5_mT6_T7_P12ihipStream_tbENKUlT_T0_E_clISt17integral_constantIbLb0EESW_IbLb1EEEEDaSS_ST_EUlSS_E_NS1_11comp_targetILNS1_3genE3ELNS1_11target_archE908ELNS1_3gpuE7ELNS1_3repE0EEENS1_30default_config_static_selectorELNS0_4arch9wavefront6targetE1EEEvT1_
    .private_segment_fixed_size: 0
    .sgpr_count:     6
    .sgpr_spill_count: 0
    .symbol:         _ZN7rocprim17ROCPRIM_400000_NS6detail17trampoline_kernelINS0_14default_configENS1_27scan_by_key_config_selectorIiiEEZZNS1_16scan_by_key_implILNS1_25lookback_scan_determinismE0ELb0ES3_PKiN6hipcub16HIPCUB_304000_NS21ConstantInputIteratorIilEEPiiNSB_3SumENSB_8EqualityEiEE10hipError_tPvRmT2_T3_T4_T5_mT6_T7_P12ihipStream_tbENKUlT_T0_E_clISt17integral_constantIbLb0EESW_IbLb1EEEEDaSS_ST_EUlSS_E_NS1_11comp_targetILNS1_3genE3ELNS1_11target_archE908ELNS1_3gpuE7ELNS1_3repE0EEENS1_30default_config_static_selectorELNS0_4arch9wavefront6targetE1EEEvT1_.kd
    .uniform_work_group_size: 1
    .uses_dynamic_stack: false
    .vgpr_count:     0
    .vgpr_spill_count: 0
    .wavefront_size: 64
  - .agpr_count:     0
    .args:
      - .offset:         0
        .size:           120
        .value_kind:     by_value
    .group_segment_fixed_size: 0
    .kernarg_segment_align: 8
    .kernarg_segment_size: 120
    .language:       OpenCL C
    .language_version:
      - 2
      - 0
    .max_flat_workgroup_size: 256
    .name:           _ZN7rocprim17ROCPRIM_400000_NS6detail17trampoline_kernelINS0_14default_configENS1_27scan_by_key_config_selectorIiiEEZZNS1_16scan_by_key_implILNS1_25lookback_scan_determinismE0ELb0ES3_PKiN6hipcub16HIPCUB_304000_NS21ConstantInputIteratorIilEEPiiNSB_3SumENSB_8EqualityEiEE10hipError_tPvRmT2_T3_T4_T5_mT6_T7_P12ihipStream_tbENKUlT_T0_E_clISt17integral_constantIbLb0EESW_IbLb1EEEEDaSS_ST_EUlSS_E_NS1_11comp_targetILNS1_3genE2ELNS1_11target_archE906ELNS1_3gpuE6ELNS1_3repE0EEENS1_30default_config_static_selectorELNS0_4arch9wavefront6targetE1EEEvT1_
    .private_segment_fixed_size: 0
    .sgpr_count:     6
    .sgpr_spill_count: 0
    .symbol:         _ZN7rocprim17ROCPRIM_400000_NS6detail17trampoline_kernelINS0_14default_configENS1_27scan_by_key_config_selectorIiiEEZZNS1_16scan_by_key_implILNS1_25lookback_scan_determinismE0ELb0ES3_PKiN6hipcub16HIPCUB_304000_NS21ConstantInputIteratorIilEEPiiNSB_3SumENSB_8EqualityEiEE10hipError_tPvRmT2_T3_T4_T5_mT6_T7_P12ihipStream_tbENKUlT_T0_E_clISt17integral_constantIbLb0EESW_IbLb1EEEEDaSS_ST_EUlSS_E_NS1_11comp_targetILNS1_3genE2ELNS1_11target_archE906ELNS1_3gpuE6ELNS1_3repE0EEENS1_30default_config_static_selectorELNS0_4arch9wavefront6targetE1EEEvT1_.kd
    .uniform_work_group_size: 1
    .uses_dynamic_stack: false
    .vgpr_count:     0
    .vgpr_spill_count: 0
    .wavefront_size: 64
  - .agpr_count:     0
    .args:
      - .offset:         0
        .size:           120
        .value_kind:     by_value
    .group_segment_fixed_size: 0
    .kernarg_segment_align: 8
    .kernarg_segment_size: 120
    .language:       OpenCL C
    .language_version:
      - 2
      - 0
    .max_flat_workgroup_size: 256
    .name:           _ZN7rocprim17ROCPRIM_400000_NS6detail17trampoline_kernelINS0_14default_configENS1_27scan_by_key_config_selectorIiiEEZZNS1_16scan_by_key_implILNS1_25lookback_scan_determinismE0ELb0ES3_PKiN6hipcub16HIPCUB_304000_NS21ConstantInputIteratorIilEEPiiNSB_3SumENSB_8EqualityEiEE10hipError_tPvRmT2_T3_T4_T5_mT6_T7_P12ihipStream_tbENKUlT_T0_E_clISt17integral_constantIbLb0EESW_IbLb1EEEEDaSS_ST_EUlSS_E_NS1_11comp_targetILNS1_3genE10ELNS1_11target_archE1200ELNS1_3gpuE4ELNS1_3repE0EEENS1_30default_config_static_selectorELNS0_4arch9wavefront6targetE1EEEvT1_
    .private_segment_fixed_size: 0
    .sgpr_count:     6
    .sgpr_spill_count: 0
    .symbol:         _ZN7rocprim17ROCPRIM_400000_NS6detail17trampoline_kernelINS0_14default_configENS1_27scan_by_key_config_selectorIiiEEZZNS1_16scan_by_key_implILNS1_25lookback_scan_determinismE0ELb0ES3_PKiN6hipcub16HIPCUB_304000_NS21ConstantInputIteratorIilEEPiiNSB_3SumENSB_8EqualityEiEE10hipError_tPvRmT2_T3_T4_T5_mT6_T7_P12ihipStream_tbENKUlT_T0_E_clISt17integral_constantIbLb0EESW_IbLb1EEEEDaSS_ST_EUlSS_E_NS1_11comp_targetILNS1_3genE10ELNS1_11target_archE1200ELNS1_3gpuE4ELNS1_3repE0EEENS1_30default_config_static_selectorELNS0_4arch9wavefront6targetE1EEEvT1_.kd
    .uniform_work_group_size: 1
    .uses_dynamic_stack: false
    .vgpr_count:     0
    .vgpr_spill_count: 0
    .wavefront_size: 64
  - .agpr_count:     0
    .args:
      - .offset:         0
        .size:           120
        .value_kind:     by_value
    .group_segment_fixed_size: 0
    .kernarg_segment_align: 8
    .kernarg_segment_size: 120
    .language:       OpenCL C
    .language_version:
      - 2
      - 0
    .max_flat_workgroup_size: 256
    .name:           _ZN7rocprim17ROCPRIM_400000_NS6detail17trampoline_kernelINS0_14default_configENS1_27scan_by_key_config_selectorIiiEEZZNS1_16scan_by_key_implILNS1_25lookback_scan_determinismE0ELb0ES3_PKiN6hipcub16HIPCUB_304000_NS21ConstantInputIteratorIilEEPiiNSB_3SumENSB_8EqualityEiEE10hipError_tPvRmT2_T3_T4_T5_mT6_T7_P12ihipStream_tbENKUlT_T0_E_clISt17integral_constantIbLb0EESW_IbLb1EEEEDaSS_ST_EUlSS_E_NS1_11comp_targetILNS1_3genE9ELNS1_11target_archE1100ELNS1_3gpuE3ELNS1_3repE0EEENS1_30default_config_static_selectorELNS0_4arch9wavefront6targetE1EEEvT1_
    .private_segment_fixed_size: 0
    .sgpr_count:     6
    .sgpr_spill_count: 0
    .symbol:         _ZN7rocprim17ROCPRIM_400000_NS6detail17trampoline_kernelINS0_14default_configENS1_27scan_by_key_config_selectorIiiEEZZNS1_16scan_by_key_implILNS1_25lookback_scan_determinismE0ELb0ES3_PKiN6hipcub16HIPCUB_304000_NS21ConstantInputIteratorIilEEPiiNSB_3SumENSB_8EqualityEiEE10hipError_tPvRmT2_T3_T4_T5_mT6_T7_P12ihipStream_tbENKUlT_T0_E_clISt17integral_constantIbLb0EESW_IbLb1EEEEDaSS_ST_EUlSS_E_NS1_11comp_targetILNS1_3genE9ELNS1_11target_archE1100ELNS1_3gpuE3ELNS1_3repE0EEENS1_30default_config_static_selectorELNS0_4arch9wavefront6targetE1EEEvT1_.kd
    .uniform_work_group_size: 1
    .uses_dynamic_stack: false
    .vgpr_count:     0
    .vgpr_spill_count: 0
    .wavefront_size: 64
  - .agpr_count:     0
    .args:
      - .offset:         0
        .size:           120
        .value_kind:     by_value
    .group_segment_fixed_size: 0
    .kernarg_segment_align: 8
    .kernarg_segment_size: 120
    .language:       OpenCL C
    .language_version:
      - 2
      - 0
    .max_flat_workgroup_size: 256
    .name:           _ZN7rocprim17ROCPRIM_400000_NS6detail17trampoline_kernelINS0_14default_configENS1_27scan_by_key_config_selectorIiiEEZZNS1_16scan_by_key_implILNS1_25lookback_scan_determinismE0ELb0ES3_PKiN6hipcub16HIPCUB_304000_NS21ConstantInputIteratorIilEEPiiNSB_3SumENSB_8EqualityEiEE10hipError_tPvRmT2_T3_T4_T5_mT6_T7_P12ihipStream_tbENKUlT_T0_E_clISt17integral_constantIbLb0EESW_IbLb1EEEEDaSS_ST_EUlSS_E_NS1_11comp_targetILNS1_3genE8ELNS1_11target_archE1030ELNS1_3gpuE2ELNS1_3repE0EEENS1_30default_config_static_selectorELNS0_4arch9wavefront6targetE1EEEvT1_
    .private_segment_fixed_size: 0
    .sgpr_count:     6
    .sgpr_spill_count: 0
    .symbol:         _ZN7rocprim17ROCPRIM_400000_NS6detail17trampoline_kernelINS0_14default_configENS1_27scan_by_key_config_selectorIiiEEZZNS1_16scan_by_key_implILNS1_25lookback_scan_determinismE0ELb0ES3_PKiN6hipcub16HIPCUB_304000_NS21ConstantInputIteratorIilEEPiiNSB_3SumENSB_8EqualityEiEE10hipError_tPvRmT2_T3_T4_T5_mT6_T7_P12ihipStream_tbENKUlT_T0_E_clISt17integral_constantIbLb0EESW_IbLb1EEEEDaSS_ST_EUlSS_E_NS1_11comp_targetILNS1_3genE8ELNS1_11target_archE1030ELNS1_3gpuE2ELNS1_3repE0EEENS1_30default_config_static_selectorELNS0_4arch9wavefront6targetE1EEEvT1_.kd
    .uniform_work_group_size: 1
    .uses_dynamic_stack: false
    .vgpr_count:     0
    .vgpr_spill_count: 0
    .wavefront_size: 64
  - .agpr_count:     0
    .args:
      - .address_space:  global
        .offset:         0
        .size:           8
        .value_kind:     global_buffer
      - .offset:         8
        .size:           4
        .value_kind:     by_value
      - .offset:         12
        .size:           4
        .value_kind:     by_value
      - .address_space:  global
        .offset:         16
        .size:           8
        .value_kind:     global_buffer
      - .address_space:  global
        .offset:         24
        .size:           8
        .value_kind:     global_buffer
      - .actual_access:  write_only
        .address_space:  global
        .offset:         32
        .size:           8
        .value_kind:     global_buffer
      - .offset:         40
        .size:           8
        .value_kind:     by_value
      - .offset:         48
        .size:           4
        .value_kind:     by_value
      - .offset:         52
        .size:           1
        .value_kind:     by_value
      - .offset:         56
        .size:           4
        .value_kind:     hidden_block_count_x
      - .offset:         60
        .size:           4
        .value_kind:     hidden_block_count_y
      - .offset:         64
        .size:           4
        .value_kind:     hidden_block_count_z
      - .offset:         68
        .size:           2
        .value_kind:     hidden_group_size_x
      - .offset:         70
        .size:           2
        .value_kind:     hidden_group_size_y
      - .offset:         72
        .size:           2
        .value_kind:     hidden_group_size_z
      - .offset:         74
        .size:           2
        .value_kind:     hidden_remainder_x
      - .offset:         76
        .size:           2
        .value_kind:     hidden_remainder_y
      - .offset:         78
        .size:           2
        .value_kind:     hidden_remainder_z
      - .offset:         96
        .size:           8
        .value_kind:     hidden_global_offset_x
      - .offset:         104
        .size:           8
        .value_kind:     hidden_global_offset_y
      - .offset:         112
        .size:           8
        .value_kind:     hidden_global_offset_z
      - .offset:         120
        .size:           2
        .value_kind:     hidden_grid_dims
    .group_segment_fixed_size: 0
    .kernarg_segment_align: 8
    .kernarg_segment_size: 312
    .language:       OpenCL C
    .language_version:
      - 2
      - 0
    .max_flat_workgroup_size: 256
    .name:           _ZN7rocprim17ROCPRIM_400000_NS6detail30init_device_scan_by_key_kernelINS1_19lookback_scan_stateINS0_5tupleIJibEEELb0ELb1EEEN6thrust23THRUST_200600_302600_NS16reverse_iteratorIPKiEEjNS1_16block_id_wrapperIjLb0EEEEEvT_jjPNSF_10value_typeET0_PNSt15iterator_traitsISI_E10value_typeEmT1_T2_
    .private_segment_fixed_size: 0
    .sgpr_count:     26
    .sgpr_spill_count: 0
    .symbol:         _ZN7rocprim17ROCPRIM_400000_NS6detail30init_device_scan_by_key_kernelINS1_19lookback_scan_stateINS0_5tupleIJibEEELb0ELb1EEEN6thrust23THRUST_200600_302600_NS16reverse_iteratorIPKiEEjNS1_16block_id_wrapperIjLb0EEEEEvT_jjPNSF_10value_typeET0_PNSt15iterator_traitsISI_E10value_typeEmT1_T2_.kd
    .uniform_work_group_size: 1
    .uses_dynamic_stack: false
    .vgpr_count:     10
    .vgpr_spill_count: 0
    .wavefront_size: 64
  - .agpr_count:     0
    .args:
      - .offset:         0
        .size:           112
        .value_kind:     by_value
    .group_segment_fixed_size: 0
    .kernarg_segment_align: 8
    .kernarg_segment_size: 112
    .language:       OpenCL C
    .language_version:
      - 2
      - 0
    .max_flat_workgroup_size: 256
    .name:           _ZN7rocprim17ROCPRIM_400000_NS6detail17trampoline_kernelINS0_14default_configENS1_27scan_by_key_config_selectorIiiEEZZNS1_16scan_by_key_implILNS1_25lookback_scan_determinismE0ELb0ES3_N6thrust23THRUST_200600_302600_NS16reverse_iteratorIPKiEESD_NSA_IPiEEiN6hipcub16HIPCUB_304000_NS3MaxENSH_8EqualityEiEE10hipError_tPvRmT2_T3_T4_T5_mT6_T7_P12ihipStream_tbENKUlT_T0_E_clISt17integral_constantIbLb0EES10_EEDaSV_SW_EUlSV_E_NS1_11comp_targetILNS1_3genE0ELNS1_11target_archE4294967295ELNS1_3gpuE0ELNS1_3repE0EEENS1_30default_config_static_selectorELNS0_4arch9wavefront6targetE1EEEvT1_
    .private_segment_fixed_size: 0
    .sgpr_count:     6
    .sgpr_spill_count: 0
    .symbol:         _ZN7rocprim17ROCPRIM_400000_NS6detail17trampoline_kernelINS0_14default_configENS1_27scan_by_key_config_selectorIiiEEZZNS1_16scan_by_key_implILNS1_25lookback_scan_determinismE0ELb0ES3_N6thrust23THRUST_200600_302600_NS16reverse_iteratorIPKiEESD_NSA_IPiEEiN6hipcub16HIPCUB_304000_NS3MaxENSH_8EqualityEiEE10hipError_tPvRmT2_T3_T4_T5_mT6_T7_P12ihipStream_tbENKUlT_T0_E_clISt17integral_constantIbLb0EES10_EEDaSV_SW_EUlSV_E_NS1_11comp_targetILNS1_3genE0ELNS1_11target_archE4294967295ELNS1_3gpuE0ELNS1_3repE0EEENS1_30default_config_static_selectorELNS0_4arch9wavefront6targetE1EEEvT1_.kd
    .uniform_work_group_size: 1
    .uses_dynamic_stack: false
    .vgpr_count:     0
    .vgpr_spill_count: 0
    .wavefront_size: 64
  - .agpr_count:     0
    .args:
      - .offset:         0
        .size:           112
        .value_kind:     by_value
    .group_segment_fixed_size: 0
    .kernarg_segment_align: 8
    .kernarg_segment_size: 112
    .language:       OpenCL C
    .language_version:
      - 2
      - 0
    .max_flat_workgroup_size: 256
    .name:           _ZN7rocprim17ROCPRIM_400000_NS6detail17trampoline_kernelINS0_14default_configENS1_27scan_by_key_config_selectorIiiEEZZNS1_16scan_by_key_implILNS1_25lookback_scan_determinismE0ELb0ES3_N6thrust23THRUST_200600_302600_NS16reverse_iteratorIPKiEESD_NSA_IPiEEiN6hipcub16HIPCUB_304000_NS3MaxENSH_8EqualityEiEE10hipError_tPvRmT2_T3_T4_T5_mT6_T7_P12ihipStream_tbENKUlT_T0_E_clISt17integral_constantIbLb0EES10_EEDaSV_SW_EUlSV_E_NS1_11comp_targetILNS1_3genE10ELNS1_11target_archE1201ELNS1_3gpuE5ELNS1_3repE0EEENS1_30default_config_static_selectorELNS0_4arch9wavefront6targetE1EEEvT1_
    .private_segment_fixed_size: 0
    .sgpr_count:     6
    .sgpr_spill_count: 0
    .symbol:         _ZN7rocprim17ROCPRIM_400000_NS6detail17trampoline_kernelINS0_14default_configENS1_27scan_by_key_config_selectorIiiEEZZNS1_16scan_by_key_implILNS1_25lookback_scan_determinismE0ELb0ES3_N6thrust23THRUST_200600_302600_NS16reverse_iteratorIPKiEESD_NSA_IPiEEiN6hipcub16HIPCUB_304000_NS3MaxENSH_8EqualityEiEE10hipError_tPvRmT2_T3_T4_T5_mT6_T7_P12ihipStream_tbENKUlT_T0_E_clISt17integral_constantIbLb0EES10_EEDaSV_SW_EUlSV_E_NS1_11comp_targetILNS1_3genE10ELNS1_11target_archE1201ELNS1_3gpuE5ELNS1_3repE0EEENS1_30default_config_static_selectorELNS0_4arch9wavefront6targetE1EEEvT1_.kd
    .uniform_work_group_size: 1
    .uses_dynamic_stack: false
    .vgpr_count:     0
    .vgpr_spill_count: 0
    .wavefront_size: 64
  - .agpr_count:     0
    .args:
      - .offset:         0
        .size:           112
        .value_kind:     by_value
    .group_segment_fixed_size: 25600
    .kernarg_segment_align: 8
    .kernarg_segment_size: 112
    .language:       OpenCL C
    .language_version:
      - 2
      - 0
    .max_flat_workgroup_size: 256
    .name:           _ZN7rocprim17ROCPRIM_400000_NS6detail17trampoline_kernelINS0_14default_configENS1_27scan_by_key_config_selectorIiiEEZZNS1_16scan_by_key_implILNS1_25lookback_scan_determinismE0ELb0ES3_N6thrust23THRUST_200600_302600_NS16reverse_iteratorIPKiEESD_NSA_IPiEEiN6hipcub16HIPCUB_304000_NS3MaxENSH_8EqualityEiEE10hipError_tPvRmT2_T3_T4_T5_mT6_T7_P12ihipStream_tbENKUlT_T0_E_clISt17integral_constantIbLb0EES10_EEDaSV_SW_EUlSV_E_NS1_11comp_targetILNS1_3genE5ELNS1_11target_archE942ELNS1_3gpuE9ELNS1_3repE0EEENS1_30default_config_static_selectorELNS0_4arch9wavefront6targetE1EEEvT1_
    .private_segment_fixed_size: 0
    .sgpr_count:     87
    .sgpr_spill_count: 0
    .symbol:         _ZN7rocprim17ROCPRIM_400000_NS6detail17trampoline_kernelINS0_14default_configENS1_27scan_by_key_config_selectorIiiEEZZNS1_16scan_by_key_implILNS1_25lookback_scan_determinismE0ELb0ES3_N6thrust23THRUST_200600_302600_NS16reverse_iteratorIPKiEESD_NSA_IPiEEiN6hipcub16HIPCUB_304000_NS3MaxENSH_8EqualityEiEE10hipError_tPvRmT2_T3_T4_T5_mT6_T7_P12ihipStream_tbENKUlT_T0_E_clISt17integral_constantIbLb0EES10_EEDaSV_SW_EUlSV_E_NS1_11comp_targetILNS1_3genE5ELNS1_11target_archE942ELNS1_3gpuE9ELNS1_3repE0EEENS1_30default_config_static_selectorELNS0_4arch9wavefront6targetE1EEEvT1_.kd
    .uniform_work_group_size: 1
    .uses_dynamic_stack: false
    .vgpr_count:     81
    .vgpr_spill_count: 0
    .wavefront_size: 64
  - .agpr_count:     0
    .args:
      - .offset:         0
        .size:           112
        .value_kind:     by_value
    .group_segment_fixed_size: 0
    .kernarg_segment_align: 8
    .kernarg_segment_size: 112
    .language:       OpenCL C
    .language_version:
      - 2
      - 0
    .max_flat_workgroup_size: 256
    .name:           _ZN7rocprim17ROCPRIM_400000_NS6detail17trampoline_kernelINS0_14default_configENS1_27scan_by_key_config_selectorIiiEEZZNS1_16scan_by_key_implILNS1_25lookback_scan_determinismE0ELb0ES3_N6thrust23THRUST_200600_302600_NS16reverse_iteratorIPKiEESD_NSA_IPiEEiN6hipcub16HIPCUB_304000_NS3MaxENSH_8EqualityEiEE10hipError_tPvRmT2_T3_T4_T5_mT6_T7_P12ihipStream_tbENKUlT_T0_E_clISt17integral_constantIbLb0EES10_EEDaSV_SW_EUlSV_E_NS1_11comp_targetILNS1_3genE4ELNS1_11target_archE910ELNS1_3gpuE8ELNS1_3repE0EEENS1_30default_config_static_selectorELNS0_4arch9wavefront6targetE1EEEvT1_
    .private_segment_fixed_size: 0
    .sgpr_count:     6
    .sgpr_spill_count: 0
    .symbol:         _ZN7rocprim17ROCPRIM_400000_NS6detail17trampoline_kernelINS0_14default_configENS1_27scan_by_key_config_selectorIiiEEZZNS1_16scan_by_key_implILNS1_25lookback_scan_determinismE0ELb0ES3_N6thrust23THRUST_200600_302600_NS16reverse_iteratorIPKiEESD_NSA_IPiEEiN6hipcub16HIPCUB_304000_NS3MaxENSH_8EqualityEiEE10hipError_tPvRmT2_T3_T4_T5_mT6_T7_P12ihipStream_tbENKUlT_T0_E_clISt17integral_constantIbLb0EES10_EEDaSV_SW_EUlSV_E_NS1_11comp_targetILNS1_3genE4ELNS1_11target_archE910ELNS1_3gpuE8ELNS1_3repE0EEENS1_30default_config_static_selectorELNS0_4arch9wavefront6targetE1EEEvT1_.kd
    .uniform_work_group_size: 1
    .uses_dynamic_stack: false
    .vgpr_count:     0
    .vgpr_spill_count: 0
    .wavefront_size: 64
  - .agpr_count:     0
    .args:
      - .offset:         0
        .size:           112
        .value_kind:     by_value
    .group_segment_fixed_size: 0
    .kernarg_segment_align: 8
    .kernarg_segment_size: 112
    .language:       OpenCL C
    .language_version:
      - 2
      - 0
    .max_flat_workgroup_size: 256
    .name:           _ZN7rocprim17ROCPRIM_400000_NS6detail17trampoline_kernelINS0_14default_configENS1_27scan_by_key_config_selectorIiiEEZZNS1_16scan_by_key_implILNS1_25lookback_scan_determinismE0ELb0ES3_N6thrust23THRUST_200600_302600_NS16reverse_iteratorIPKiEESD_NSA_IPiEEiN6hipcub16HIPCUB_304000_NS3MaxENSH_8EqualityEiEE10hipError_tPvRmT2_T3_T4_T5_mT6_T7_P12ihipStream_tbENKUlT_T0_E_clISt17integral_constantIbLb0EES10_EEDaSV_SW_EUlSV_E_NS1_11comp_targetILNS1_3genE3ELNS1_11target_archE908ELNS1_3gpuE7ELNS1_3repE0EEENS1_30default_config_static_selectorELNS0_4arch9wavefront6targetE1EEEvT1_
    .private_segment_fixed_size: 0
    .sgpr_count:     6
    .sgpr_spill_count: 0
    .symbol:         _ZN7rocprim17ROCPRIM_400000_NS6detail17trampoline_kernelINS0_14default_configENS1_27scan_by_key_config_selectorIiiEEZZNS1_16scan_by_key_implILNS1_25lookback_scan_determinismE0ELb0ES3_N6thrust23THRUST_200600_302600_NS16reverse_iteratorIPKiEESD_NSA_IPiEEiN6hipcub16HIPCUB_304000_NS3MaxENSH_8EqualityEiEE10hipError_tPvRmT2_T3_T4_T5_mT6_T7_P12ihipStream_tbENKUlT_T0_E_clISt17integral_constantIbLb0EES10_EEDaSV_SW_EUlSV_E_NS1_11comp_targetILNS1_3genE3ELNS1_11target_archE908ELNS1_3gpuE7ELNS1_3repE0EEENS1_30default_config_static_selectorELNS0_4arch9wavefront6targetE1EEEvT1_.kd
    .uniform_work_group_size: 1
    .uses_dynamic_stack: false
    .vgpr_count:     0
    .vgpr_spill_count: 0
    .wavefront_size: 64
  - .agpr_count:     0
    .args:
      - .offset:         0
        .size:           112
        .value_kind:     by_value
    .group_segment_fixed_size: 0
    .kernarg_segment_align: 8
    .kernarg_segment_size: 112
    .language:       OpenCL C
    .language_version:
      - 2
      - 0
    .max_flat_workgroup_size: 256
    .name:           _ZN7rocprim17ROCPRIM_400000_NS6detail17trampoline_kernelINS0_14default_configENS1_27scan_by_key_config_selectorIiiEEZZNS1_16scan_by_key_implILNS1_25lookback_scan_determinismE0ELb0ES3_N6thrust23THRUST_200600_302600_NS16reverse_iteratorIPKiEESD_NSA_IPiEEiN6hipcub16HIPCUB_304000_NS3MaxENSH_8EqualityEiEE10hipError_tPvRmT2_T3_T4_T5_mT6_T7_P12ihipStream_tbENKUlT_T0_E_clISt17integral_constantIbLb0EES10_EEDaSV_SW_EUlSV_E_NS1_11comp_targetILNS1_3genE2ELNS1_11target_archE906ELNS1_3gpuE6ELNS1_3repE0EEENS1_30default_config_static_selectorELNS0_4arch9wavefront6targetE1EEEvT1_
    .private_segment_fixed_size: 0
    .sgpr_count:     6
    .sgpr_spill_count: 0
    .symbol:         _ZN7rocprim17ROCPRIM_400000_NS6detail17trampoline_kernelINS0_14default_configENS1_27scan_by_key_config_selectorIiiEEZZNS1_16scan_by_key_implILNS1_25lookback_scan_determinismE0ELb0ES3_N6thrust23THRUST_200600_302600_NS16reverse_iteratorIPKiEESD_NSA_IPiEEiN6hipcub16HIPCUB_304000_NS3MaxENSH_8EqualityEiEE10hipError_tPvRmT2_T3_T4_T5_mT6_T7_P12ihipStream_tbENKUlT_T0_E_clISt17integral_constantIbLb0EES10_EEDaSV_SW_EUlSV_E_NS1_11comp_targetILNS1_3genE2ELNS1_11target_archE906ELNS1_3gpuE6ELNS1_3repE0EEENS1_30default_config_static_selectorELNS0_4arch9wavefront6targetE1EEEvT1_.kd
    .uniform_work_group_size: 1
    .uses_dynamic_stack: false
    .vgpr_count:     0
    .vgpr_spill_count: 0
    .wavefront_size: 64
  - .agpr_count:     0
    .args:
      - .offset:         0
        .size:           112
        .value_kind:     by_value
    .group_segment_fixed_size: 0
    .kernarg_segment_align: 8
    .kernarg_segment_size: 112
    .language:       OpenCL C
    .language_version:
      - 2
      - 0
    .max_flat_workgroup_size: 256
    .name:           _ZN7rocprim17ROCPRIM_400000_NS6detail17trampoline_kernelINS0_14default_configENS1_27scan_by_key_config_selectorIiiEEZZNS1_16scan_by_key_implILNS1_25lookback_scan_determinismE0ELb0ES3_N6thrust23THRUST_200600_302600_NS16reverse_iteratorIPKiEESD_NSA_IPiEEiN6hipcub16HIPCUB_304000_NS3MaxENSH_8EqualityEiEE10hipError_tPvRmT2_T3_T4_T5_mT6_T7_P12ihipStream_tbENKUlT_T0_E_clISt17integral_constantIbLb0EES10_EEDaSV_SW_EUlSV_E_NS1_11comp_targetILNS1_3genE10ELNS1_11target_archE1200ELNS1_3gpuE4ELNS1_3repE0EEENS1_30default_config_static_selectorELNS0_4arch9wavefront6targetE1EEEvT1_
    .private_segment_fixed_size: 0
    .sgpr_count:     6
    .sgpr_spill_count: 0
    .symbol:         _ZN7rocprim17ROCPRIM_400000_NS6detail17trampoline_kernelINS0_14default_configENS1_27scan_by_key_config_selectorIiiEEZZNS1_16scan_by_key_implILNS1_25lookback_scan_determinismE0ELb0ES3_N6thrust23THRUST_200600_302600_NS16reverse_iteratorIPKiEESD_NSA_IPiEEiN6hipcub16HIPCUB_304000_NS3MaxENSH_8EqualityEiEE10hipError_tPvRmT2_T3_T4_T5_mT6_T7_P12ihipStream_tbENKUlT_T0_E_clISt17integral_constantIbLb0EES10_EEDaSV_SW_EUlSV_E_NS1_11comp_targetILNS1_3genE10ELNS1_11target_archE1200ELNS1_3gpuE4ELNS1_3repE0EEENS1_30default_config_static_selectorELNS0_4arch9wavefront6targetE1EEEvT1_.kd
    .uniform_work_group_size: 1
    .uses_dynamic_stack: false
    .vgpr_count:     0
    .vgpr_spill_count: 0
    .wavefront_size: 64
  - .agpr_count:     0
    .args:
      - .offset:         0
        .size:           112
        .value_kind:     by_value
    .group_segment_fixed_size: 0
    .kernarg_segment_align: 8
    .kernarg_segment_size: 112
    .language:       OpenCL C
    .language_version:
      - 2
      - 0
    .max_flat_workgroup_size: 256
    .name:           _ZN7rocprim17ROCPRIM_400000_NS6detail17trampoline_kernelINS0_14default_configENS1_27scan_by_key_config_selectorIiiEEZZNS1_16scan_by_key_implILNS1_25lookback_scan_determinismE0ELb0ES3_N6thrust23THRUST_200600_302600_NS16reverse_iteratorIPKiEESD_NSA_IPiEEiN6hipcub16HIPCUB_304000_NS3MaxENSH_8EqualityEiEE10hipError_tPvRmT2_T3_T4_T5_mT6_T7_P12ihipStream_tbENKUlT_T0_E_clISt17integral_constantIbLb0EES10_EEDaSV_SW_EUlSV_E_NS1_11comp_targetILNS1_3genE9ELNS1_11target_archE1100ELNS1_3gpuE3ELNS1_3repE0EEENS1_30default_config_static_selectorELNS0_4arch9wavefront6targetE1EEEvT1_
    .private_segment_fixed_size: 0
    .sgpr_count:     6
    .sgpr_spill_count: 0
    .symbol:         _ZN7rocprim17ROCPRIM_400000_NS6detail17trampoline_kernelINS0_14default_configENS1_27scan_by_key_config_selectorIiiEEZZNS1_16scan_by_key_implILNS1_25lookback_scan_determinismE0ELb0ES3_N6thrust23THRUST_200600_302600_NS16reverse_iteratorIPKiEESD_NSA_IPiEEiN6hipcub16HIPCUB_304000_NS3MaxENSH_8EqualityEiEE10hipError_tPvRmT2_T3_T4_T5_mT6_T7_P12ihipStream_tbENKUlT_T0_E_clISt17integral_constantIbLb0EES10_EEDaSV_SW_EUlSV_E_NS1_11comp_targetILNS1_3genE9ELNS1_11target_archE1100ELNS1_3gpuE3ELNS1_3repE0EEENS1_30default_config_static_selectorELNS0_4arch9wavefront6targetE1EEEvT1_.kd
    .uniform_work_group_size: 1
    .uses_dynamic_stack: false
    .vgpr_count:     0
    .vgpr_spill_count: 0
    .wavefront_size: 64
  - .agpr_count:     0
    .args:
      - .offset:         0
        .size:           112
        .value_kind:     by_value
    .group_segment_fixed_size: 0
    .kernarg_segment_align: 8
    .kernarg_segment_size: 112
    .language:       OpenCL C
    .language_version:
      - 2
      - 0
    .max_flat_workgroup_size: 256
    .name:           _ZN7rocprim17ROCPRIM_400000_NS6detail17trampoline_kernelINS0_14default_configENS1_27scan_by_key_config_selectorIiiEEZZNS1_16scan_by_key_implILNS1_25lookback_scan_determinismE0ELb0ES3_N6thrust23THRUST_200600_302600_NS16reverse_iteratorIPKiEESD_NSA_IPiEEiN6hipcub16HIPCUB_304000_NS3MaxENSH_8EqualityEiEE10hipError_tPvRmT2_T3_T4_T5_mT6_T7_P12ihipStream_tbENKUlT_T0_E_clISt17integral_constantIbLb0EES10_EEDaSV_SW_EUlSV_E_NS1_11comp_targetILNS1_3genE8ELNS1_11target_archE1030ELNS1_3gpuE2ELNS1_3repE0EEENS1_30default_config_static_selectorELNS0_4arch9wavefront6targetE1EEEvT1_
    .private_segment_fixed_size: 0
    .sgpr_count:     6
    .sgpr_spill_count: 0
    .symbol:         _ZN7rocprim17ROCPRIM_400000_NS6detail17trampoline_kernelINS0_14default_configENS1_27scan_by_key_config_selectorIiiEEZZNS1_16scan_by_key_implILNS1_25lookback_scan_determinismE0ELb0ES3_N6thrust23THRUST_200600_302600_NS16reverse_iteratorIPKiEESD_NSA_IPiEEiN6hipcub16HIPCUB_304000_NS3MaxENSH_8EqualityEiEE10hipError_tPvRmT2_T3_T4_T5_mT6_T7_P12ihipStream_tbENKUlT_T0_E_clISt17integral_constantIbLb0EES10_EEDaSV_SW_EUlSV_E_NS1_11comp_targetILNS1_3genE8ELNS1_11target_archE1030ELNS1_3gpuE2ELNS1_3repE0EEENS1_30default_config_static_selectorELNS0_4arch9wavefront6targetE1EEEvT1_.kd
    .uniform_work_group_size: 1
    .uses_dynamic_stack: false
    .vgpr_count:     0
    .vgpr_spill_count: 0
    .wavefront_size: 64
  - .agpr_count:     0
    .args:
      - .address_space:  global
        .offset:         0
        .size:           8
        .value_kind:     global_buffer
      - .offset:         8
        .size:           4
        .value_kind:     by_value
      - .offset:         12
        .size:           4
        .value_kind:     by_value
      - .address_space:  global
        .offset:         16
        .size:           8
        .value_kind:     global_buffer
      - .address_space:  global
        .offset:         24
        .size:           8
        .value_kind:     global_buffer
      - .actual_access:  write_only
        .address_space:  global
        .offset:         32
        .size:           8
        .value_kind:     global_buffer
      - .offset:         40
        .size:           8
        .value_kind:     by_value
      - .offset:         48
        .size:           4
        .value_kind:     by_value
      - .address_space:  global
        .offset:         56
        .size:           8
        .value_kind:     global_buffer
      - .offset:         64
        .size:           4
        .value_kind:     hidden_block_count_x
      - .offset:         68
        .size:           4
        .value_kind:     hidden_block_count_y
      - .offset:         72
        .size:           4
        .value_kind:     hidden_block_count_z
      - .offset:         76
        .size:           2
        .value_kind:     hidden_group_size_x
      - .offset:         78
        .size:           2
        .value_kind:     hidden_group_size_y
      - .offset:         80
        .size:           2
        .value_kind:     hidden_group_size_z
      - .offset:         82
        .size:           2
        .value_kind:     hidden_remainder_x
      - .offset:         84
        .size:           2
        .value_kind:     hidden_remainder_y
      - .offset:         86
        .size:           2
        .value_kind:     hidden_remainder_z
      - .offset:         104
        .size:           8
        .value_kind:     hidden_global_offset_x
      - .offset:         112
        .size:           8
        .value_kind:     hidden_global_offset_y
      - .offset:         120
        .size:           8
        .value_kind:     hidden_global_offset_z
      - .offset:         128
        .size:           2
        .value_kind:     hidden_grid_dims
    .group_segment_fixed_size: 0
    .kernarg_segment_align: 8
    .kernarg_segment_size: 320
    .language:       OpenCL C
    .language_version:
      - 2
      - 0
    .max_flat_workgroup_size: 256
    .name:           _ZN7rocprim17ROCPRIM_400000_NS6detail30init_device_scan_by_key_kernelINS1_19lookback_scan_stateINS0_5tupleIJibEEELb1ELb1EEEN6thrust23THRUST_200600_302600_NS16reverse_iteratorIPKiEEjNS1_16block_id_wrapperIjLb1EEEEEvT_jjPNSF_10value_typeET0_PNSt15iterator_traitsISI_E10value_typeEmT1_T2_
    .private_segment_fixed_size: 0
    .sgpr_count:     26
    .sgpr_spill_count: 0
    .symbol:         _ZN7rocprim17ROCPRIM_400000_NS6detail30init_device_scan_by_key_kernelINS1_19lookback_scan_stateINS0_5tupleIJibEEELb1ELb1EEEN6thrust23THRUST_200600_302600_NS16reverse_iteratorIPKiEEjNS1_16block_id_wrapperIjLb1EEEEEvT_jjPNSF_10value_typeET0_PNSt15iterator_traitsISI_E10value_typeEmT1_T2_.kd
    .uniform_work_group_size: 1
    .uses_dynamic_stack: false
    .vgpr_count:     10
    .vgpr_spill_count: 0
    .wavefront_size: 64
  - .agpr_count:     0
    .args:
      - .offset:         0
        .size:           112
        .value_kind:     by_value
    .group_segment_fixed_size: 0
    .kernarg_segment_align: 8
    .kernarg_segment_size: 112
    .language:       OpenCL C
    .language_version:
      - 2
      - 0
    .max_flat_workgroup_size: 256
    .name:           _ZN7rocprim17ROCPRIM_400000_NS6detail17trampoline_kernelINS0_14default_configENS1_27scan_by_key_config_selectorIiiEEZZNS1_16scan_by_key_implILNS1_25lookback_scan_determinismE0ELb0ES3_N6thrust23THRUST_200600_302600_NS16reverse_iteratorIPKiEESD_NSA_IPiEEiN6hipcub16HIPCUB_304000_NS3MaxENSH_8EqualityEiEE10hipError_tPvRmT2_T3_T4_T5_mT6_T7_P12ihipStream_tbENKUlT_T0_E_clISt17integral_constantIbLb1EES10_EEDaSV_SW_EUlSV_E_NS1_11comp_targetILNS1_3genE0ELNS1_11target_archE4294967295ELNS1_3gpuE0ELNS1_3repE0EEENS1_30default_config_static_selectorELNS0_4arch9wavefront6targetE1EEEvT1_
    .private_segment_fixed_size: 0
    .sgpr_count:     6
    .sgpr_spill_count: 0
    .symbol:         _ZN7rocprim17ROCPRIM_400000_NS6detail17trampoline_kernelINS0_14default_configENS1_27scan_by_key_config_selectorIiiEEZZNS1_16scan_by_key_implILNS1_25lookback_scan_determinismE0ELb0ES3_N6thrust23THRUST_200600_302600_NS16reverse_iteratorIPKiEESD_NSA_IPiEEiN6hipcub16HIPCUB_304000_NS3MaxENSH_8EqualityEiEE10hipError_tPvRmT2_T3_T4_T5_mT6_T7_P12ihipStream_tbENKUlT_T0_E_clISt17integral_constantIbLb1EES10_EEDaSV_SW_EUlSV_E_NS1_11comp_targetILNS1_3genE0ELNS1_11target_archE4294967295ELNS1_3gpuE0ELNS1_3repE0EEENS1_30default_config_static_selectorELNS0_4arch9wavefront6targetE1EEEvT1_.kd
    .uniform_work_group_size: 1
    .uses_dynamic_stack: false
    .vgpr_count:     0
    .vgpr_spill_count: 0
    .wavefront_size: 64
  - .agpr_count:     0
    .args:
      - .offset:         0
        .size:           112
        .value_kind:     by_value
    .group_segment_fixed_size: 0
    .kernarg_segment_align: 8
    .kernarg_segment_size: 112
    .language:       OpenCL C
    .language_version:
      - 2
      - 0
    .max_flat_workgroup_size: 256
    .name:           _ZN7rocprim17ROCPRIM_400000_NS6detail17trampoline_kernelINS0_14default_configENS1_27scan_by_key_config_selectorIiiEEZZNS1_16scan_by_key_implILNS1_25lookback_scan_determinismE0ELb0ES3_N6thrust23THRUST_200600_302600_NS16reverse_iteratorIPKiEESD_NSA_IPiEEiN6hipcub16HIPCUB_304000_NS3MaxENSH_8EqualityEiEE10hipError_tPvRmT2_T3_T4_T5_mT6_T7_P12ihipStream_tbENKUlT_T0_E_clISt17integral_constantIbLb1EES10_EEDaSV_SW_EUlSV_E_NS1_11comp_targetILNS1_3genE10ELNS1_11target_archE1201ELNS1_3gpuE5ELNS1_3repE0EEENS1_30default_config_static_selectorELNS0_4arch9wavefront6targetE1EEEvT1_
    .private_segment_fixed_size: 0
    .sgpr_count:     6
    .sgpr_spill_count: 0
    .symbol:         _ZN7rocprim17ROCPRIM_400000_NS6detail17trampoline_kernelINS0_14default_configENS1_27scan_by_key_config_selectorIiiEEZZNS1_16scan_by_key_implILNS1_25lookback_scan_determinismE0ELb0ES3_N6thrust23THRUST_200600_302600_NS16reverse_iteratorIPKiEESD_NSA_IPiEEiN6hipcub16HIPCUB_304000_NS3MaxENSH_8EqualityEiEE10hipError_tPvRmT2_T3_T4_T5_mT6_T7_P12ihipStream_tbENKUlT_T0_E_clISt17integral_constantIbLb1EES10_EEDaSV_SW_EUlSV_E_NS1_11comp_targetILNS1_3genE10ELNS1_11target_archE1201ELNS1_3gpuE5ELNS1_3repE0EEENS1_30default_config_static_selectorELNS0_4arch9wavefront6targetE1EEEvT1_.kd
    .uniform_work_group_size: 1
    .uses_dynamic_stack: false
    .vgpr_count:     0
    .vgpr_spill_count: 0
    .wavefront_size: 64
  - .agpr_count:     0
    .args:
      - .offset:         0
        .size:           112
        .value_kind:     by_value
    .group_segment_fixed_size: 25600
    .kernarg_segment_align: 8
    .kernarg_segment_size: 112
    .language:       OpenCL C
    .language_version:
      - 2
      - 0
    .max_flat_workgroup_size: 256
    .name:           _ZN7rocprim17ROCPRIM_400000_NS6detail17trampoline_kernelINS0_14default_configENS1_27scan_by_key_config_selectorIiiEEZZNS1_16scan_by_key_implILNS1_25lookback_scan_determinismE0ELb0ES3_N6thrust23THRUST_200600_302600_NS16reverse_iteratorIPKiEESD_NSA_IPiEEiN6hipcub16HIPCUB_304000_NS3MaxENSH_8EqualityEiEE10hipError_tPvRmT2_T3_T4_T5_mT6_T7_P12ihipStream_tbENKUlT_T0_E_clISt17integral_constantIbLb1EES10_EEDaSV_SW_EUlSV_E_NS1_11comp_targetILNS1_3genE5ELNS1_11target_archE942ELNS1_3gpuE9ELNS1_3repE0EEENS1_30default_config_static_selectorELNS0_4arch9wavefront6targetE1EEEvT1_
    .private_segment_fixed_size: 0
    .sgpr_count:     91
    .sgpr_spill_count: 0
    .symbol:         _ZN7rocprim17ROCPRIM_400000_NS6detail17trampoline_kernelINS0_14default_configENS1_27scan_by_key_config_selectorIiiEEZZNS1_16scan_by_key_implILNS1_25lookback_scan_determinismE0ELb0ES3_N6thrust23THRUST_200600_302600_NS16reverse_iteratorIPKiEESD_NSA_IPiEEiN6hipcub16HIPCUB_304000_NS3MaxENSH_8EqualityEiEE10hipError_tPvRmT2_T3_T4_T5_mT6_T7_P12ihipStream_tbENKUlT_T0_E_clISt17integral_constantIbLb1EES10_EEDaSV_SW_EUlSV_E_NS1_11comp_targetILNS1_3genE5ELNS1_11target_archE942ELNS1_3gpuE9ELNS1_3repE0EEENS1_30default_config_static_selectorELNS0_4arch9wavefront6targetE1EEEvT1_.kd
    .uniform_work_group_size: 1
    .uses_dynamic_stack: false
    .vgpr_count:     81
    .vgpr_spill_count: 0
    .wavefront_size: 64
  - .agpr_count:     0
    .args:
      - .offset:         0
        .size:           112
        .value_kind:     by_value
    .group_segment_fixed_size: 0
    .kernarg_segment_align: 8
    .kernarg_segment_size: 112
    .language:       OpenCL C
    .language_version:
      - 2
      - 0
    .max_flat_workgroup_size: 256
    .name:           _ZN7rocprim17ROCPRIM_400000_NS6detail17trampoline_kernelINS0_14default_configENS1_27scan_by_key_config_selectorIiiEEZZNS1_16scan_by_key_implILNS1_25lookback_scan_determinismE0ELb0ES3_N6thrust23THRUST_200600_302600_NS16reverse_iteratorIPKiEESD_NSA_IPiEEiN6hipcub16HIPCUB_304000_NS3MaxENSH_8EqualityEiEE10hipError_tPvRmT2_T3_T4_T5_mT6_T7_P12ihipStream_tbENKUlT_T0_E_clISt17integral_constantIbLb1EES10_EEDaSV_SW_EUlSV_E_NS1_11comp_targetILNS1_3genE4ELNS1_11target_archE910ELNS1_3gpuE8ELNS1_3repE0EEENS1_30default_config_static_selectorELNS0_4arch9wavefront6targetE1EEEvT1_
    .private_segment_fixed_size: 0
    .sgpr_count:     6
    .sgpr_spill_count: 0
    .symbol:         _ZN7rocprim17ROCPRIM_400000_NS6detail17trampoline_kernelINS0_14default_configENS1_27scan_by_key_config_selectorIiiEEZZNS1_16scan_by_key_implILNS1_25lookback_scan_determinismE0ELb0ES3_N6thrust23THRUST_200600_302600_NS16reverse_iteratorIPKiEESD_NSA_IPiEEiN6hipcub16HIPCUB_304000_NS3MaxENSH_8EqualityEiEE10hipError_tPvRmT2_T3_T4_T5_mT6_T7_P12ihipStream_tbENKUlT_T0_E_clISt17integral_constantIbLb1EES10_EEDaSV_SW_EUlSV_E_NS1_11comp_targetILNS1_3genE4ELNS1_11target_archE910ELNS1_3gpuE8ELNS1_3repE0EEENS1_30default_config_static_selectorELNS0_4arch9wavefront6targetE1EEEvT1_.kd
    .uniform_work_group_size: 1
    .uses_dynamic_stack: false
    .vgpr_count:     0
    .vgpr_spill_count: 0
    .wavefront_size: 64
  - .agpr_count:     0
    .args:
      - .offset:         0
        .size:           112
        .value_kind:     by_value
    .group_segment_fixed_size: 0
    .kernarg_segment_align: 8
    .kernarg_segment_size: 112
    .language:       OpenCL C
    .language_version:
      - 2
      - 0
    .max_flat_workgroup_size: 256
    .name:           _ZN7rocprim17ROCPRIM_400000_NS6detail17trampoline_kernelINS0_14default_configENS1_27scan_by_key_config_selectorIiiEEZZNS1_16scan_by_key_implILNS1_25lookback_scan_determinismE0ELb0ES3_N6thrust23THRUST_200600_302600_NS16reverse_iteratorIPKiEESD_NSA_IPiEEiN6hipcub16HIPCUB_304000_NS3MaxENSH_8EqualityEiEE10hipError_tPvRmT2_T3_T4_T5_mT6_T7_P12ihipStream_tbENKUlT_T0_E_clISt17integral_constantIbLb1EES10_EEDaSV_SW_EUlSV_E_NS1_11comp_targetILNS1_3genE3ELNS1_11target_archE908ELNS1_3gpuE7ELNS1_3repE0EEENS1_30default_config_static_selectorELNS0_4arch9wavefront6targetE1EEEvT1_
    .private_segment_fixed_size: 0
    .sgpr_count:     6
    .sgpr_spill_count: 0
    .symbol:         _ZN7rocprim17ROCPRIM_400000_NS6detail17trampoline_kernelINS0_14default_configENS1_27scan_by_key_config_selectorIiiEEZZNS1_16scan_by_key_implILNS1_25lookback_scan_determinismE0ELb0ES3_N6thrust23THRUST_200600_302600_NS16reverse_iteratorIPKiEESD_NSA_IPiEEiN6hipcub16HIPCUB_304000_NS3MaxENSH_8EqualityEiEE10hipError_tPvRmT2_T3_T4_T5_mT6_T7_P12ihipStream_tbENKUlT_T0_E_clISt17integral_constantIbLb1EES10_EEDaSV_SW_EUlSV_E_NS1_11comp_targetILNS1_3genE3ELNS1_11target_archE908ELNS1_3gpuE7ELNS1_3repE0EEENS1_30default_config_static_selectorELNS0_4arch9wavefront6targetE1EEEvT1_.kd
    .uniform_work_group_size: 1
    .uses_dynamic_stack: false
    .vgpr_count:     0
    .vgpr_spill_count: 0
    .wavefront_size: 64
  - .agpr_count:     0
    .args:
      - .offset:         0
        .size:           112
        .value_kind:     by_value
    .group_segment_fixed_size: 0
    .kernarg_segment_align: 8
    .kernarg_segment_size: 112
    .language:       OpenCL C
    .language_version:
      - 2
      - 0
    .max_flat_workgroup_size: 256
    .name:           _ZN7rocprim17ROCPRIM_400000_NS6detail17trampoline_kernelINS0_14default_configENS1_27scan_by_key_config_selectorIiiEEZZNS1_16scan_by_key_implILNS1_25lookback_scan_determinismE0ELb0ES3_N6thrust23THRUST_200600_302600_NS16reverse_iteratorIPKiEESD_NSA_IPiEEiN6hipcub16HIPCUB_304000_NS3MaxENSH_8EqualityEiEE10hipError_tPvRmT2_T3_T4_T5_mT6_T7_P12ihipStream_tbENKUlT_T0_E_clISt17integral_constantIbLb1EES10_EEDaSV_SW_EUlSV_E_NS1_11comp_targetILNS1_3genE2ELNS1_11target_archE906ELNS1_3gpuE6ELNS1_3repE0EEENS1_30default_config_static_selectorELNS0_4arch9wavefront6targetE1EEEvT1_
    .private_segment_fixed_size: 0
    .sgpr_count:     6
    .sgpr_spill_count: 0
    .symbol:         _ZN7rocprim17ROCPRIM_400000_NS6detail17trampoline_kernelINS0_14default_configENS1_27scan_by_key_config_selectorIiiEEZZNS1_16scan_by_key_implILNS1_25lookback_scan_determinismE0ELb0ES3_N6thrust23THRUST_200600_302600_NS16reverse_iteratorIPKiEESD_NSA_IPiEEiN6hipcub16HIPCUB_304000_NS3MaxENSH_8EqualityEiEE10hipError_tPvRmT2_T3_T4_T5_mT6_T7_P12ihipStream_tbENKUlT_T0_E_clISt17integral_constantIbLb1EES10_EEDaSV_SW_EUlSV_E_NS1_11comp_targetILNS1_3genE2ELNS1_11target_archE906ELNS1_3gpuE6ELNS1_3repE0EEENS1_30default_config_static_selectorELNS0_4arch9wavefront6targetE1EEEvT1_.kd
    .uniform_work_group_size: 1
    .uses_dynamic_stack: false
    .vgpr_count:     0
    .vgpr_spill_count: 0
    .wavefront_size: 64
  - .agpr_count:     0
    .args:
      - .offset:         0
        .size:           112
        .value_kind:     by_value
    .group_segment_fixed_size: 0
    .kernarg_segment_align: 8
    .kernarg_segment_size: 112
    .language:       OpenCL C
    .language_version:
      - 2
      - 0
    .max_flat_workgroup_size: 256
    .name:           _ZN7rocprim17ROCPRIM_400000_NS6detail17trampoline_kernelINS0_14default_configENS1_27scan_by_key_config_selectorIiiEEZZNS1_16scan_by_key_implILNS1_25lookback_scan_determinismE0ELb0ES3_N6thrust23THRUST_200600_302600_NS16reverse_iteratorIPKiEESD_NSA_IPiEEiN6hipcub16HIPCUB_304000_NS3MaxENSH_8EqualityEiEE10hipError_tPvRmT2_T3_T4_T5_mT6_T7_P12ihipStream_tbENKUlT_T0_E_clISt17integral_constantIbLb1EES10_EEDaSV_SW_EUlSV_E_NS1_11comp_targetILNS1_3genE10ELNS1_11target_archE1200ELNS1_3gpuE4ELNS1_3repE0EEENS1_30default_config_static_selectorELNS0_4arch9wavefront6targetE1EEEvT1_
    .private_segment_fixed_size: 0
    .sgpr_count:     6
    .sgpr_spill_count: 0
    .symbol:         _ZN7rocprim17ROCPRIM_400000_NS6detail17trampoline_kernelINS0_14default_configENS1_27scan_by_key_config_selectorIiiEEZZNS1_16scan_by_key_implILNS1_25lookback_scan_determinismE0ELb0ES3_N6thrust23THRUST_200600_302600_NS16reverse_iteratorIPKiEESD_NSA_IPiEEiN6hipcub16HIPCUB_304000_NS3MaxENSH_8EqualityEiEE10hipError_tPvRmT2_T3_T4_T5_mT6_T7_P12ihipStream_tbENKUlT_T0_E_clISt17integral_constantIbLb1EES10_EEDaSV_SW_EUlSV_E_NS1_11comp_targetILNS1_3genE10ELNS1_11target_archE1200ELNS1_3gpuE4ELNS1_3repE0EEENS1_30default_config_static_selectorELNS0_4arch9wavefront6targetE1EEEvT1_.kd
    .uniform_work_group_size: 1
    .uses_dynamic_stack: false
    .vgpr_count:     0
    .vgpr_spill_count: 0
    .wavefront_size: 64
  - .agpr_count:     0
    .args:
      - .offset:         0
        .size:           112
        .value_kind:     by_value
    .group_segment_fixed_size: 0
    .kernarg_segment_align: 8
    .kernarg_segment_size: 112
    .language:       OpenCL C
    .language_version:
      - 2
      - 0
    .max_flat_workgroup_size: 256
    .name:           _ZN7rocprim17ROCPRIM_400000_NS6detail17trampoline_kernelINS0_14default_configENS1_27scan_by_key_config_selectorIiiEEZZNS1_16scan_by_key_implILNS1_25lookback_scan_determinismE0ELb0ES3_N6thrust23THRUST_200600_302600_NS16reverse_iteratorIPKiEESD_NSA_IPiEEiN6hipcub16HIPCUB_304000_NS3MaxENSH_8EqualityEiEE10hipError_tPvRmT2_T3_T4_T5_mT6_T7_P12ihipStream_tbENKUlT_T0_E_clISt17integral_constantIbLb1EES10_EEDaSV_SW_EUlSV_E_NS1_11comp_targetILNS1_3genE9ELNS1_11target_archE1100ELNS1_3gpuE3ELNS1_3repE0EEENS1_30default_config_static_selectorELNS0_4arch9wavefront6targetE1EEEvT1_
    .private_segment_fixed_size: 0
    .sgpr_count:     6
    .sgpr_spill_count: 0
    .symbol:         _ZN7rocprim17ROCPRIM_400000_NS6detail17trampoline_kernelINS0_14default_configENS1_27scan_by_key_config_selectorIiiEEZZNS1_16scan_by_key_implILNS1_25lookback_scan_determinismE0ELb0ES3_N6thrust23THRUST_200600_302600_NS16reverse_iteratorIPKiEESD_NSA_IPiEEiN6hipcub16HIPCUB_304000_NS3MaxENSH_8EqualityEiEE10hipError_tPvRmT2_T3_T4_T5_mT6_T7_P12ihipStream_tbENKUlT_T0_E_clISt17integral_constantIbLb1EES10_EEDaSV_SW_EUlSV_E_NS1_11comp_targetILNS1_3genE9ELNS1_11target_archE1100ELNS1_3gpuE3ELNS1_3repE0EEENS1_30default_config_static_selectorELNS0_4arch9wavefront6targetE1EEEvT1_.kd
    .uniform_work_group_size: 1
    .uses_dynamic_stack: false
    .vgpr_count:     0
    .vgpr_spill_count: 0
    .wavefront_size: 64
  - .agpr_count:     0
    .args:
      - .offset:         0
        .size:           112
        .value_kind:     by_value
    .group_segment_fixed_size: 0
    .kernarg_segment_align: 8
    .kernarg_segment_size: 112
    .language:       OpenCL C
    .language_version:
      - 2
      - 0
    .max_flat_workgroup_size: 256
    .name:           _ZN7rocprim17ROCPRIM_400000_NS6detail17trampoline_kernelINS0_14default_configENS1_27scan_by_key_config_selectorIiiEEZZNS1_16scan_by_key_implILNS1_25lookback_scan_determinismE0ELb0ES3_N6thrust23THRUST_200600_302600_NS16reverse_iteratorIPKiEESD_NSA_IPiEEiN6hipcub16HIPCUB_304000_NS3MaxENSH_8EqualityEiEE10hipError_tPvRmT2_T3_T4_T5_mT6_T7_P12ihipStream_tbENKUlT_T0_E_clISt17integral_constantIbLb1EES10_EEDaSV_SW_EUlSV_E_NS1_11comp_targetILNS1_3genE8ELNS1_11target_archE1030ELNS1_3gpuE2ELNS1_3repE0EEENS1_30default_config_static_selectorELNS0_4arch9wavefront6targetE1EEEvT1_
    .private_segment_fixed_size: 0
    .sgpr_count:     6
    .sgpr_spill_count: 0
    .symbol:         _ZN7rocprim17ROCPRIM_400000_NS6detail17trampoline_kernelINS0_14default_configENS1_27scan_by_key_config_selectorIiiEEZZNS1_16scan_by_key_implILNS1_25lookback_scan_determinismE0ELb0ES3_N6thrust23THRUST_200600_302600_NS16reverse_iteratorIPKiEESD_NSA_IPiEEiN6hipcub16HIPCUB_304000_NS3MaxENSH_8EqualityEiEE10hipError_tPvRmT2_T3_T4_T5_mT6_T7_P12ihipStream_tbENKUlT_T0_E_clISt17integral_constantIbLb1EES10_EEDaSV_SW_EUlSV_E_NS1_11comp_targetILNS1_3genE8ELNS1_11target_archE1030ELNS1_3gpuE2ELNS1_3repE0EEENS1_30default_config_static_selectorELNS0_4arch9wavefront6targetE1EEEvT1_.kd
    .uniform_work_group_size: 1
    .uses_dynamic_stack: false
    .vgpr_count:     0
    .vgpr_spill_count: 0
    .wavefront_size: 64
  - .agpr_count:     0
    .args:
      - .address_space:  global
        .offset:         0
        .size:           8
        .value_kind:     global_buffer
      - .offset:         8
        .size:           4
        .value_kind:     by_value
      - .offset:         12
        .size:           4
        .value_kind:     by_value
      - .address_space:  global
        .offset:         16
        .size:           8
        .value_kind:     global_buffer
      - .address_space:  global
        .offset:         24
        .size:           8
        .value_kind:     global_buffer
      - .actual_access:  write_only
        .address_space:  global
        .offset:         32
        .size:           8
        .value_kind:     global_buffer
      - .offset:         40
        .size:           8
        .value_kind:     by_value
      - .offset:         48
        .size:           4
        .value_kind:     by_value
      - .offset:         52
        .size:           1
        .value_kind:     by_value
      - .offset:         56
        .size:           4
        .value_kind:     hidden_block_count_x
      - .offset:         60
        .size:           4
        .value_kind:     hidden_block_count_y
      - .offset:         64
        .size:           4
        .value_kind:     hidden_block_count_z
      - .offset:         68
        .size:           2
        .value_kind:     hidden_group_size_x
      - .offset:         70
        .size:           2
        .value_kind:     hidden_group_size_y
      - .offset:         72
        .size:           2
        .value_kind:     hidden_group_size_z
      - .offset:         74
        .size:           2
        .value_kind:     hidden_remainder_x
      - .offset:         76
        .size:           2
        .value_kind:     hidden_remainder_y
      - .offset:         78
        .size:           2
        .value_kind:     hidden_remainder_z
      - .offset:         96
        .size:           8
        .value_kind:     hidden_global_offset_x
      - .offset:         104
        .size:           8
        .value_kind:     hidden_global_offset_y
      - .offset:         112
        .size:           8
        .value_kind:     hidden_global_offset_z
      - .offset:         120
        .size:           2
        .value_kind:     hidden_grid_dims
    .group_segment_fixed_size: 0
    .kernarg_segment_align: 8
    .kernarg_segment_size: 312
    .language:       OpenCL C
    .language_version:
      - 2
      - 0
    .max_flat_workgroup_size: 256
    .name:           _ZN7rocprim17ROCPRIM_400000_NS6detail30init_device_scan_by_key_kernelINS1_19lookback_scan_stateINS0_5tupleIJibEEELb1ELb1EEEN6thrust23THRUST_200600_302600_NS16reverse_iteratorIPKiEEjNS1_16block_id_wrapperIjLb0EEEEEvT_jjPNSF_10value_typeET0_PNSt15iterator_traitsISI_E10value_typeEmT1_T2_
    .private_segment_fixed_size: 0
    .sgpr_count:     26
    .sgpr_spill_count: 0
    .symbol:         _ZN7rocprim17ROCPRIM_400000_NS6detail30init_device_scan_by_key_kernelINS1_19lookback_scan_stateINS0_5tupleIJibEEELb1ELb1EEEN6thrust23THRUST_200600_302600_NS16reverse_iteratorIPKiEEjNS1_16block_id_wrapperIjLb0EEEEEvT_jjPNSF_10value_typeET0_PNSt15iterator_traitsISI_E10value_typeEmT1_T2_.kd
    .uniform_work_group_size: 1
    .uses_dynamic_stack: false
    .vgpr_count:     10
    .vgpr_spill_count: 0
    .wavefront_size: 64
  - .agpr_count:     0
    .args:
      - .offset:         0
        .size:           112
        .value_kind:     by_value
    .group_segment_fixed_size: 0
    .kernarg_segment_align: 8
    .kernarg_segment_size: 112
    .language:       OpenCL C
    .language_version:
      - 2
      - 0
    .max_flat_workgroup_size: 256
    .name:           _ZN7rocprim17ROCPRIM_400000_NS6detail17trampoline_kernelINS0_14default_configENS1_27scan_by_key_config_selectorIiiEEZZNS1_16scan_by_key_implILNS1_25lookback_scan_determinismE0ELb0ES3_N6thrust23THRUST_200600_302600_NS16reverse_iteratorIPKiEESD_NSA_IPiEEiN6hipcub16HIPCUB_304000_NS3MaxENSH_8EqualityEiEE10hipError_tPvRmT2_T3_T4_T5_mT6_T7_P12ihipStream_tbENKUlT_T0_E_clISt17integral_constantIbLb1EESZ_IbLb0EEEEDaSV_SW_EUlSV_E_NS1_11comp_targetILNS1_3genE0ELNS1_11target_archE4294967295ELNS1_3gpuE0ELNS1_3repE0EEENS1_30default_config_static_selectorELNS0_4arch9wavefront6targetE1EEEvT1_
    .private_segment_fixed_size: 0
    .sgpr_count:     6
    .sgpr_spill_count: 0
    .symbol:         _ZN7rocprim17ROCPRIM_400000_NS6detail17trampoline_kernelINS0_14default_configENS1_27scan_by_key_config_selectorIiiEEZZNS1_16scan_by_key_implILNS1_25lookback_scan_determinismE0ELb0ES3_N6thrust23THRUST_200600_302600_NS16reverse_iteratorIPKiEESD_NSA_IPiEEiN6hipcub16HIPCUB_304000_NS3MaxENSH_8EqualityEiEE10hipError_tPvRmT2_T3_T4_T5_mT6_T7_P12ihipStream_tbENKUlT_T0_E_clISt17integral_constantIbLb1EESZ_IbLb0EEEEDaSV_SW_EUlSV_E_NS1_11comp_targetILNS1_3genE0ELNS1_11target_archE4294967295ELNS1_3gpuE0ELNS1_3repE0EEENS1_30default_config_static_selectorELNS0_4arch9wavefront6targetE1EEEvT1_.kd
    .uniform_work_group_size: 1
    .uses_dynamic_stack: false
    .vgpr_count:     0
    .vgpr_spill_count: 0
    .wavefront_size: 64
  - .agpr_count:     0
    .args:
      - .offset:         0
        .size:           112
        .value_kind:     by_value
    .group_segment_fixed_size: 0
    .kernarg_segment_align: 8
    .kernarg_segment_size: 112
    .language:       OpenCL C
    .language_version:
      - 2
      - 0
    .max_flat_workgroup_size: 256
    .name:           _ZN7rocprim17ROCPRIM_400000_NS6detail17trampoline_kernelINS0_14default_configENS1_27scan_by_key_config_selectorIiiEEZZNS1_16scan_by_key_implILNS1_25lookback_scan_determinismE0ELb0ES3_N6thrust23THRUST_200600_302600_NS16reverse_iteratorIPKiEESD_NSA_IPiEEiN6hipcub16HIPCUB_304000_NS3MaxENSH_8EqualityEiEE10hipError_tPvRmT2_T3_T4_T5_mT6_T7_P12ihipStream_tbENKUlT_T0_E_clISt17integral_constantIbLb1EESZ_IbLb0EEEEDaSV_SW_EUlSV_E_NS1_11comp_targetILNS1_3genE10ELNS1_11target_archE1201ELNS1_3gpuE5ELNS1_3repE0EEENS1_30default_config_static_selectorELNS0_4arch9wavefront6targetE1EEEvT1_
    .private_segment_fixed_size: 0
    .sgpr_count:     6
    .sgpr_spill_count: 0
    .symbol:         _ZN7rocprim17ROCPRIM_400000_NS6detail17trampoline_kernelINS0_14default_configENS1_27scan_by_key_config_selectorIiiEEZZNS1_16scan_by_key_implILNS1_25lookback_scan_determinismE0ELb0ES3_N6thrust23THRUST_200600_302600_NS16reverse_iteratorIPKiEESD_NSA_IPiEEiN6hipcub16HIPCUB_304000_NS3MaxENSH_8EqualityEiEE10hipError_tPvRmT2_T3_T4_T5_mT6_T7_P12ihipStream_tbENKUlT_T0_E_clISt17integral_constantIbLb1EESZ_IbLb0EEEEDaSV_SW_EUlSV_E_NS1_11comp_targetILNS1_3genE10ELNS1_11target_archE1201ELNS1_3gpuE5ELNS1_3repE0EEENS1_30default_config_static_selectorELNS0_4arch9wavefront6targetE1EEEvT1_.kd
    .uniform_work_group_size: 1
    .uses_dynamic_stack: false
    .vgpr_count:     0
    .vgpr_spill_count: 0
    .wavefront_size: 64
  - .agpr_count:     0
    .args:
      - .offset:         0
        .size:           112
        .value_kind:     by_value
    .group_segment_fixed_size: 25600
    .kernarg_segment_align: 8
    .kernarg_segment_size: 112
    .language:       OpenCL C
    .language_version:
      - 2
      - 0
    .max_flat_workgroup_size: 256
    .name:           _ZN7rocprim17ROCPRIM_400000_NS6detail17trampoline_kernelINS0_14default_configENS1_27scan_by_key_config_selectorIiiEEZZNS1_16scan_by_key_implILNS1_25lookback_scan_determinismE0ELb0ES3_N6thrust23THRUST_200600_302600_NS16reverse_iteratorIPKiEESD_NSA_IPiEEiN6hipcub16HIPCUB_304000_NS3MaxENSH_8EqualityEiEE10hipError_tPvRmT2_T3_T4_T5_mT6_T7_P12ihipStream_tbENKUlT_T0_E_clISt17integral_constantIbLb1EESZ_IbLb0EEEEDaSV_SW_EUlSV_E_NS1_11comp_targetILNS1_3genE5ELNS1_11target_archE942ELNS1_3gpuE9ELNS1_3repE0EEENS1_30default_config_static_selectorELNS0_4arch9wavefront6targetE1EEEvT1_
    .private_segment_fixed_size: 0
    .sgpr_count:     87
    .sgpr_spill_count: 0
    .symbol:         _ZN7rocprim17ROCPRIM_400000_NS6detail17trampoline_kernelINS0_14default_configENS1_27scan_by_key_config_selectorIiiEEZZNS1_16scan_by_key_implILNS1_25lookback_scan_determinismE0ELb0ES3_N6thrust23THRUST_200600_302600_NS16reverse_iteratorIPKiEESD_NSA_IPiEEiN6hipcub16HIPCUB_304000_NS3MaxENSH_8EqualityEiEE10hipError_tPvRmT2_T3_T4_T5_mT6_T7_P12ihipStream_tbENKUlT_T0_E_clISt17integral_constantIbLb1EESZ_IbLb0EEEEDaSV_SW_EUlSV_E_NS1_11comp_targetILNS1_3genE5ELNS1_11target_archE942ELNS1_3gpuE9ELNS1_3repE0EEENS1_30default_config_static_selectorELNS0_4arch9wavefront6targetE1EEEvT1_.kd
    .uniform_work_group_size: 1
    .uses_dynamic_stack: false
    .vgpr_count:     81
    .vgpr_spill_count: 0
    .wavefront_size: 64
  - .agpr_count:     0
    .args:
      - .offset:         0
        .size:           112
        .value_kind:     by_value
    .group_segment_fixed_size: 0
    .kernarg_segment_align: 8
    .kernarg_segment_size: 112
    .language:       OpenCL C
    .language_version:
      - 2
      - 0
    .max_flat_workgroup_size: 256
    .name:           _ZN7rocprim17ROCPRIM_400000_NS6detail17trampoline_kernelINS0_14default_configENS1_27scan_by_key_config_selectorIiiEEZZNS1_16scan_by_key_implILNS1_25lookback_scan_determinismE0ELb0ES3_N6thrust23THRUST_200600_302600_NS16reverse_iteratorIPKiEESD_NSA_IPiEEiN6hipcub16HIPCUB_304000_NS3MaxENSH_8EqualityEiEE10hipError_tPvRmT2_T3_T4_T5_mT6_T7_P12ihipStream_tbENKUlT_T0_E_clISt17integral_constantIbLb1EESZ_IbLb0EEEEDaSV_SW_EUlSV_E_NS1_11comp_targetILNS1_3genE4ELNS1_11target_archE910ELNS1_3gpuE8ELNS1_3repE0EEENS1_30default_config_static_selectorELNS0_4arch9wavefront6targetE1EEEvT1_
    .private_segment_fixed_size: 0
    .sgpr_count:     6
    .sgpr_spill_count: 0
    .symbol:         _ZN7rocprim17ROCPRIM_400000_NS6detail17trampoline_kernelINS0_14default_configENS1_27scan_by_key_config_selectorIiiEEZZNS1_16scan_by_key_implILNS1_25lookback_scan_determinismE0ELb0ES3_N6thrust23THRUST_200600_302600_NS16reverse_iteratorIPKiEESD_NSA_IPiEEiN6hipcub16HIPCUB_304000_NS3MaxENSH_8EqualityEiEE10hipError_tPvRmT2_T3_T4_T5_mT6_T7_P12ihipStream_tbENKUlT_T0_E_clISt17integral_constantIbLb1EESZ_IbLb0EEEEDaSV_SW_EUlSV_E_NS1_11comp_targetILNS1_3genE4ELNS1_11target_archE910ELNS1_3gpuE8ELNS1_3repE0EEENS1_30default_config_static_selectorELNS0_4arch9wavefront6targetE1EEEvT1_.kd
    .uniform_work_group_size: 1
    .uses_dynamic_stack: false
    .vgpr_count:     0
    .vgpr_spill_count: 0
    .wavefront_size: 64
  - .agpr_count:     0
    .args:
      - .offset:         0
        .size:           112
        .value_kind:     by_value
    .group_segment_fixed_size: 0
    .kernarg_segment_align: 8
    .kernarg_segment_size: 112
    .language:       OpenCL C
    .language_version:
      - 2
      - 0
    .max_flat_workgroup_size: 256
    .name:           _ZN7rocprim17ROCPRIM_400000_NS6detail17trampoline_kernelINS0_14default_configENS1_27scan_by_key_config_selectorIiiEEZZNS1_16scan_by_key_implILNS1_25lookback_scan_determinismE0ELb0ES3_N6thrust23THRUST_200600_302600_NS16reverse_iteratorIPKiEESD_NSA_IPiEEiN6hipcub16HIPCUB_304000_NS3MaxENSH_8EqualityEiEE10hipError_tPvRmT2_T3_T4_T5_mT6_T7_P12ihipStream_tbENKUlT_T0_E_clISt17integral_constantIbLb1EESZ_IbLb0EEEEDaSV_SW_EUlSV_E_NS1_11comp_targetILNS1_3genE3ELNS1_11target_archE908ELNS1_3gpuE7ELNS1_3repE0EEENS1_30default_config_static_selectorELNS0_4arch9wavefront6targetE1EEEvT1_
    .private_segment_fixed_size: 0
    .sgpr_count:     6
    .sgpr_spill_count: 0
    .symbol:         _ZN7rocprim17ROCPRIM_400000_NS6detail17trampoline_kernelINS0_14default_configENS1_27scan_by_key_config_selectorIiiEEZZNS1_16scan_by_key_implILNS1_25lookback_scan_determinismE0ELb0ES3_N6thrust23THRUST_200600_302600_NS16reverse_iteratorIPKiEESD_NSA_IPiEEiN6hipcub16HIPCUB_304000_NS3MaxENSH_8EqualityEiEE10hipError_tPvRmT2_T3_T4_T5_mT6_T7_P12ihipStream_tbENKUlT_T0_E_clISt17integral_constantIbLb1EESZ_IbLb0EEEEDaSV_SW_EUlSV_E_NS1_11comp_targetILNS1_3genE3ELNS1_11target_archE908ELNS1_3gpuE7ELNS1_3repE0EEENS1_30default_config_static_selectorELNS0_4arch9wavefront6targetE1EEEvT1_.kd
    .uniform_work_group_size: 1
    .uses_dynamic_stack: false
    .vgpr_count:     0
    .vgpr_spill_count: 0
    .wavefront_size: 64
  - .agpr_count:     0
    .args:
      - .offset:         0
        .size:           112
        .value_kind:     by_value
    .group_segment_fixed_size: 0
    .kernarg_segment_align: 8
    .kernarg_segment_size: 112
    .language:       OpenCL C
    .language_version:
      - 2
      - 0
    .max_flat_workgroup_size: 256
    .name:           _ZN7rocprim17ROCPRIM_400000_NS6detail17trampoline_kernelINS0_14default_configENS1_27scan_by_key_config_selectorIiiEEZZNS1_16scan_by_key_implILNS1_25lookback_scan_determinismE0ELb0ES3_N6thrust23THRUST_200600_302600_NS16reverse_iteratorIPKiEESD_NSA_IPiEEiN6hipcub16HIPCUB_304000_NS3MaxENSH_8EqualityEiEE10hipError_tPvRmT2_T3_T4_T5_mT6_T7_P12ihipStream_tbENKUlT_T0_E_clISt17integral_constantIbLb1EESZ_IbLb0EEEEDaSV_SW_EUlSV_E_NS1_11comp_targetILNS1_3genE2ELNS1_11target_archE906ELNS1_3gpuE6ELNS1_3repE0EEENS1_30default_config_static_selectorELNS0_4arch9wavefront6targetE1EEEvT1_
    .private_segment_fixed_size: 0
    .sgpr_count:     6
    .sgpr_spill_count: 0
    .symbol:         _ZN7rocprim17ROCPRIM_400000_NS6detail17trampoline_kernelINS0_14default_configENS1_27scan_by_key_config_selectorIiiEEZZNS1_16scan_by_key_implILNS1_25lookback_scan_determinismE0ELb0ES3_N6thrust23THRUST_200600_302600_NS16reverse_iteratorIPKiEESD_NSA_IPiEEiN6hipcub16HIPCUB_304000_NS3MaxENSH_8EqualityEiEE10hipError_tPvRmT2_T3_T4_T5_mT6_T7_P12ihipStream_tbENKUlT_T0_E_clISt17integral_constantIbLb1EESZ_IbLb0EEEEDaSV_SW_EUlSV_E_NS1_11comp_targetILNS1_3genE2ELNS1_11target_archE906ELNS1_3gpuE6ELNS1_3repE0EEENS1_30default_config_static_selectorELNS0_4arch9wavefront6targetE1EEEvT1_.kd
    .uniform_work_group_size: 1
    .uses_dynamic_stack: false
    .vgpr_count:     0
    .vgpr_spill_count: 0
    .wavefront_size: 64
  - .agpr_count:     0
    .args:
      - .offset:         0
        .size:           112
        .value_kind:     by_value
    .group_segment_fixed_size: 0
    .kernarg_segment_align: 8
    .kernarg_segment_size: 112
    .language:       OpenCL C
    .language_version:
      - 2
      - 0
    .max_flat_workgroup_size: 256
    .name:           _ZN7rocprim17ROCPRIM_400000_NS6detail17trampoline_kernelINS0_14default_configENS1_27scan_by_key_config_selectorIiiEEZZNS1_16scan_by_key_implILNS1_25lookback_scan_determinismE0ELb0ES3_N6thrust23THRUST_200600_302600_NS16reverse_iteratorIPKiEESD_NSA_IPiEEiN6hipcub16HIPCUB_304000_NS3MaxENSH_8EqualityEiEE10hipError_tPvRmT2_T3_T4_T5_mT6_T7_P12ihipStream_tbENKUlT_T0_E_clISt17integral_constantIbLb1EESZ_IbLb0EEEEDaSV_SW_EUlSV_E_NS1_11comp_targetILNS1_3genE10ELNS1_11target_archE1200ELNS1_3gpuE4ELNS1_3repE0EEENS1_30default_config_static_selectorELNS0_4arch9wavefront6targetE1EEEvT1_
    .private_segment_fixed_size: 0
    .sgpr_count:     6
    .sgpr_spill_count: 0
    .symbol:         _ZN7rocprim17ROCPRIM_400000_NS6detail17trampoline_kernelINS0_14default_configENS1_27scan_by_key_config_selectorIiiEEZZNS1_16scan_by_key_implILNS1_25lookback_scan_determinismE0ELb0ES3_N6thrust23THRUST_200600_302600_NS16reverse_iteratorIPKiEESD_NSA_IPiEEiN6hipcub16HIPCUB_304000_NS3MaxENSH_8EqualityEiEE10hipError_tPvRmT2_T3_T4_T5_mT6_T7_P12ihipStream_tbENKUlT_T0_E_clISt17integral_constantIbLb1EESZ_IbLb0EEEEDaSV_SW_EUlSV_E_NS1_11comp_targetILNS1_3genE10ELNS1_11target_archE1200ELNS1_3gpuE4ELNS1_3repE0EEENS1_30default_config_static_selectorELNS0_4arch9wavefront6targetE1EEEvT1_.kd
    .uniform_work_group_size: 1
    .uses_dynamic_stack: false
    .vgpr_count:     0
    .vgpr_spill_count: 0
    .wavefront_size: 64
  - .agpr_count:     0
    .args:
      - .offset:         0
        .size:           112
        .value_kind:     by_value
    .group_segment_fixed_size: 0
    .kernarg_segment_align: 8
    .kernarg_segment_size: 112
    .language:       OpenCL C
    .language_version:
      - 2
      - 0
    .max_flat_workgroup_size: 256
    .name:           _ZN7rocprim17ROCPRIM_400000_NS6detail17trampoline_kernelINS0_14default_configENS1_27scan_by_key_config_selectorIiiEEZZNS1_16scan_by_key_implILNS1_25lookback_scan_determinismE0ELb0ES3_N6thrust23THRUST_200600_302600_NS16reverse_iteratorIPKiEESD_NSA_IPiEEiN6hipcub16HIPCUB_304000_NS3MaxENSH_8EqualityEiEE10hipError_tPvRmT2_T3_T4_T5_mT6_T7_P12ihipStream_tbENKUlT_T0_E_clISt17integral_constantIbLb1EESZ_IbLb0EEEEDaSV_SW_EUlSV_E_NS1_11comp_targetILNS1_3genE9ELNS1_11target_archE1100ELNS1_3gpuE3ELNS1_3repE0EEENS1_30default_config_static_selectorELNS0_4arch9wavefront6targetE1EEEvT1_
    .private_segment_fixed_size: 0
    .sgpr_count:     6
    .sgpr_spill_count: 0
    .symbol:         _ZN7rocprim17ROCPRIM_400000_NS6detail17trampoline_kernelINS0_14default_configENS1_27scan_by_key_config_selectorIiiEEZZNS1_16scan_by_key_implILNS1_25lookback_scan_determinismE0ELb0ES3_N6thrust23THRUST_200600_302600_NS16reverse_iteratorIPKiEESD_NSA_IPiEEiN6hipcub16HIPCUB_304000_NS3MaxENSH_8EqualityEiEE10hipError_tPvRmT2_T3_T4_T5_mT6_T7_P12ihipStream_tbENKUlT_T0_E_clISt17integral_constantIbLb1EESZ_IbLb0EEEEDaSV_SW_EUlSV_E_NS1_11comp_targetILNS1_3genE9ELNS1_11target_archE1100ELNS1_3gpuE3ELNS1_3repE0EEENS1_30default_config_static_selectorELNS0_4arch9wavefront6targetE1EEEvT1_.kd
    .uniform_work_group_size: 1
    .uses_dynamic_stack: false
    .vgpr_count:     0
    .vgpr_spill_count: 0
    .wavefront_size: 64
  - .agpr_count:     0
    .args:
      - .offset:         0
        .size:           112
        .value_kind:     by_value
    .group_segment_fixed_size: 0
    .kernarg_segment_align: 8
    .kernarg_segment_size: 112
    .language:       OpenCL C
    .language_version:
      - 2
      - 0
    .max_flat_workgroup_size: 256
    .name:           _ZN7rocprim17ROCPRIM_400000_NS6detail17trampoline_kernelINS0_14default_configENS1_27scan_by_key_config_selectorIiiEEZZNS1_16scan_by_key_implILNS1_25lookback_scan_determinismE0ELb0ES3_N6thrust23THRUST_200600_302600_NS16reverse_iteratorIPKiEESD_NSA_IPiEEiN6hipcub16HIPCUB_304000_NS3MaxENSH_8EqualityEiEE10hipError_tPvRmT2_T3_T4_T5_mT6_T7_P12ihipStream_tbENKUlT_T0_E_clISt17integral_constantIbLb1EESZ_IbLb0EEEEDaSV_SW_EUlSV_E_NS1_11comp_targetILNS1_3genE8ELNS1_11target_archE1030ELNS1_3gpuE2ELNS1_3repE0EEENS1_30default_config_static_selectorELNS0_4arch9wavefront6targetE1EEEvT1_
    .private_segment_fixed_size: 0
    .sgpr_count:     6
    .sgpr_spill_count: 0
    .symbol:         _ZN7rocprim17ROCPRIM_400000_NS6detail17trampoline_kernelINS0_14default_configENS1_27scan_by_key_config_selectorIiiEEZZNS1_16scan_by_key_implILNS1_25lookback_scan_determinismE0ELb0ES3_N6thrust23THRUST_200600_302600_NS16reverse_iteratorIPKiEESD_NSA_IPiEEiN6hipcub16HIPCUB_304000_NS3MaxENSH_8EqualityEiEE10hipError_tPvRmT2_T3_T4_T5_mT6_T7_P12ihipStream_tbENKUlT_T0_E_clISt17integral_constantIbLb1EESZ_IbLb0EEEEDaSV_SW_EUlSV_E_NS1_11comp_targetILNS1_3genE8ELNS1_11target_archE1030ELNS1_3gpuE2ELNS1_3repE0EEENS1_30default_config_static_selectorELNS0_4arch9wavefront6targetE1EEEvT1_.kd
    .uniform_work_group_size: 1
    .uses_dynamic_stack: false
    .vgpr_count:     0
    .vgpr_spill_count: 0
    .wavefront_size: 64
  - .agpr_count:     0
    .args:
      - .address_space:  global
        .offset:         0
        .size:           8
        .value_kind:     global_buffer
      - .offset:         8
        .size:           4
        .value_kind:     by_value
      - .offset:         12
        .size:           4
        .value_kind:     by_value
      - .address_space:  global
        .offset:         16
        .size:           8
        .value_kind:     global_buffer
      - .address_space:  global
        .offset:         24
        .size:           8
        .value_kind:     global_buffer
      - .actual_access:  write_only
        .address_space:  global
        .offset:         32
        .size:           8
        .value_kind:     global_buffer
      - .offset:         40
        .size:           8
        .value_kind:     by_value
      - .offset:         48
        .size:           4
        .value_kind:     by_value
      - .address_space:  global
        .offset:         56
        .size:           8
        .value_kind:     global_buffer
      - .offset:         64
        .size:           4
        .value_kind:     hidden_block_count_x
      - .offset:         68
        .size:           4
        .value_kind:     hidden_block_count_y
      - .offset:         72
        .size:           4
        .value_kind:     hidden_block_count_z
      - .offset:         76
        .size:           2
        .value_kind:     hidden_group_size_x
      - .offset:         78
        .size:           2
        .value_kind:     hidden_group_size_y
      - .offset:         80
        .size:           2
        .value_kind:     hidden_group_size_z
      - .offset:         82
        .size:           2
        .value_kind:     hidden_remainder_x
      - .offset:         84
        .size:           2
        .value_kind:     hidden_remainder_y
      - .offset:         86
        .size:           2
        .value_kind:     hidden_remainder_z
      - .offset:         104
        .size:           8
        .value_kind:     hidden_global_offset_x
      - .offset:         112
        .size:           8
        .value_kind:     hidden_global_offset_y
      - .offset:         120
        .size:           8
        .value_kind:     hidden_global_offset_z
      - .offset:         128
        .size:           2
        .value_kind:     hidden_grid_dims
    .group_segment_fixed_size: 0
    .kernarg_segment_align: 8
    .kernarg_segment_size: 320
    .language:       OpenCL C
    .language_version:
      - 2
      - 0
    .max_flat_workgroup_size: 256
    .name:           _ZN7rocprim17ROCPRIM_400000_NS6detail30init_device_scan_by_key_kernelINS1_19lookback_scan_stateINS0_5tupleIJibEEELb0ELb1EEEN6thrust23THRUST_200600_302600_NS16reverse_iteratorIPKiEEjNS1_16block_id_wrapperIjLb1EEEEEvT_jjPNSF_10value_typeET0_PNSt15iterator_traitsISI_E10value_typeEmT1_T2_
    .private_segment_fixed_size: 0
    .sgpr_count:     26
    .sgpr_spill_count: 0
    .symbol:         _ZN7rocprim17ROCPRIM_400000_NS6detail30init_device_scan_by_key_kernelINS1_19lookback_scan_stateINS0_5tupleIJibEEELb0ELb1EEEN6thrust23THRUST_200600_302600_NS16reverse_iteratorIPKiEEjNS1_16block_id_wrapperIjLb1EEEEEvT_jjPNSF_10value_typeET0_PNSt15iterator_traitsISI_E10value_typeEmT1_T2_.kd
    .uniform_work_group_size: 1
    .uses_dynamic_stack: false
    .vgpr_count:     10
    .vgpr_spill_count: 0
    .wavefront_size: 64
  - .agpr_count:     0
    .args:
      - .offset:         0
        .size:           112
        .value_kind:     by_value
    .group_segment_fixed_size: 0
    .kernarg_segment_align: 8
    .kernarg_segment_size: 112
    .language:       OpenCL C
    .language_version:
      - 2
      - 0
    .max_flat_workgroup_size: 256
    .name:           _ZN7rocprim17ROCPRIM_400000_NS6detail17trampoline_kernelINS0_14default_configENS1_27scan_by_key_config_selectorIiiEEZZNS1_16scan_by_key_implILNS1_25lookback_scan_determinismE0ELb0ES3_N6thrust23THRUST_200600_302600_NS16reverse_iteratorIPKiEESD_NSA_IPiEEiN6hipcub16HIPCUB_304000_NS3MaxENSH_8EqualityEiEE10hipError_tPvRmT2_T3_T4_T5_mT6_T7_P12ihipStream_tbENKUlT_T0_E_clISt17integral_constantIbLb0EESZ_IbLb1EEEEDaSV_SW_EUlSV_E_NS1_11comp_targetILNS1_3genE0ELNS1_11target_archE4294967295ELNS1_3gpuE0ELNS1_3repE0EEENS1_30default_config_static_selectorELNS0_4arch9wavefront6targetE1EEEvT1_
    .private_segment_fixed_size: 0
    .sgpr_count:     6
    .sgpr_spill_count: 0
    .symbol:         _ZN7rocprim17ROCPRIM_400000_NS6detail17trampoline_kernelINS0_14default_configENS1_27scan_by_key_config_selectorIiiEEZZNS1_16scan_by_key_implILNS1_25lookback_scan_determinismE0ELb0ES3_N6thrust23THRUST_200600_302600_NS16reverse_iteratorIPKiEESD_NSA_IPiEEiN6hipcub16HIPCUB_304000_NS3MaxENSH_8EqualityEiEE10hipError_tPvRmT2_T3_T4_T5_mT6_T7_P12ihipStream_tbENKUlT_T0_E_clISt17integral_constantIbLb0EESZ_IbLb1EEEEDaSV_SW_EUlSV_E_NS1_11comp_targetILNS1_3genE0ELNS1_11target_archE4294967295ELNS1_3gpuE0ELNS1_3repE0EEENS1_30default_config_static_selectorELNS0_4arch9wavefront6targetE1EEEvT1_.kd
    .uniform_work_group_size: 1
    .uses_dynamic_stack: false
    .vgpr_count:     0
    .vgpr_spill_count: 0
    .wavefront_size: 64
  - .agpr_count:     0
    .args:
      - .offset:         0
        .size:           112
        .value_kind:     by_value
    .group_segment_fixed_size: 0
    .kernarg_segment_align: 8
    .kernarg_segment_size: 112
    .language:       OpenCL C
    .language_version:
      - 2
      - 0
    .max_flat_workgroup_size: 256
    .name:           _ZN7rocprim17ROCPRIM_400000_NS6detail17trampoline_kernelINS0_14default_configENS1_27scan_by_key_config_selectorIiiEEZZNS1_16scan_by_key_implILNS1_25lookback_scan_determinismE0ELb0ES3_N6thrust23THRUST_200600_302600_NS16reverse_iteratorIPKiEESD_NSA_IPiEEiN6hipcub16HIPCUB_304000_NS3MaxENSH_8EqualityEiEE10hipError_tPvRmT2_T3_T4_T5_mT6_T7_P12ihipStream_tbENKUlT_T0_E_clISt17integral_constantIbLb0EESZ_IbLb1EEEEDaSV_SW_EUlSV_E_NS1_11comp_targetILNS1_3genE10ELNS1_11target_archE1201ELNS1_3gpuE5ELNS1_3repE0EEENS1_30default_config_static_selectorELNS0_4arch9wavefront6targetE1EEEvT1_
    .private_segment_fixed_size: 0
    .sgpr_count:     6
    .sgpr_spill_count: 0
    .symbol:         _ZN7rocprim17ROCPRIM_400000_NS6detail17trampoline_kernelINS0_14default_configENS1_27scan_by_key_config_selectorIiiEEZZNS1_16scan_by_key_implILNS1_25lookback_scan_determinismE0ELb0ES3_N6thrust23THRUST_200600_302600_NS16reverse_iteratorIPKiEESD_NSA_IPiEEiN6hipcub16HIPCUB_304000_NS3MaxENSH_8EqualityEiEE10hipError_tPvRmT2_T3_T4_T5_mT6_T7_P12ihipStream_tbENKUlT_T0_E_clISt17integral_constantIbLb0EESZ_IbLb1EEEEDaSV_SW_EUlSV_E_NS1_11comp_targetILNS1_3genE10ELNS1_11target_archE1201ELNS1_3gpuE5ELNS1_3repE0EEENS1_30default_config_static_selectorELNS0_4arch9wavefront6targetE1EEEvT1_.kd
    .uniform_work_group_size: 1
    .uses_dynamic_stack: false
    .vgpr_count:     0
    .vgpr_spill_count: 0
    .wavefront_size: 64
  - .agpr_count:     0
    .args:
      - .offset:         0
        .size:           112
        .value_kind:     by_value
    .group_segment_fixed_size: 25600
    .kernarg_segment_align: 8
    .kernarg_segment_size: 112
    .language:       OpenCL C
    .language_version:
      - 2
      - 0
    .max_flat_workgroup_size: 256
    .name:           _ZN7rocprim17ROCPRIM_400000_NS6detail17trampoline_kernelINS0_14default_configENS1_27scan_by_key_config_selectorIiiEEZZNS1_16scan_by_key_implILNS1_25lookback_scan_determinismE0ELb0ES3_N6thrust23THRUST_200600_302600_NS16reverse_iteratorIPKiEESD_NSA_IPiEEiN6hipcub16HIPCUB_304000_NS3MaxENSH_8EqualityEiEE10hipError_tPvRmT2_T3_T4_T5_mT6_T7_P12ihipStream_tbENKUlT_T0_E_clISt17integral_constantIbLb0EESZ_IbLb1EEEEDaSV_SW_EUlSV_E_NS1_11comp_targetILNS1_3genE5ELNS1_11target_archE942ELNS1_3gpuE9ELNS1_3repE0EEENS1_30default_config_static_selectorELNS0_4arch9wavefront6targetE1EEEvT1_
    .private_segment_fixed_size: 0
    .sgpr_count:     91
    .sgpr_spill_count: 0
    .symbol:         _ZN7rocprim17ROCPRIM_400000_NS6detail17trampoline_kernelINS0_14default_configENS1_27scan_by_key_config_selectorIiiEEZZNS1_16scan_by_key_implILNS1_25lookback_scan_determinismE0ELb0ES3_N6thrust23THRUST_200600_302600_NS16reverse_iteratorIPKiEESD_NSA_IPiEEiN6hipcub16HIPCUB_304000_NS3MaxENSH_8EqualityEiEE10hipError_tPvRmT2_T3_T4_T5_mT6_T7_P12ihipStream_tbENKUlT_T0_E_clISt17integral_constantIbLb0EESZ_IbLb1EEEEDaSV_SW_EUlSV_E_NS1_11comp_targetILNS1_3genE5ELNS1_11target_archE942ELNS1_3gpuE9ELNS1_3repE0EEENS1_30default_config_static_selectorELNS0_4arch9wavefront6targetE1EEEvT1_.kd
    .uniform_work_group_size: 1
    .uses_dynamic_stack: false
    .vgpr_count:     81
    .vgpr_spill_count: 0
    .wavefront_size: 64
  - .agpr_count:     0
    .args:
      - .offset:         0
        .size:           112
        .value_kind:     by_value
    .group_segment_fixed_size: 0
    .kernarg_segment_align: 8
    .kernarg_segment_size: 112
    .language:       OpenCL C
    .language_version:
      - 2
      - 0
    .max_flat_workgroup_size: 256
    .name:           _ZN7rocprim17ROCPRIM_400000_NS6detail17trampoline_kernelINS0_14default_configENS1_27scan_by_key_config_selectorIiiEEZZNS1_16scan_by_key_implILNS1_25lookback_scan_determinismE0ELb0ES3_N6thrust23THRUST_200600_302600_NS16reverse_iteratorIPKiEESD_NSA_IPiEEiN6hipcub16HIPCUB_304000_NS3MaxENSH_8EqualityEiEE10hipError_tPvRmT2_T3_T4_T5_mT6_T7_P12ihipStream_tbENKUlT_T0_E_clISt17integral_constantIbLb0EESZ_IbLb1EEEEDaSV_SW_EUlSV_E_NS1_11comp_targetILNS1_3genE4ELNS1_11target_archE910ELNS1_3gpuE8ELNS1_3repE0EEENS1_30default_config_static_selectorELNS0_4arch9wavefront6targetE1EEEvT1_
    .private_segment_fixed_size: 0
    .sgpr_count:     6
    .sgpr_spill_count: 0
    .symbol:         _ZN7rocprim17ROCPRIM_400000_NS6detail17trampoline_kernelINS0_14default_configENS1_27scan_by_key_config_selectorIiiEEZZNS1_16scan_by_key_implILNS1_25lookback_scan_determinismE0ELb0ES3_N6thrust23THRUST_200600_302600_NS16reverse_iteratorIPKiEESD_NSA_IPiEEiN6hipcub16HIPCUB_304000_NS3MaxENSH_8EqualityEiEE10hipError_tPvRmT2_T3_T4_T5_mT6_T7_P12ihipStream_tbENKUlT_T0_E_clISt17integral_constantIbLb0EESZ_IbLb1EEEEDaSV_SW_EUlSV_E_NS1_11comp_targetILNS1_3genE4ELNS1_11target_archE910ELNS1_3gpuE8ELNS1_3repE0EEENS1_30default_config_static_selectorELNS0_4arch9wavefront6targetE1EEEvT1_.kd
    .uniform_work_group_size: 1
    .uses_dynamic_stack: false
    .vgpr_count:     0
    .vgpr_spill_count: 0
    .wavefront_size: 64
  - .agpr_count:     0
    .args:
      - .offset:         0
        .size:           112
        .value_kind:     by_value
    .group_segment_fixed_size: 0
    .kernarg_segment_align: 8
    .kernarg_segment_size: 112
    .language:       OpenCL C
    .language_version:
      - 2
      - 0
    .max_flat_workgroup_size: 256
    .name:           _ZN7rocprim17ROCPRIM_400000_NS6detail17trampoline_kernelINS0_14default_configENS1_27scan_by_key_config_selectorIiiEEZZNS1_16scan_by_key_implILNS1_25lookback_scan_determinismE0ELb0ES3_N6thrust23THRUST_200600_302600_NS16reverse_iteratorIPKiEESD_NSA_IPiEEiN6hipcub16HIPCUB_304000_NS3MaxENSH_8EqualityEiEE10hipError_tPvRmT2_T3_T4_T5_mT6_T7_P12ihipStream_tbENKUlT_T0_E_clISt17integral_constantIbLb0EESZ_IbLb1EEEEDaSV_SW_EUlSV_E_NS1_11comp_targetILNS1_3genE3ELNS1_11target_archE908ELNS1_3gpuE7ELNS1_3repE0EEENS1_30default_config_static_selectorELNS0_4arch9wavefront6targetE1EEEvT1_
    .private_segment_fixed_size: 0
    .sgpr_count:     6
    .sgpr_spill_count: 0
    .symbol:         _ZN7rocprim17ROCPRIM_400000_NS6detail17trampoline_kernelINS0_14default_configENS1_27scan_by_key_config_selectorIiiEEZZNS1_16scan_by_key_implILNS1_25lookback_scan_determinismE0ELb0ES3_N6thrust23THRUST_200600_302600_NS16reverse_iteratorIPKiEESD_NSA_IPiEEiN6hipcub16HIPCUB_304000_NS3MaxENSH_8EqualityEiEE10hipError_tPvRmT2_T3_T4_T5_mT6_T7_P12ihipStream_tbENKUlT_T0_E_clISt17integral_constantIbLb0EESZ_IbLb1EEEEDaSV_SW_EUlSV_E_NS1_11comp_targetILNS1_3genE3ELNS1_11target_archE908ELNS1_3gpuE7ELNS1_3repE0EEENS1_30default_config_static_selectorELNS0_4arch9wavefront6targetE1EEEvT1_.kd
    .uniform_work_group_size: 1
    .uses_dynamic_stack: false
    .vgpr_count:     0
    .vgpr_spill_count: 0
    .wavefront_size: 64
  - .agpr_count:     0
    .args:
      - .offset:         0
        .size:           112
        .value_kind:     by_value
    .group_segment_fixed_size: 0
    .kernarg_segment_align: 8
    .kernarg_segment_size: 112
    .language:       OpenCL C
    .language_version:
      - 2
      - 0
    .max_flat_workgroup_size: 256
    .name:           _ZN7rocprim17ROCPRIM_400000_NS6detail17trampoline_kernelINS0_14default_configENS1_27scan_by_key_config_selectorIiiEEZZNS1_16scan_by_key_implILNS1_25lookback_scan_determinismE0ELb0ES3_N6thrust23THRUST_200600_302600_NS16reverse_iteratorIPKiEESD_NSA_IPiEEiN6hipcub16HIPCUB_304000_NS3MaxENSH_8EqualityEiEE10hipError_tPvRmT2_T3_T4_T5_mT6_T7_P12ihipStream_tbENKUlT_T0_E_clISt17integral_constantIbLb0EESZ_IbLb1EEEEDaSV_SW_EUlSV_E_NS1_11comp_targetILNS1_3genE2ELNS1_11target_archE906ELNS1_3gpuE6ELNS1_3repE0EEENS1_30default_config_static_selectorELNS0_4arch9wavefront6targetE1EEEvT1_
    .private_segment_fixed_size: 0
    .sgpr_count:     6
    .sgpr_spill_count: 0
    .symbol:         _ZN7rocprim17ROCPRIM_400000_NS6detail17trampoline_kernelINS0_14default_configENS1_27scan_by_key_config_selectorIiiEEZZNS1_16scan_by_key_implILNS1_25lookback_scan_determinismE0ELb0ES3_N6thrust23THRUST_200600_302600_NS16reverse_iteratorIPKiEESD_NSA_IPiEEiN6hipcub16HIPCUB_304000_NS3MaxENSH_8EqualityEiEE10hipError_tPvRmT2_T3_T4_T5_mT6_T7_P12ihipStream_tbENKUlT_T0_E_clISt17integral_constantIbLb0EESZ_IbLb1EEEEDaSV_SW_EUlSV_E_NS1_11comp_targetILNS1_3genE2ELNS1_11target_archE906ELNS1_3gpuE6ELNS1_3repE0EEENS1_30default_config_static_selectorELNS0_4arch9wavefront6targetE1EEEvT1_.kd
    .uniform_work_group_size: 1
    .uses_dynamic_stack: false
    .vgpr_count:     0
    .vgpr_spill_count: 0
    .wavefront_size: 64
  - .agpr_count:     0
    .args:
      - .offset:         0
        .size:           112
        .value_kind:     by_value
    .group_segment_fixed_size: 0
    .kernarg_segment_align: 8
    .kernarg_segment_size: 112
    .language:       OpenCL C
    .language_version:
      - 2
      - 0
    .max_flat_workgroup_size: 256
    .name:           _ZN7rocprim17ROCPRIM_400000_NS6detail17trampoline_kernelINS0_14default_configENS1_27scan_by_key_config_selectorIiiEEZZNS1_16scan_by_key_implILNS1_25lookback_scan_determinismE0ELb0ES3_N6thrust23THRUST_200600_302600_NS16reverse_iteratorIPKiEESD_NSA_IPiEEiN6hipcub16HIPCUB_304000_NS3MaxENSH_8EqualityEiEE10hipError_tPvRmT2_T3_T4_T5_mT6_T7_P12ihipStream_tbENKUlT_T0_E_clISt17integral_constantIbLb0EESZ_IbLb1EEEEDaSV_SW_EUlSV_E_NS1_11comp_targetILNS1_3genE10ELNS1_11target_archE1200ELNS1_3gpuE4ELNS1_3repE0EEENS1_30default_config_static_selectorELNS0_4arch9wavefront6targetE1EEEvT1_
    .private_segment_fixed_size: 0
    .sgpr_count:     6
    .sgpr_spill_count: 0
    .symbol:         _ZN7rocprim17ROCPRIM_400000_NS6detail17trampoline_kernelINS0_14default_configENS1_27scan_by_key_config_selectorIiiEEZZNS1_16scan_by_key_implILNS1_25lookback_scan_determinismE0ELb0ES3_N6thrust23THRUST_200600_302600_NS16reverse_iteratorIPKiEESD_NSA_IPiEEiN6hipcub16HIPCUB_304000_NS3MaxENSH_8EqualityEiEE10hipError_tPvRmT2_T3_T4_T5_mT6_T7_P12ihipStream_tbENKUlT_T0_E_clISt17integral_constantIbLb0EESZ_IbLb1EEEEDaSV_SW_EUlSV_E_NS1_11comp_targetILNS1_3genE10ELNS1_11target_archE1200ELNS1_3gpuE4ELNS1_3repE0EEENS1_30default_config_static_selectorELNS0_4arch9wavefront6targetE1EEEvT1_.kd
    .uniform_work_group_size: 1
    .uses_dynamic_stack: false
    .vgpr_count:     0
    .vgpr_spill_count: 0
    .wavefront_size: 64
  - .agpr_count:     0
    .args:
      - .offset:         0
        .size:           112
        .value_kind:     by_value
    .group_segment_fixed_size: 0
    .kernarg_segment_align: 8
    .kernarg_segment_size: 112
    .language:       OpenCL C
    .language_version:
      - 2
      - 0
    .max_flat_workgroup_size: 256
    .name:           _ZN7rocprim17ROCPRIM_400000_NS6detail17trampoline_kernelINS0_14default_configENS1_27scan_by_key_config_selectorIiiEEZZNS1_16scan_by_key_implILNS1_25lookback_scan_determinismE0ELb0ES3_N6thrust23THRUST_200600_302600_NS16reverse_iteratorIPKiEESD_NSA_IPiEEiN6hipcub16HIPCUB_304000_NS3MaxENSH_8EqualityEiEE10hipError_tPvRmT2_T3_T4_T5_mT6_T7_P12ihipStream_tbENKUlT_T0_E_clISt17integral_constantIbLb0EESZ_IbLb1EEEEDaSV_SW_EUlSV_E_NS1_11comp_targetILNS1_3genE9ELNS1_11target_archE1100ELNS1_3gpuE3ELNS1_3repE0EEENS1_30default_config_static_selectorELNS0_4arch9wavefront6targetE1EEEvT1_
    .private_segment_fixed_size: 0
    .sgpr_count:     6
    .sgpr_spill_count: 0
    .symbol:         _ZN7rocprim17ROCPRIM_400000_NS6detail17trampoline_kernelINS0_14default_configENS1_27scan_by_key_config_selectorIiiEEZZNS1_16scan_by_key_implILNS1_25lookback_scan_determinismE0ELb0ES3_N6thrust23THRUST_200600_302600_NS16reverse_iteratorIPKiEESD_NSA_IPiEEiN6hipcub16HIPCUB_304000_NS3MaxENSH_8EqualityEiEE10hipError_tPvRmT2_T3_T4_T5_mT6_T7_P12ihipStream_tbENKUlT_T0_E_clISt17integral_constantIbLb0EESZ_IbLb1EEEEDaSV_SW_EUlSV_E_NS1_11comp_targetILNS1_3genE9ELNS1_11target_archE1100ELNS1_3gpuE3ELNS1_3repE0EEENS1_30default_config_static_selectorELNS0_4arch9wavefront6targetE1EEEvT1_.kd
    .uniform_work_group_size: 1
    .uses_dynamic_stack: false
    .vgpr_count:     0
    .vgpr_spill_count: 0
    .wavefront_size: 64
  - .agpr_count:     0
    .args:
      - .offset:         0
        .size:           112
        .value_kind:     by_value
    .group_segment_fixed_size: 0
    .kernarg_segment_align: 8
    .kernarg_segment_size: 112
    .language:       OpenCL C
    .language_version:
      - 2
      - 0
    .max_flat_workgroup_size: 256
    .name:           _ZN7rocprim17ROCPRIM_400000_NS6detail17trampoline_kernelINS0_14default_configENS1_27scan_by_key_config_selectorIiiEEZZNS1_16scan_by_key_implILNS1_25lookback_scan_determinismE0ELb0ES3_N6thrust23THRUST_200600_302600_NS16reverse_iteratorIPKiEESD_NSA_IPiEEiN6hipcub16HIPCUB_304000_NS3MaxENSH_8EqualityEiEE10hipError_tPvRmT2_T3_T4_T5_mT6_T7_P12ihipStream_tbENKUlT_T0_E_clISt17integral_constantIbLb0EESZ_IbLb1EEEEDaSV_SW_EUlSV_E_NS1_11comp_targetILNS1_3genE8ELNS1_11target_archE1030ELNS1_3gpuE2ELNS1_3repE0EEENS1_30default_config_static_selectorELNS0_4arch9wavefront6targetE1EEEvT1_
    .private_segment_fixed_size: 0
    .sgpr_count:     6
    .sgpr_spill_count: 0
    .symbol:         _ZN7rocprim17ROCPRIM_400000_NS6detail17trampoline_kernelINS0_14default_configENS1_27scan_by_key_config_selectorIiiEEZZNS1_16scan_by_key_implILNS1_25lookback_scan_determinismE0ELb0ES3_N6thrust23THRUST_200600_302600_NS16reverse_iteratorIPKiEESD_NSA_IPiEEiN6hipcub16HIPCUB_304000_NS3MaxENSH_8EqualityEiEE10hipError_tPvRmT2_T3_T4_T5_mT6_T7_P12ihipStream_tbENKUlT_T0_E_clISt17integral_constantIbLb0EESZ_IbLb1EEEEDaSV_SW_EUlSV_E_NS1_11comp_targetILNS1_3genE8ELNS1_11target_archE1030ELNS1_3gpuE2ELNS1_3repE0EEENS1_30default_config_static_selectorELNS0_4arch9wavefront6targetE1EEEvT1_.kd
    .uniform_work_group_size: 1
    .uses_dynamic_stack: false
    .vgpr_count:     0
    .vgpr_spill_count: 0
    .wavefront_size: 64
  - .agpr_count:     0
    .args:
      - .offset:         0
        .size:           24
        .value_kind:     by_value
      - .offset:         24
        .size:           4
        .value_kind:     by_value
      - .offset:         28
        .size:           4
        .value_kind:     by_value
      - .address_space:  global
        .offset:         32
        .size:           8
        .value_kind:     global_buffer
      - .address_space:  global
        .offset:         40
        .size:           8
        .value_kind:     global_buffer
      - .actual_access:  write_only
        .address_space:  global
        .offset:         48
        .size:           8
        .value_kind:     global_buffer
      - .offset:         56
        .size:           8
        .value_kind:     by_value
      - .offset:         64
        .size:           4
        .value_kind:     by_value
      - .offset:         68
        .size:           1
        .value_kind:     by_value
      - .offset:         72
        .size:           4
        .value_kind:     hidden_block_count_x
      - .offset:         76
        .size:           4
        .value_kind:     hidden_block_count_y
      - .offset:         80
        .size:           4
        .value_kind:     hidden_block_count_z
      - .offset:         84
        .size:           2
        .value_kind:     hidden_group_size_x
      - .offset:         86
        .size:           2
        .value_kind:     hidden_group_size_y
      - .offset:         88
        .size:           2
        .value_kind:     hidden_group_size_z
      - .offset:         90
        .size:           2
        .value_kind:     hidden_remainder_x
      - .offset:         92
        .size:           2
        .value_kind:     hidden_remainder_y
      - .offset:         94
        .size:           2
        .value_kind:     hidden_remainder_z
      - .offset:         112
        .size:           8
        .value_kind:     hidden_global_offset_x
      - .offset:         120
        .size:           8
        .value_kind:     hidden_global_offset_y
      - .offset:         128
        .size:           8
        .value_kind:     hidden_global_offset_z
      - .offset:         136
        .size:           2
        .value_kind:     hidden_grid_dims
    .group_segment_fixed_size: 0
    .kernarg_segment_align: 8
    .kernarg_segment_size: 328
    .language:       OpenCL C
    .language_version:
      - 2
      - 0
    .max_flat_workgroup_size: 256
    .name:           _ZN7rocprim17ROCPRIM_400000_NS6detail30init_device_scan_by_key_kernelINS1_19lookback_scan_stateINS0_5tupleIJlbEEELb0ELb0EEEPKljNS1_16block_id_wrapperIjLb0EEEEEvT_jjPNSB_10value_typeET0_PNSt15iterator_traitsISE_E10value_typeEmT1_T2_
    .private_segment_fixed_size: 0
    .sgpr_count:     28
    .sgpr_spill_count: 0
    .symbol:         _ZN7rocprim17ROCPRIM_400000_NS6detail30init_device_scan_by_key_kernelINS1_19lookback_scan_stateINS0_5tupleIJlbEEELb0ELb0EEEPKljNS1_16block_id_wrapperIjLb0EEEEEvT_jjPNSB_10value_typeET0_PNSt15iterator_traitsISE_E10value_typeEmT1_T2_.kd
    .uniform_work_group_size: 1
    .uses_dynamic_stack: false
    .vgpr_count:     8
    .vgpr_spill_count: 0
    .wavefront_size: 64
  - .agpr_count:     0
    .args:
      - .offset:         0
        .size:           24
        .value_kind:     by_value
      - .offset:         24
        .size:           4
        .value_kind:     by_value
      - .offset:         28
        .size:           4
        .value_kind:     by_value
      - .address_space:  global
        .offset:         32
        .size:           8
        .value_kind:     global_buffer
      - .offset:         40
        .size:           1
        .value_kind:     by_value
      - .offset:         48
        .size:           4
        .value_kind:     hidden_block_count_x
      - .offset:         52
        .size:           4
        .value_kind:     hidden_block_count_y
      - .offset:         56
        .size:           4
        .value_kind:     hidden_block_count_z
      - .offset:         60
        .size:           2
        .value_kind:     hidden_group_size_x
      - .offset:         62
        .size:           2
        .value_kind:     hidden_group_size_y
      - .offset:         64
        .size:           2
        .value_kind:     hidden_group_size_z
      - .offset:         66
        .size:           2
        .value_kind:     hidden_remainder_x
      - .offset:         68
        .size:           2
        .value_kind:     hidden_remainder_y
      - .offset:         70
        .size:           2
        .value_kind:     hidden_remainder_z
      - .offset:         88
        .size:           8
        .value_kind:     hidden_global_offset_x
      - .offset:         96
        .size:           8
        .value_kind:     hidden_global_offset_y
      - .offset:         104
        .size:           8
        .value_kind:     hidden_global_offset_z
      - .offset:         112
        .size:           2
        .value_kind:     hidden_grid_dims
    .group_segment_fixed_size: 0
    .kernarg_segment_align: 8
    .kernarg_segment_size: 304
    .language:       OpenCL C
    .language_version:
      - 2
      - 0
    .max_flat_workgroup_size: 256
    .name:           _ZN7rocprim17ROCPRIM_400000_NS6detail30init_device_scan_by_key_kernelINS1_19lookback_scan_stateINS0_5tupleIJlbEEELb0ELb0EEENS1_16block_id_wrapperIjLb0EEEEEvT_jjPNS9_10value_typeET0_
    .private_segment_fixed_size: 0
    .sgpr_count:     22
    .sgpr_spill_count: 0
    .symbol:         _ZN7rocprim17ROCPRIM_400000_NS6detail30init_device_scan_by_key_kernelINS1_19lookback_scan_stateINS0_5tupleIJlbEEELb0ELb0EEENS1_16block_id_wrapperIjLb0EEEEEvT_jjPNS9_10value_typeET0_.kd
    .uniform_work_group_size: 1
    .uses_dynamic_stack: false
    .vgpr_count:     6
    .vgpr_spill_count: 0
    .wavefront_size: 64
  - .agpr_count:     0
    .args:
      - .offset:         0
        .size:           144
        .value_kind:     by_value
    .group_segment_fixed_size: 0
    .kernarg_segment_align: 8
    .kernarg_segment_size: 144
    .language:       OpenCL C
    .language_version:
      - 2
      - 0
    .max_flat_workgroup_size: 256
    .name:           _ZN7rocprim17ROCPRIM_400000_NS6detail17trampoline_kernelINS0_14default_configENS1_27scan_by_key_config_selectorIllEEZZNS1_16scan_by_key_implILNS1_25lookback_scan_determinismE0ELb0ES3_PKlN6hipcub16HIPCUB_304000_NS21ConstantInputIteratorIllEEPllNSB_3SumENSB_8EqualityElEE10hipError_tPvRmT2_T3_T4_T5_mT6_T7_P12ihipStream_tbENKUlT_T0_E_clISt17integral_constantIbLb0EESX_EEDaSS_ST_EUlSS_E_NS1_11comp_targetILNS1_3genE0ELNS1_11target_archE4294967295ELNS1_3gpuE0ELNS1_3repE0EEENS1_30default_config_static_selectorELNS0_4arch9wavefront6targetE1EEEvT1_
    .private_segment_fixed_size: 0
    .sgpr_count:     6
    .sgpr_spill_count: 0
    .symbol:         _ZN7rocprim17ROCPRIM_400000_NS6detail17trampoline_kernelINS0_14default_configENS1_27scan_by_key_config_selectorIllEEZZNS1_16scan_by_key_implILNS1_25lookback_scan_determinismE0ELb0ES3_PKlN6hipcub16HIPCUB_304000_NS21ConstantInputIteratorIllEEPllNSB_3SumENSB_8EqualityElEE10hipError_tPvRmT2_T3_T4_T5_mT6_T7_P12ihipStream_tbENKUlT_T0_E_clISt17integral_constantIbLb0EESX_EEDaSS_ST_EUlSS_E_NS1_11comp_targetILNS1_3genE0ELNS1_11target_archE4294967295ELNS1_3gpuE0ELNS1_3repE0EEENS1_30default_config_static_selectorELNS0_4arch9wavefront6targetE1EEEvT1_.kd
    .uniform_work_group_size: 1
    .uses_dynamic_stack: false
    .vgpr_count:     0
    .vgpr_spill_count: 0
    .wavefront_size: 64
  - .agpr_count:     0
    .args:
      - .offset:         0
        .size:           144
        .value_kind:     by_value
    .group_segment_fixed_size: 0
    .kernarg_segment_align: 8
    .kernarg_segment_size: 144
    .language:       OpenCL C
    .language_version:
      - 2
      - 0
    .max_flat_workgroup_size: 256
    .name:           _ZN7rocprim17ROCPRIM_400000_NS6detail17trampoline_kernelINS0_14default_configENS1_27scan_by_key_config_selectorIllEEZZNS1_16scan_by_key_implILNS1_25lookback_scan_determinismE0ELb0ES3_PKlN6hipcub16HIPCUB_304000_NS21ConstantInputIteratorIllEEPllNSB_3SumENSB_8EqualityElEE10hipError_tPvRmT2_T3_T4_T5_mT6_T7_P12ihipStream_tbENKUlT_T0_E_clISt17integral_constantIbLb0EESX_EEDaSS_ST_EUlSS_E_NS1_11comp_targetILNS1_3genE10ELNS1_11target_archE1201ELNS1_3gpuE5ELNS1_3repE0EEENS1_30default_config_static_selectorELNS0_4arch9wavefront6targetE1EEEvT1_
    .private_segment_fixed_size: 0
    .sgpr_count:     6
    .sgpr_spill_count: 0
    .symbol:         _ZN7rocprim17ROCPRIM_400000_NS6detail17trampoline_kernelINS0_14default_configENS1_27scan_by_key_config_selectorIllEEZZNS1_16scan_by_key_implILNS1_25lookback_scan_determinismE0ELb0ES3_PKlN6hipcub16HIPCUB_304000_NS21ConstantInputIteratorIllEEPllNSB_3SumENSB_8EqualityElEE10hipError_tPvRmT2_T3_T4_T5_mT6_T7_P12ihipStream_tbENKUlT_T0_E_clISt17integral_constantIbLb0EESX_EEDaSS_ST_EUlSS_E_NS1_11comp_targetILNS1_3genE10ELNS1_11target_archE1201ELNS1_3gpuE5ELNS1_3repE0EEENS1_30default_config_static_selectorELNS0_4arch9wavefront6targetE1EEEvT1_.kd
    .uniform_work_group_size: 1
    .uses_dynamic_stack: false
    .vgpr_count:     0
    .vgpr_spill_count: 0
    .wavefront_size: 64
  - .agpr_count:     0
    .args:
      - .offset:         0
        .size:           144
        .value_kind:     by_value
    .group_segment_fixed_size: 32768
    .kernarg_segment_align: 8
    .kernarg_segment_size: 144
    .language:       OpenCL C
    .language_version:
      - 2
      - 0
    .max_flat_workgroup_size: 256
    .name:           _ZN7rocprim17ROCPRIM_400000_NS6detail17trampoline_kernelINS0_14default_configENS1_27scan_by_key_config_selectorIllEEZZNS1_16scan_by_key_implILNS1_25lookback_scan_determinismE0ELb0ES3_PKlN6hipcub16HIPCUB_304000_NS21ConstantInputIteratorIllEEPllNSB_3SumENSB_8EqualityElEE10hipError_tPvRmT2_T3_T4_T5_mT6_T7_P12ihipStream_tbENKUlT_T0_E_clISt17integral_constantIbLb0EESX_EEDaSS_ST_EUlSS_E_NS1_11comp_targetILNS1_3genE5ELNS1_11target_archE942ELNS1_3gpuE9ELNS1_3repE0EEENS1_30default_config_static_selectorELNS0_4arch9wavefront6targetE1EEEvT1_
    .private_segment_fixed_size: 0
    .sgpr_count:     72
    .sgpr_spill_count: 0
    .symbol:         _ZN7rocprim17ROCPRIM_400000_NS6detail17trampoline_kernelINS0_14default_configENS1_27scan_by_key_config_selectorIllEEZZNS1_16scan_by_key_implILNS1_25lookback_scan_determinismE0ELb0ES3_PKlN6hipcub16HIPCUB_304000_NS21ConstantInputIteratorIllEEPllNSB_3SumENSB_8EqualityElEE10hipError_tPvRmT2_T3_T4_T5_mT6_T7_P12ihipStream_tbENKUlT_T0_E_clISt17integral_constantIbLb0EESX_EEDaSS_ST_EUlSS_E_NS1_11comp_targetILNS1_3genE5ELNS1_11target_archE942ELNS1_3gpuE9ELNS1_3repE0EEENS1_30default_config_static_selectorELNS0_4arch9wavefront6targetE1EEEvT1_.kd
    .uniform_work_group_size: 1
    .uses_dynamic_stack: false
    .vgpr_count:     92
    .vgpr_spill_count: 0
    .wavefront_size: 64
  - .agpr_count:     0
    .args:
      - .offset:         0
        .size:           144
        .value_kind:     by_value
    .group_segment_fixed_size: 0
    .kernarg_segment_align: 8
    .kernarg_segment_size: 144
    .language:       OpenCL C
    .language_version:
      - 2
      - 0
    .max_flat_workgroup_size: 64
    .name:           _ZN7rocprim17ROCPRIM_400000_NS6detail17trampoline_kernelINS0_14default_configENS1_27scan_by_key_config_selectorIllEEZZNS1_16scan_by_key_implILNS1_25lookback_scan_determinismE0ELb0ES3_PKlN6hipcub16HIPCUB_304000_NS21ConstantInputIteratorIllEEPllNSB_3SumENSB_8EqualityElEE10hipError_tPvRmT2_T3_T4_T5_mT6_T7_P12ihipStream_tbENKUlT_T0_E_clISt17integral_constantIbLb0EESX_EEDaSS_ST_EUlSS_E_NS1_11comp_targetILNS1_3genE4ELNS1_11target_archE910ELNS1_3gpuE8ELNS1_3repE0EEENS1_30default_config_static_selectorELNS0_4arch9wavefront6targetE1EEEvT1_
    .private_segment_fixed_size: 0
    .sgpr_count:     6
    .sgpr_spill_count: 0
    .symbol:         _ZN7rocprim17ROCPRIM_400000_NS6detail17trampoline_kernelINS0_14default_configENS1_27scan_by_key_config_selectorIllEEZZNS1_16scan_by_key_implILNS1_25lookback_scan_determinismE0ELb0ES3_PKlN6hipcub16HIPCUB_304000_NS21ConstantInputIteratorIllEEPllNSB_3SumENSB_8EqualityElEE10hipError_tPvRmT2_T3_T4_T5_mT6_T7_P12ihipStream_tbENKUlT_T0_E_clISt17integral_constantIbLb0EESX_EEDaSS_ST_EUlSS_E_NS1_11comp_targetILNS1_3genE4ELNS1_11target_archE910ELNS1_3gpuE8ELNS1_3repE0EEENS1_30default_config_static_selectorELNS0_4arch9wavefront6targetE1EEEvT1_.kd
    .uniform_work_group_size: 1
    .uses_dynamic_stack: false
    .vgpr_count:     0
    .vgpr_spill_count: 0
    .wavefront_size: 64
  - .agpr_count:     0
    .args:
      - .offset:         0
        .size:           144
        .value_kind:     by_value
    .group_segment_fixed_size: 0
    .kernarg_segment_align: 8
    .kernarg_segment_size: 144
    .language:       OpenCL C
    .language_version:
      - 2
      - 0
    .max_flat_workgroup_size: 256
    .name:           _ZN7rocprim17ROCPRIM_400000_NS6detail17trampoline_kernelINS0_14default_configENS1_27scan_by_key_config_selectorIllEEZZNS1_16scan_by_key_implILNS1_25lookback_scan_determinismE0ELb0ES3_PKlN6hipcub16HIPCUB_304000_NS21ConstantInputIteratorIllEEPllNSB_3SumENSB_8EqualityElEE10hipError_tPvRmT2_T3_T4_T5_mT6_T7_P12ihipStream_tbENKUlT_T0_E_clISt17integral_constantIbLb0EESX_EEDaSS_ST_EUlSS_E_NS1_11comp_targetILNS1_3genE3ELNS1_11target_archE908ELNS1_3gpuE7ELNS1_3repE0EEENS1_30default_config_static_selectorELNS0_4arch9wavefront6targetE1EEEvT1_
    .private_segment_fixed_size: 0
    .sgpr_count:     6
    .sgpr_spill_count: 0
    .symbol:         _ZN7rocprim17ROCPRIM_400000_NS6detail17trampoline_kernelINS0_14default_configENS1_27scan_by_key_config_selectorIllEEZZNS1_16scan_by_key_implILNS1_25lookback_scan_determinismE0ELb0ES3_PKlN6hipcub16HIPCUB_304000_NS21ConstantInputIteratorIllEEPllNSB_3SumENSB_8EqualityElEE10hipError_tPvRmT2_T3_T4_T5_mT6_T7_P12ihipStream_tbENKUlT_T0_E_clISt17integral_constantIbLb0EESX_EEDaSS_ST_EUlSS_E_NS1_11comp_targetILNS1_3genE3ELNS1_11target_archE908ELNS1_3gpuE7ELNS1_3repE0EEENS1_30default_config_static_selectorELNS0_4arch9wavefront6targetE1EEEvT1_.kd
    .uniform_work_group_size: 1
    .uses_dynamic_stack: false
    .vgpr_count:     0
    .vgpr_spill_count: 0
    .wavefront_size: 64
  - .agpr_count:     0
    .args:
      - .offset:         0
        .size:           144
        .value_kind:     by_value
    .group_segment_fixed_size: 0
    .kernarg_segment_align: 8
    .kernarg_segment_size: 144
    .language:       OpenCL C
    .language_version:
      - 2
      - 0
    .max_flat_workgroup_size: 256
    .name:           _ZN7rocprim17ROCPRIM_400000_NS6detail17trampoline_kernelINS0_14default_configENS1_27scan_by_key_config_selectorIllEEZZNS1_16scan_by_key_implILNS1_25lookback_scan_determinismE0ELb0ES3_PKlN6hipcub16HIPCUB_304000_NS21ConstantInputIteratorIllEEPllNSB_3SumENSB_8EqualityElEE10hipError_tPvRmT2_T3_T4_T5_mT6_T7_P12ihipStream_tbENKUlT_T0_E_clISt17integral_constantIbLb0EESX_EEDaSS_ST_EUlSS_E_NS1_11comp_targetILNS1_3genE2ELNS1_11target_archE906ELNS1_3gpuE6ELNS1_3repE0EEENS1_30default_config_static_selectorELNS0_4arch9wavefront6targetE1EEEvT1_
    .private_segment_fixed_size: 0
    .sgpr_count:     6
    .sgpr_spill_count: 0
    .symbol:         _ZN7rocprim17ROCPRIM_400000_NS6detail17trampoline_kernelINS0_14default_configENS1_27scan_by_key_config_selectorIllEEZZNS1_16scan_by_key_implILNS1_25lookback_scan_determinismE0ELb0ES3_PKlN6hipcub16HIPCUB_304000_NS21ConstantInputIteratorIllEEPllNSB_3SumENSB_8EqualityElEE10hipError_tPvRmT2_T3_T4_T5_mT6_T7_P12ihipStream_tbENKUlT_T0_E_clISt17integral_constantIbLb0EESX_EEDaSS_ST_EUlSS_E_NS1_11comp_targetILNS1_3genE2ELNS1_11target_archE906ELNS1_3gpuE6ELNS1_3repE0EEENS1_30default_config_static_selectorELNS0_4arch9wavefront6targetE1EEEvT1_.kd
    .uniform_work_group_size: 1
    .uses_dynamic_stack: false
    .vgpr_count:     0
    .vgpr_spill_count: 0
    .wavefront_size: 64
  - .agpr_count:     0
    .args:
      - .offset:         0
        .size:           144
        .value_kind:     by_value
    .group_segment_fixed_size: 0
    .kernarg_segment_align: 8
    .kernarg_segment_size: 144
    .language:       OpenCL C
    .language_version:
      - 2
      - 0
    .max_flat_workgroup_size: 256
    .name:           _ZN7rocprim17ROCPRIM_400000_NS6detail17trampoline_kernelINS0_14default_configENS1_27scan_by_key_config_selectorIllEEZZNS1_16scan_by_key_implILNS1_25lookback_scan_determinismE0ELb0ES3_PKlN6hipcub16HIPCUB_304000_NS21ConstantInputIteratorIllEEPllNSB_3SumENSB_8EqualityElEE10hipError_tPvRmT2_T3_T4_T5_mT6_T7_P12ihipStream_tbENKUlT_T0_E_clISt17integral_constantIbLb0EESX_EEDaSS_ST_EUlSS_E_NS1_11comp_targetILNS1_3genE10ELNS1_11target_archE1200ELNS1_3gpuE4ELNS1_3repE0EEENS1_30default_config_static_selectorELNS0_4arch9wavefront6targetE1EEEvT1_
    .private_segment_fixed_size: 0
    .sgpr_count:     6
    .sgpr_spill_count: 0
    .symbol:         _ZN7rocprim17ROCPRIM_400000_NS6detail17trampoline_kernelINS0_14default_configENS1_27scan_by_key_config_selectorIllEEZZNS1_16scan_by_key_implILNS1_25lookback_scan_determinismE0ELb0ES3_PKlN6hipcub16HIPCUB_304000_NS21ConstantInputIteratorIllEEPllNSB_3SumENSB_8EqualityElEE10hipError_tPvRmT2_T3_T4_T5_mT6_T7_P12ihipStream_tbENKUlT_T0_E_clISt17integral_constantIbLb0EESX_EEDaSS_ST_EUlSS_E_NS1_11comp_targetILNS1_3genE10ELNS1_11target_archE1200ELNS1_3gpuE4ELNS1_3repE0EEENS1_30default_config_static_selectorELNS0_4arch9wavefront6targetE1EEEvT1_.kd
    .uniform_work_group_size: 1
    .uses_dynamic_stack: false
    .vgpr_count:     0
    .vgpr_spill_count: 0
    .wavefront_size: 64
  - .agpr_count:     0
    .args:
      - .offset:         0
        .size:           144
        .value_kind:     by_value
    .group_segment_fixed_size: 0
    .kernarg_segment_align: 8
    .kernarg_segment_size: 144
    .language:       OpenCL C
    .language_version:
      - 2
      - 0
    .max_flat_workgroup_size: 256
    .name:           _ZN7rocprim17ROCPRIM_400000_NS6detail17trampoline_kernelINS0_14default_configENS1_27scan_by_key_config_selectorIllEEZZNS1_16scan_by_key_implILNS1_25lookback_scan_determinismE0ELb0ES3_PKlN6hipcub16HIPCUB_304000_NS21ConstantInputIteratorIllEEPllNSB_3SumENSB_8EqualityElEE10hipError_tPvRmT2_T3_T4_T5_mT6_T7_P12ihipStream_tbENKUlT_T0_E_clISt17integral_constantIbLb0EESX_EEDaSS_ST_EUlSS_E_NS1_11comp_targetILNS1_3genE9ELNS1_11target_archE1100ELNS1_3gpuE3ELNS1_3repE0EEENS1_30default_config_static_selectorELNS0_4arch9wavefront6targetE1EEEvT1_
    .private_segment_fixed_size: 0
    .sgpr_count:     6
    .sgpr_spill_count: 0
    .symbol:         _ZN7rocprim17ROCPRIM_400000_NS6detail17trampoline_kernelINS0_14default_configENS1_27scan_by_key_config_selectorIllEEZZNS1_16scan_by_key_implILNS1_25lookback_scan_determinismE0ELb0ES3_PKlN6hipcub16HIPCUB_304000_NS21ConstantInputIteratorIllEEPllNSB_3SumENSB_8EqualityElEE10hipError_tPvRmT2_T3_T4_T5_mT6_T7_P12ihipStream_tbENKUlT_T0_E_clISt17integral_constantIbLb0EESX_EEDaSS_ST_EUlSS_E_NS1_11comp_targetILNS1_3genE9ELNS1_11target_archE1100ELNS1_3gpuE3ELNS1_3repE0EEENS1_30default_config_static_selectorELNS0_4arch9wavefront6targetE1EEEvT1_.kd
    .uniform_work_group_size: 1
    .uses_dynamic_stack: false
    .vgpr_count:     0
    .vgpr_spill_count: 0
    .wavefront_size: 64
  - .agpr_count:     0
    .args:
      - .offset:         0
        .size:           144
        .value_kind:     by_value
    .group_segment_fixed_size: 0
    .kernarg_segment_align: 8
    .kernarg_segment_size: 144
    .language:       OpenCL C
    .language_version:
      - 2
      - 0
    .max_flat_workgroup_size: 256
    .name:           _ZN7rocprim17ROCPRIM_400000_NS6detail17trampoline_kernelINS0_14default_configENS1_27scan_by_key_config_selectorIllEEZZNS1_16scan_by_key_implILNS1_25lookback_scan_determinismE0ELb0ES3_PKlN6hipcub16HIPCUB_304000_NS21ConstantInputIteratorIllEEPllNSB_3SumENSB_8EqualityElEE10hipError_tPvRmT2_T3_T4_T5_mT6_T7_P12ihipStream_tbENKUlT_T0_E_clISt17integral_constantIbLb0EESX_EEDaSS_ST_EUlSS_E_NS1_11comp_targetILNS1_3genE8ELNS1_11target_archE1030ELNS1_3gpuE2ELNS1_3repE0EEENS1_30default_config_static_selectorELNS0_4arch9wavefront6targetE1EEEvT1_
    .private_segment_fixed_size: 0
    .sgpr_count:     6
    .sgpr_spill_count: 0
    .symbol:         _ZN7rocprim17ROCPRIM_400000_NS6detail17trampoline_kernelINS0_14default_configENS1_27scan_by_key_config_selectorIllEEZZNS1_16scan_by_key_implILNS1_25lookback_scan_determinismE0ELb0ES3_PKlN6hipcub16HIPCUB_304000_NS21ConstantInputIteratorIllEEPllNSB_3SumENSB_8EqualityElEE10hipError_tPvRmT2_T3_T4_T5_mT6_T7_P12ihipStream_tbENKUlT_T0_E_clISt17integral_constantIbLb0EESX_EEDaSS_ST_EUlSS_E_NS1_11comp_targetILNS1_3genE8ELNS1_11target_archE1030ELNS1_3gpuE2ELNS1_3repE0EEENS1_30default_config_static_selectorELNS0_4arch9wavefront6targetE1EEEvT1_.kd
    .uniform_work_group_size: 1
    .uses_dynamic_stack: false
    .vgpr_count:     0
    .vgpr_spill_count: 0
    .wavefront_size: 64
  - .agpr_count:     0
    .args:
      - .offset:         0
        .size:           24
        .value_kind:     by_value
      - .offset:         24
        .size:           4
        .value_kind:     by_value
      - .offset:         28
        .size:           4
        .value_kind:     by_value
      - .address_space:  global
        .offset:         32
        .size:           8
        .value_kind:     global_buffer
      - .address_space:  global
        .offset:         40
        .size:           8
        .value_kind:     global_buffer
      - .actual_access:  write_only
        .address_space:  global
        .offset:         48
        .size:           8
        .value_kind:     global_buffer
      - .offset:         56
        .size:           8
        .value_kind:     by_value
      - .offset:         64
        .size:           4
        .value_kind:     by_value
      - .address_space:  global
        .offset:         72
        .size:           8
        .value_kind:     global_buffer
      - .offset:         80
        .size:           4
        .value_kind:     hidden_block_count_x
      - .offset:         84
        .size:           4
        .value_kind:     hidden_block_count_y
      - .offset:         88
        .size:           4
        .value_kind:     hidden_block_count_z
      - .offset:         92
        .size:           2
        .value_kind:     hidden_group_size_x
      - .offset:         94
        .size:           2
        .value_kind:     hidden_group_size_y
      - .offset:         96
        .size:           2
        .value_kind:     hidden_group_size_z
      - .offset:         98
        .size:           2
        .value_kind:     hidden_remainder_x
      - .offset:         100
        .size:           2
        .value_kind:     hidden_remainder_y
      - .offset:         102
        .size:           2
        .value_kind:     hidden_remainder_z
      - .offset:         120
        .size:           8
        .value_kind:     hidden_global_offset_x
      - .offset:         128
        .size:           8
        .value_kind:     hidden_global_offset_y
      - .offset:         136
        .size:           8
        .value_kind:     hidden_global_offset_z
      - .offset:         144
        .size:           2
        .value_kind:     hidden_grid_dims
    .group_segment_fixed_size: 0
    .kernarg_segment_align: 8
    .kernarg_segment_size: 336
    .language:       OpenCL C
    .language_version:
      - 2
      - 0
    .max_flat_workgroup_size: 256
    .name:           _ZN7rocprim17ROCPRIM_400000_NS6detail30init_device_scan_by_key_kernelINS1_19lookback_scan_stateINS0_5tupleIJlbEEELb1ELb0EEEPKljNS1_16block_id_wrapperIjLb1EEEEEvT_jjPNSB_10value_typeET0_PNSt15iterator_traitsISE_E10value_typeEmT1_T2_
    .private_segment_fixed_size: 0
    .sgpr_count:     30
    .sgpr_spill_count: 0
    .symbol:         _ZN7rocprim17ROCPRIM_400000_NS6detail30init_device_scan_by_key_kernelINS1_19lookback_scan_stateINS0_5tupleIJlbEEELb1ELb0EEEPKljNS1_16block_id_wrapperIjLb1EEEEEvT_jjPNSB_10value_typeET0_PNSt15iterator_traitsISE_E10value_typeEmT1_T2_.kd
    .uniform_work_group_size: 1
    .uses_dynamic_stack: false
    .vgpr_count:     8
    .vgpr_spill_count: 0
    .wavefront_size: 64
  - .agpr_count:     0
    .args:
      - .offset:         0
        .size:           24
        .value_kind:     by_value
      - .offset:         24
        .size:           4
        .value_kind:     by_value
      - .offset:         28
        .size:           4
        .value_kind:     by_value
      - .address_space:  global
        .offset:         32
        .size:           8
        .value_kind:     global_buffer
      - .address_space:  global
        .offset:         40
        .size:           8
        .value_kind:     global_buffer
      - .offset:         48
        .size:           4
        .value_kind:     hidden_block_count_x
      - .offset:         52
        .size:           4
        .value_kind:     hidden_block_count_y
      - .offset:         56
        .size:           4
        .value_kind:     hidden_block_count_z
      - .offset:         60
        .size:           2
        .value_kind:     hidden_group_size_x
      - .offset:         62
        .size:           2
        .value_kind:     hidden_group_size_y
      - .offset:         64
        .size:           2
        .value_kind:     hidden_group_size_z
      - .offset:         66
        .size:           2
        .value_kind:     hidden_remainder_x
      - .offset:         68
        .size:           2
        .value_kind:     hidden_remainder_y
      - .offset:         70
        .size:           2
        .value_kind:     hidden_remainder_z
      - .offset:         88
        .size:           8
        .value_kind:     hidden_global_offset_x
      - .offset:         96
        .size:           8
        .value_kind:     hidden_global_offset_y
      - .offset:         104
        .size:           8
        .value_kind:     hidden_global_offset_z
      - .offset:         112
        .size:           2
        .value_kind:     hidden_grid_dims
    .group_segment_fixed_size: 0
    .kernarg_segment_align: 8
    .kernarg_segment_size: 304
    .language:       OpenCL C
    .language_version:
      - 2
      - 0
    .max_flat_workgroup_size: 256
    .name:           _ZN7rocprim17ROCPRIM_400000_NS6detail30init_device_scan_by_key_kernelINS1_19lookback_scan_stateINS0_5tupleIJlbEEELb1ELb0EEENS1_16block_id_wrapperIjLb1EEEEEvT_jjPNS9_10value_typeET0_
    .private_segment_fixed_size: 0
    .sgpr_count:     26
    .sgpr_spill_count: 0
    .symbol:         _ZN7rocprim17ROCPRIM_400000_NS6detail30init_device_scan_by_key_kernelINS1_19lookback_scan_stateINS0_5tupleIJlbEEELb1ELb0EEENS1_16block_id_wrapperIjLb1EEEEEvT_jjPNS9_10value_typeET0_.kd
    .uniform_work_group_size: 1
    .uses_dynamic_stack: false
    .vgpr_count:     6
    .vgpr_spill_count: 0
    .wavefront_size: 64
  - .agpr_count:     0
    .args:
      - .offset:         0
        .size:           144
        .value_kind:     by_value
    .group_segment_fixed_size: 0
    .kernarg_segment_align: 8
    .kernarg_segment_size: 144
    .language:       OpenCL C
    .language_version:
      - 2
      - 0
    .max_flat_workgroup_size: 256
    .name:           _ZN7rocprim17ROCPRIM_400000_NS6detail17trampoline_kernelINS0_14default_configENS1_27scan_by_key_config_selectorIllEEZZNS1_16scan_by_key_implILNS1_25lookback_scan_determinismE0ELb0ES3_PKlN6hipcub16HIPCUB_304000_NS21ConstantInputIteratorIllEEPllNSB_3SumENSB_8EqualityElEE10hipError_tPvRmT2_T3_T4_T5_mT6_T7_P12ihipStream_tbENKUlT_T0_E_clISt17integral_constantIbLb1EESX_EEDaSS_ST_EUlSS_E_NS1_11comp_targetILNS1_3genE0ELNS1_11target_archE4294967295ELNS1_3gpuE0ELNS1_3repE0EEENS1_30default_config_static_selectorELNS0_4arch9wavefront6targetE1EEEvT1_
    .private_segment_fixed_size: 0
    .sgpr_count:     6
    .sgpr_spill_count: 0
    .symbol:         _ZN7rocprim17ROCPRIM_400000_NS6detail17trampoline_kernelINS0_14default_configENS1_27scan_by_key_config_selectorIllEEZZNS1_16scan_by_key_implILNS1_25lookback_scan_determinismE0ELb0ES3_PKlN6hipcub16HIPCUB_304000_NS21ConstantInputIteratorIllEEPllNSB_3SumENSB_8EqualityElEE10hipError_tPvRmT2_T3_T4_T5_mT6_T7_P12ihipStream_tbENKUlT_T0_E_clISt17integral_constantIbLb1EESX_EEDaSS_ST_EUlSS_E_NS1_11comp_targetILNS1_3genE0ELNS1_11target_archE4294967295ELNS1_3gpuE0ELNS1_3repE0EEENS1_30default_config_static_selectorELNS0_4arch9wavefront6targetE1EEEvT1_.kd
    .uniform_work_group_size: 1
    .uses_dynamic_stack: false
    .vgpr_count:     0
    .vgpr_spill_count: 0
    .wavefront_size: 64
  - .agpr_count:     0
    .args:
      - .offset:         0
        .size:           144
        .value_kind:     by_value
    .group_segment_fixed_size: 0
    .kernarg_segment_align: 8
    .kernarg_segment_size: 144
    .language:       OpenCL C
    .language_version:
      - 2
      - 0
    .max_flat_workgroup_size: 256
    .name:           _ZN7rocprim17ROCPRIM_400000_NS6detail17trampoline_kernelINS0_14default_configENS1_27scan_by_key_config_selectorIllEEZZNS1_16scan_by_key_implILNS1_25lookback_scan_determinismE0ELb0ES3_PKlN6hipcub16HIPCUB_304000_NS21ConstantInputIteratorIllEEPllNSB_3SumENSB_8EqualityElEE10hipError_tPvRmT2_T3_T4_T5_mT6_T7_P12ihipStream_tbENKUlT_T0_E_clISt17integral_constantIbLb1EESX_EEDaSS_ST_EUlSS_E_NS1_11comp_targetILNS1_3genE10ELNS1_11target_archE1201ELNS1_3gpuE5ELNS1_3repE0EEENS1_30default_config_static_selectorELNS0_4arch9wavefront6targetE1EEEvT1_
    .private_segment_fixed_size: 0
    .sgpr_count:     6
    .sgpr_spill_count: 0
    .symbol:         _ZN7rocprim17ROCPRIM_400000_NS6detail17trampoline_kernelINS0_14default_configENS1_27scan_by_key_config_selectorIllEEZZNS1_16scan_by_key_implILNS1_25lookback_scan_determinismE0ELb0ES3_PKlN6hipcub16HIPCUB_304000_NS21ConstantInputIteratorIllEEPllNSB_3SumENSB_8EqualityElEE10hipError_tPvRmT2_T3_T4_T5_mT6_T7_P12ihipStream_tbENKUlT_T0_E_clISt17integral_constantIbLb1EESX_EEDaSS_ST_EUlSS_E_NS1_11comp_targetILNS1_3genE10ELNS1_11target_archE1201ELNS1_3gpuE5ELNS1_3repE0EEENS1_30default_config_static_selectorELNS0_4arch9wavefront6targetE1EEEvT1_.kd
    .uniform_work_group_size: 1
    .uses_dynamic_stack: false
    .vgpr_count:     0
    .vgpr_spill_count: 0
    .wavefront_size: 64
  - .agpr_count:     0
    .args:
      - .offset:         0
        .size:           144
        .value_kind:     by_value
    .group_segment_fixed_size: 32768
    .kernarg_segment_align: 8
    .kernarg_segment_size: 144
    .language:       OpenCL C
    .language_version:
      - 2
      - 0
    .max_flat_workgroup_size: 256
    .name:           _ZN7rocprim17ROCPRIM_400000_NS6detail17trampoline_kernelINS0_14default_configENS1_27scan_by_key_config_selectorIllEEZZNS1_16scan_by_key_implILNS1_25lookback_scan_determinismE0ELb0ES3_PKlN6hipcub16HIPCUB_304000_NS21ConstantInputIteratorIllEEPllNSB_3SumENSB_8EqualityElEE10hipError_tPvRmT2_T3_T4_T5_mT6_T7_P12ihipStream_tbENKUlT_T0_E_clISt17integral_constantIbLb1EESX_EEDaSS_ST_EUlSS_E_NS1_11comp_targetILNS1_3genE5ELNS1_11target_archE942ELNS1_3gpuE9ELNS1_3repE0EEENS1_30default_config_static_selectorELNS0_4arch9wavefront6targetE1EEEvT1_
    .private_segment_fixed_size: 0
    .sgpr_count:     76
    .sgpr_spill_count: 0
    .symbol:         _ZN7rocprim17ROCPRIM_400000_NS6detail17trampoline_kernelINS0_14default_configENS1_27scan_by_key_config_selectorIllEEZZNS1_16scan_by_key_implILNS1_25lookback_scan_determinismE0ELb0ES3_PKlN6hipcub16HIPCUB_304000_NS21ConstantInputIteratorIllEEPllNSB_3SumENSB_8EqualityElEE10hipError_tPvRmT2_T3_T4_T5_mT6_T7_P12ihipStream_tbENKUlT_T0_E_clISt17integral_constantIbLb1EESX_EEDaSS_ST_EUlSS_E_NS1_11comp_targetILNS1_3genE5ELNS1_11target_archE942ELNS1_3gpuE9ELNS1_3repE0EEENS1_30default_config_static_selectorELNS0_4arch9wavefront6targetE1EEEvT1_.kd
    .uniform_work_group_size: 1
    .uses_dynamic_stack: false
    .vgpr_count:     92
    .vgpr_spill_count: 0
    .wavefront_size: 64
  - .agpr_count:     0
    .args:
      - .offset:         0
        .size:           144
        .value_kind:     by_value
    .group_segment_fixed_size: 0
    .kernarg_segment_align: 8
    .kernarg_segment_size: 144
    .language:       OpenCL C
    .language_version:
      - 2
      - 0
    .max_flat_workgroup_size: 64
    .name:           _ZN7rocprim17ROCPRIM_400000_NS6detail17trampoline_kernelINS0_14default_configENS1_27scan_by_key_config_selectorIllEEZZNS1_16scan_by_key_implILNS1_25lookback_scan_determinismE0ELb0ES3_PKlN6hipcub16HIPCUB_304000_NS21ConstantInputIteratorIllEEPllNSB_3SumENSB_8EqualityElEE10hipError_tPvRmT2_T3_T4_T5_mT6_T7_P12ihipStream_tbENKUlT_T0_E_clISt17integral_constantIbLb1EESX_EEDaSS_ST_EUlSS_E_NS1_11comp_targetILNS1_3genE4ELNS1_11target_archE910ELNS1_3gpuE8ELNS1_3repE0EEENS1_30default_config_static_selectorELNS0_4arch9wavefront6targetE1EEEvT1_
    .private_segment_fixed_size: 0
    .sgpr_count:     6
    .sgpr_spill_count: 0
    .symbol:         _ZN7rocprim17ROCPRIM_400000_NS6detail17trampoline_kernelINS0_14default_configENS1_27scan_by_key_config_selectorIllEEZZNS1_16scan_by_key_implILNS1_25lookback_scan_determinismE0ELb0ES3_PKlN6hipcub16HIPCUB_304000_NS21ConstantInputIteratorIllEEPllNSB_3SumENSB_8EqualityElEE10hipError_tPvRmT2_T3_T4_T5_mT6_T7_P12ihipStream_tbENKUlT_T0_E_clISt17integral_constantIbLb1EESX_EEDaSS_ST_EUlSS_E_NS1_11comp_targetILNS1_3genE4ELNS1_11target_archE910ELNS1_3gpuE8ELNS1_3repE0EEENS1_30default_config_static_selectorELNS0_4arch9wavefront6targetE1EEEvT1_.kd
    .uniform_work_group_size: 1
    .uses_dynamic_stack: false
    .vgpr_count:     0
    .vgpr_spill_count: 0
    .wavefront_size: 64
  - .agpr_count:     0
    .args:
      - .offset:         0
        .size:           144
        .value_kind:     by_value
    .group_segment_fixed_size: 0
    .kernarg_segment_align: 8
    .kernarg_segment_size: 144
    .language:       OpenCL C
    .language_version:
      - 2
      - 0
    .max_flat_workgroup_size: 256
    .name:           _ZN7rocprim17ROCPRIM_400000_NS6detail17trampoline_kernelINS0_14default_configENS1_27scan_by_key_config_selectorIllEEZZNS1_16scan_by_key_implILNS1_25lookback_scan_determinismE0ELb0ES3_PKlN6hipcub16HIPCUB_304000_NS21ConstantInputIteratorIllEEPllNSB_3SumENSB_8EqualityElEE10hipError_tPvRmT2_T3_T4_T5_mT6_T7_P12ihipStream_tbENKUlT_T0_E_clISt17integral_constantIbLb1EESX_EEDaSS_ST_EUlSS_E_NS1_11comp_targetILNS1_3genE3ELNS1_11target_archE908ELNS1_3gpuE7ELNS1_3repE0EEENS1_30default_config_static_selectorELNS0_4arch9wavefront6targetE1EEEvT1_
    .private_segment_fixed_size: 0
    .sgpr_count:     6
    .sgpr_spill_count: 0
    .symbol:         _ZN7rocprim17ROCPRIM_400000_NS6detail17trampoline_kernelINS0_14default_configENS1_27scan_by_key_config_selectorIllEEZZNS1_16scan_by_key_implILNS1_25lookback_scan_determinismE0ELb0ES3_PKlN6hipcub16HIPCUB_304000_NS21ConstantInputIteratorIllEEPllNSB_3SumENSB_8EqualityElEE10hipError_tPvRmT2_T3_T4_T5_mT6_T7_P12ihipStream_tbENKUlT_T0_E_clISt17integral_constantIbLb1EESX_EEDaSS_ST_EUlSS_E_NS1_11comp_targetILNS1_3genE3ELNS1_11target_archE908ELNS1_3gpuE7ELNS1_3repE0EEENS1_30default_config_static_selectorELNS0_4arch9wavefront6targetE1EEEvT1_.kd
    .uniform_work_group_size: 1
    .uses_dynamic_stack: false
    .vgpr_count:     0
    .vgpr_spill_count: 0
    .wavefront_size: 64
  - .agpr_count:     0
    .args:
      - .offset:         0
        .size:           144
        .value_kind:     by_value
    .group_segment_fixed_size: 0
    .kernarg_segment_align: 8
    .kernarg_segment_size: 144
    .language:       OpenCL C
    .language_version:
      - 2
      - 0
    .max_flat_workgroup_size: 256
    .name:           _ZN7rocprim17ROCPRIM_400000_NS6detail17trampoline_kernelINS0_14default_configENS1_27scan_by_key_config_selectorIllEEZZNS1_16scan_by_key_implILNS1_25lookback_scan_determinismE0ELb0ES3_PKlN6hipcub16HIPCUB_304000_NS21ConstantInputIteratorIllEEPllNSB_3SumENSB_8EqualityElEE10hipError_tPvRmT2_T3_T4_T5_mT6_T7_P12ihipStream_tbENKUlT_T0_E_clISt17integral_constantIbLb1EESX_EEDaSS_ST_EUlSS_E_NS1_11comp_targetILNS1_3genE2ELNS1_11target_archE906ELNS1_3gpuE6ELNS1_3repE0EEENS1_30default_config_static_selectorELNS0_4arch9wavefront6targetE1EEEvT1_
    .private_segment_fixed_size: 0
    .sgpr_count:     6
    .sgpr_spill_count: 0
    .symbol:         _ZN7rocprim17ROCPRIM_400000_NS6detail17trampoline_kernelINS0_14default_configENS1_27scan_by_key_config_selectorIllEEZZNS1_16scan_by_key_implILNS1_25lookback_scan_determinismE0ELb0ES3_PKlN6hipcub16HIPCUB_304000_NS21ConstantInputIteratorIllEEPllNSB_3SumENSB_8EqualityElEE10hipError_tPvRmT2_T3_T4_T5_mT6_T7_P12ihipStream_tbENKUlT_T0_E_clISt17integral_constantIbLb1EESX_EEDaSS_ST_EUlSS_E_NS1_11comp_targetILNS1_3genE2ELNS1_11target_archE906ELNS1_3gpuE6ELNS1_3repE0EEENS1_30default_config_static_selectorELNS0_4arch9wavefront6targetE1EEEvT1_.kd
    .uniform_work_group_size: 1
    .uses_dynamic_stack: false
    .vgpr_count:     0
    .vgpr_spill_count: 0
    .wavefront_size: 64
  - .agpr_count:     0
    .args:
      - .offset:         0
        .size:           144
        .value_kind:     by_value
    .group_segment_fixed_size: 0
    .kernarg_segment_align: 8
    .kernarg_segment_size: 144
    .language:       OpenCL C
    .language_version:
      - 2
      - 0
    .max_flat_workgroup_size: 256
    .name:           _ZN7rocprim17ROCPRIM_400000_NS6detail17trampoline_kernelINS0_14default_configENS1_27scan_by_key_config_selectorIllEEZZNS1_16scan_by_key_implILNS1_25lookback_scan_determinismE0ELb0ES3_PKlN6hipcub16HIPCUB_304000_NS21ConstantInputIteratorIllEEPllNSB_3SumENSB_8EqualityElEE10hipError_tPvRmT2_T3_T4_T5_mT6_T7_P12ihipStream_tbENKUlT_T0_E_clISt17integral_constantIbLb1EESX_EEDaSS_ST_EUlSS_E_NS1_11comp_targetILNS1_3genE10ELNS1_11target_archE1200ELNS1_3gpuE4ELNS1_3repE0EEENS1_30default_config_static_selectorELNS0_4arch9wavefront6targetE1EEEvT1_
    .private_segment_fixed_size: 0
    .sgpr_count:     6
    .sgpr_spill_count: 0
    .symbol:         _ZN7rocprim17ROCPRIM_400000_NS6detail17trampoline_kernelINS0_14default_configENS1_27scan_by_key_config_selectorIllEEZZNS1_16scan_by_key_implILNS1_25lookback_scan_determinismE0ELb0ES3_PKlN6hipcub16HIPCUB_304000_NS21ConstantInputIteratorIllEEPllNSB_3SumENSB_8EqualityElEE10hipError_tPvRmT2_T3_T4_T5_mT6_T7_P12ihipStream_tbENKUlT_T0_E_clISt17integral_constantIbLb1EESX_EEDaSS_ST_EUlSS_E_NS1_11comp_targetILNS1_3genE10ELNS1_11target_archE1200ELNS1_3gpuE4ELNS1_3repE0EEENS1_30default_config_static_selectorELNS0_4arch9wavefront6targetE1EEEvT1_.kd
    .uniform_work_group_size: 1
    .uses_dynamic_stack: false
    .vgpr_count:     0
    .vgpr_spill_count: 0
    .wavefront_size: 64
  - .agpr_count:     0
    .args:
      - .offset:         0
        .size:           144
        .value_kind:     by_value
    .group_segment_fixed_size: 0
    .kernarg_segment_align: 8
    .kernarg_segment_size: 144
    .language:       OpenCL C
    .language_version:
      - 2
      - 0
    .max_flat_workgroup_size: 256
    .name:           _ZN7rocprim17ROCPRIM_400000_NS6detail17trampoline_kernelINS0_14default_configENS1_27scan_by_key_config_selectorIllEEZZNS1_16scan_by_key_implILNS1_25lookback_scan_determinismE0ELb0ES3_PKlN6hipcub16HIPCUB_304000_NS21ConstantInputIteratorIllEEPllNSB_3SumENSB_8EqualityElEE10hipError_tPvRmT2_T3_T4_T5_mT6_T7_P12ihipStream_tbENKUlT_T0_E_clISt17integral_constantIbLb1EESX_EEDaSS_ST_EUlSS_E_NS1_11comp_targetILNS1_3genE9ELNS1_11target_archE1100ELNS1_3gpuE3ELNS1_3repE0EEENS1_30default_config_static_selectorELNS0_4arch9wavefront6targetE1EEEvT1_
    .private_segment_fixed_size: 0
    .sgpr_count:     6
    .sgpr_spill_count: 0
    .symbol:         _ZN7rocprim17ROCPRIM_400000_NS6detail17trampoline_kernelINS0_14default_configENS1_27scan_by_key_config_selectorIllEEZZNS1_16scan_by_key_implILNS1_25lookback_scan_determinismE0ELb0ES3_PKlN6hipcub16HIPCUB_304000_NS21ConstantInputIteratorIllEEPllNSB_3SumENSB_8EqualityElEE10hipError_tPvRmT2_T3_T4_T5_mT6_T7_P12ihipStream_tbENKUlT_T0_E_clISt17integral_constantIbLb1EESX_EEDaSS_ST_EUlSS_E_NS1_11comp_targetILNS1_3genE9ELNS1_11target_archE1100ELNS1_3gpuE3ELNS1_3repE0EEENS1_30default_config_static_selectorELNS0_4arch9wavefront6targetE1EEEvT1_.kd
    .uniform_work_group_size: 1
    .uses_dynamic_stack: false
    .vgpr_count:     0
    .vgpr_spill_count: 0
    .wavefront_size: 64
  - .agpr_count:     0
    .args:
      - .offset:         0
        .size:           144
        .value_kind:     by_value
    .group_segment_fixed_size: 0
    .kernarg_segment_align: 8
    .kernarg_segment_size: 144
    .language:       OpenCL C
    .language_version:
      - 2
      - 0
    .max_flat_workgroup_size: 256
    .name:           _ZN7rocprim17ROCPRIM_400000_NS6detail17trampoline_kernelINS0_14default_configENS1_27scan_by_key_config_selectorIllEEZZNS1_16scan_by_key_implILNS1_25lookback_scan_determinismE0ELb0ES3_PKlN6hipcub16HIPCUB_304000_NS21ConstantInputIteratorIllEEPllNSB_3SumENSB_8EqualityElEE10hipError_tPvRmT2_T3_T4_T5_mT6_T7_P12ihipStream_tbENKUlT_T0_E_clISt17integral_constantIbLb1EESX_EEDaSS_ST_EUlSS_E_NS1_11comp_targetILNS1_3genE8ELNS1_11target_archE1030ELNS1_3gpuE2ELNS1_3repE0EEENS1_30default_config_static_selectorELNS0_4arch9wavefront6targetE1EEEvT1_
    .private_segment_fixed_size: 0
    .sgpr_count:     6
    .sgpr_spill_count: 0
    .symbol:         _ZN7rocprim17ROCPRIM_400000_NS6detail17trampoline_kernelINS0_14default_configENS1_27scan_by_key_config_selectorIllEEZZNS1_16scan_by_key_implILNS1_25lookback_scan_determinismE0ELb0ES3_PKlN6hipcub16HIPCUB_304000_NS21ConstantInputIteratorIllEEPllNSB_3SumENSB_8EqualityElEE10hipError_tPvRmT2_T3_T4_T5_mT6_T7_P12ihipStream_tbENKUlT_T0_E_clISt17integral_constantIbLb1EESX_EEDaSS_ST_EUlSS_E_NS1_11comp_targetILNS1_3genE8ELNS1_11target_archE1030ELNS1_3gpuE2ELNS1_3repE0EEENS1_30default_config_static_selectorELNS0_4arch9wavefront6targetE1EEEvT1_.kd
    .uniform_work_group_size: 1
    .uses_dynamic_stack: false
    .vgpr_count:     0
    .vgpr_spill_count: 0
    .wavefront_size: 64
  - .agpr_count:     0
    .args:
      - .offset:         0
        .size:           24
        .value_kind:     by_value
      - .offset:         24
        .size:           4
        .value_kind:     by_value
      - .offset:         28
        .size:           4
        .value_kind:     by_value
      - .address_space:  global
        .offset:         32
        .size:           8
        .value_kind:     global_buffer
      - .address_space:  global
        .offset:         40
        .size:           8
        .value_kind:     global_buffer
      - .actual_access:  write_only
        .address_space:  global
        .offset:         48
        .size:           8
        .value_kind:     global_buffer
      - .offset:         56
        .size:           8
        .value_kind:     by_value
      - .offset:         64
        .size:           4
        .value_kind:     by_value
      - .offset:         68
        .size:           1
        .value_kind:     by_value
      - .offset:         72
        .size:           4
        .value_kind:     hidden_block_count_x
      - .offset:         76
        .size:           4
        .value_kind:     hidden_block_count_y
      - .offset:         80
        .size:           4
        .value_kind:     hidden_block_count_z
      - .offset:         84
        .size:           2
        .value_kind:     hidden_group_size_x
      - .offset:         86
        .size:           2
        .value_kind:     hidden_group_size_y
      - .offset:         88
        .size:           2
        .value_kind:     hidden_group_size_z
      - .offset:         90
        .size:           2
        .value_kind:     hidden_remainder_x
      - .offset:         92
        .size:           2
        .value_kind:     hidden_remainder_y
      - .offset:         94
        .size:           2
        .value_kind:     hidden_remainder_z
      - .offset:         112
        .size:           8
        .value_kind:     hidden_global_offset_x
      - .offset:         120
        .size:           8
        .value_kind:     hidden_global_offset_y
      - .offset:         128
        .size:           8
        .value_kind:     hidden_global_offset_z
      - .offset:         136
        .size:           2
        .value_kind:     hidden_grid_dims
    .group_segment_fixed_size: 0
    .kernarg_segment_align: 8
    .kernarg_segment_size: 328
    .language:       OpenCL C
    .language_version:
      - 2
      - 0
    .max_flat_workgroup_size: 256
    .name:           _ZN7rocprim17ROCPRIM_400000_NS6detail30init_device_scan_by_key_kernelINS1_19lookback_scan_stateINS0_5tupleIJlbEEELb1ELb0EEEPKljNS1_16block_id_wrapperIjLb0EEEEEvT_jjPNSB_10value_typeET0_PNSt15iterator_traitsISE_E10value_typeEmT1_T2_
    .private_segment_fixed_size: 0
    .sgpr_count:     30
    .sgpr_spill_count: 0
    .symbol:         _ZN7rocprim17ROCPRIM_400000_NS6detail30init_device_scan_by_key_kernelINS1_19lookback_scan_stateINS0_5tupleIJlbEEELb1ELb0EEEPKljNS1_16block_id_wrapperIjLb0EEEEEvT_jjPNSB_10value_typeET0_PNSt15iterator_traitsISE_E10value_typeEmT1_T2_.kd
    .uniform_work_group_size: 1
    .uses_dynamic_stack: false
    .vgpr_count:     8
    .vgpr_spill_count: 0
    .wavefront_size: 64
  - .agpr_count:     0
    .args:
      - .offset:         0
        .size:           24
        .value_kind:     by_value
      - .offset:         24
        .size:           4
        .value_kind:     by_value
      - .offset:         28
        .size:           4
        .value_kind:     by_value
      - .address_space:  global
        .offset:         32
        .size:           8
        .value_kind:     global_buffer
      - .offset:         40
        .size:           1
        .value_kind:     by_value
      - .offset:         48
        .size:           4
        .value_kind:     hidden_block_count_x
      - .offset:         52
        .size:           4
        .value_kind:     hidden_block_count_y
      - .offset:         56
        .size:           4
        .value_kind:     hidden_block_count_z
      - .offset:         60
        .size:           2
        .value_kind:     hidden_group_size_x
      - .offset:         62
        .size:           2
        .value_kind:     hidden_group_size_y
      - .offset:         64
        .size:           2
        .value_kind:     hidden_group_size_z
      - .offset:         66
        .size:           2
        .value_kind:     hidden_remainder_x
      - .offset:         68
        .size:           2
        .value_kind:     hidden_remainder_y
      - .offset:         70
        .size:           2
        .value_kind:     hidden_remainder_z
      - .offset:         88
        .size:           8
        .value_kind:     hidden_global_offset_x
      - .offset:         96
        .size:           8
        .value_kind:     hidden_global_offset_y
      - .offset:         104
        .size:           8
        .value_kind:     hidden_global_offset_z
      - .offset:         112
        .size:           2
        .value_kind:     hidden_grid_dims
    .group_segment_fixed_size: 0
    .kernarg_segment_align: 8
    .kernarg_segment_size: 304
    .language:       OpenCL C
    .language_version:
      - 2
      - 0
    .max_flat_workgroup_size: 256
    .name:           _ZN7rocprim17ROCPRIM_400000_NS6detail30init_device_scan_by_key_kernelINS1_19lookback_scan_stateINS0_5tupleIJlbEEELb1ELb0EEENS1_16block_id_wrapperIjLb0EEEEEvT_jjPNS9_10value_typeET0_
    .private_segment_fixed_size: 0
    .sgpr_count:     24
    .sgpr_spill_count: 0
    .symbol:         _ZN7rocprim17ROCPRIM_400000_NS6detail30init_device_scan_by_key_kernelINS1_19lookback_scan_stateINS0_5tupleIJlbEEELb1ELb0EEENS1_16block_id_wrapperIjLb0EEEEEvT_jjPNS9_10value_typeET0_.kd
    .uniform_work_group_size: 1
    .uses_dynamic_stack: false
    .vgpr_count:     6
    .vgpr_spill_count: 0
    .wavefront_size: 64
  - .agpr_count:     0
    .args:
      - .offset:         0
        .size:           144
        .value_kind:     by_value
    .group_segment_fixed_size: 0
    .kernarg_segment_align: 8
    .kernarg_segment_size: 144
    .language:       OpenCL C
    .language_version:
      - 2
      - 0
    .max_flat_workgroup_size: 256
    .name:           _ZN7rocprim17ROCPRIM_400000_NS6detail17trampoline_kernelINS0_14default_configENS1_27scan_by_key_config_selectorIllEEZZNS1_16scan_by_key_implILNS1_25lookback_scan_determinismE0ELb0ES3_PKlN6hipcub16HIPCUB_304000_NS21ConstantInputIteratorIllEEPllNSB_3SumENSB_8EqualityElEE10hipError_tPvRmT2_T3_T4_T5_mT6_T7_P12ihipStream_tbENKUlT_T0_E_clISt17integral_constantIbLb1EESW_IbLb0EEEEDaSS_ST_EUlSS_E_NS1_11comp_targetILNS1_3genE0ELNS1_11target_archE4294967295ELNS1_3gpuE0ELNS1_3repE0EEENS1_30default_config_static_selectorELNS0_4arch9wavefront6targetE1EEEvT1_
    .private_segment_fixed_size: 0
    .sgpr_count:     6
    .sgpr_spill_count: 0
    .symbol:         _ZN7rocprim17ROCPRIM_400000_NS6detail17trampoline_kernelINS0_14default_configENS1_27scan_by_key_config_selectorIllEEZZNS1_16scan_by_key_implILNS1_25lookback_scan_determinismE0ELb0ES3_PKlN6hipcub16HIPCUB_304000_NS21ConstantInputIteratorIllEEPllNSB_3SumENSB_8EqualityElEE10hipError_tPvRmT2_T3_T4_T5_mT6_T7_P12ihipStream_tbENKUlT_T0_E_clISt17integral_constantIbLb1EESW_IbLb0EEEEDaSS_ST_EUlSS_E_NS1_11comp_targetILNS1_3genE0ELNS1_11target_archE4294967295ELNS1_3gpuE0ELNS1_3repE0EEENS1_30default_config_static_selectorELNS0_4arch9wavefront6targetE1EEEvT1_.kd
    .uniform_work_group_size: 1
    .uses_dynamic_stack: false
    .vgpr_count:     0
    .vgpr_spill_count: 0
    .wavefront_size: 64
  - .agpr_count:     0
    .args:
      - .offset:         0
        .size:           144
        .value_kind:     by_value
    .group_segment_fixed_size: 0
    .kernarg_segment_align: 8
    .kernarg_segment_size: 144
    .language:       OpenCL C
    .language_version:
      - 2
      - 0
    .max_flat_workgroup_size: 256
    .name:           _ZN7rocprim17ROCPRIM_400000_NS6detail17trampoline_kernelINS0_14default_configENS1_27scan_by_key_config_selectorIllEEZZNS1_16scan_by_key_implILNS1_25lookback_scan_determinismE0ELb0ES3_PKlN6hipcub16HIPCUB_304000_NS21ConstantInputIteratorIllEEPllNSB_3SumENSB_8EqualityElEE10hipError_tPvRmT2_T3_T4_T5_mT6_T7_P12ihipStream_tbENKUlT_T0_E_clISt17integral_constantIbLb1EESW_IbLb0EEEEDaSS_ST_EUlSS_E_NS1_11comp_targetILNS1_3genE10ELNS1_11target_archE1201ELNS1_3gpuE5ELNS1_3repE0EEENS1_30default_config_static_selectorELNS0_4arch9wavefront6targetE1EEEvT1_
    .private_segment_fixed_size: 0
    .sgpr_count:     6
    .sgpr_spill_count: 0
    .symbol:         _ZN7rocprim17ROCPRIM_400000_NS6detail17trampoline_kernelINS0_14default_configENS1_27scan_by_key_config_selectorIllEEZZNS1_16scan_by_key_implILNS1_25lookback_scan_determinismE0ELb0ES3_PKlN6hipcub16HIPCUB_304000_NS21ConstantInputIteratorIllEEPllNSB_3SumENSB_8EqualityElEE10hipError_tPvRmT2_T3_T4_T5_mT6_T7_P12ihipStream_tbENKUlT_T0_E_clISt17integral_constantIbLb1EESW_IbLb0EEEEDaSS_ST_EUlSS_E_NS1_11comp_targetILNS1_3genE10ELNS1_11target_archE1201ELNS1_3gpuE5ELNS1_3repE0EEENS1_30default_config_static_selectorELNS0_4arch9wavefront6targetE1EEEvT1_.kd
    .uniform_work_group_size: 1
    .uses_dynamic_stack: false
    .vgpr_count:     0
    .vgpr_spill_count: 0
    .wavefront_size: 64
  - .agpr_count:     0
    .args:
      - .offset:         0
        .size:           144
        .value_kind:     by_value
    .group_segment_fixed_size: 32768
    .kernarg_segment_align: 8
    .kernarg_segment_size: 144
    .language:       OpenCL C
    .language_version:
      - 2
      - 0
    .max_flat_workgroup_size: 256
    .name:           _ZN7rocprim17ROCPRIM_400000_NS6detail17trampoline_kernelINS0_14default_configENS1_27scan_by_key_config_selectorIllEEZZNS1_16scan_by_key_implILNS1_25lookback_scan_determinismE0ELb0ES3_PKlN6hipcub16HIPCUB_304000_NS21ConstantInputIteratorIllEEPllNSB_3SumENSB_8EqualityElEE10hipError_tPvRmT2_T3_T4_T5_mT6_T7_P12ihipStream_tbENKUlT_T0_E_clISt17integral_constantIbLb1EESW_IbLb0EEEEDaSS_ST_EUlSS_E_NS1_11comp_targetILNS1_3genE5ELNS1_11target_archE942ELNS1_3gpuE9ELNS1_3repE0EEENS1_30default_config_static_selectorELNS0_4arch9wavefront6targetE1EEEvT1_
    .private_segment_fixed_size: 0
    .sgpr_count:     72
    .sgpr_spill_count: 0
    .symbol:         _ZN7rocprim17ROCPRIM_400000_NS6detail17trampoline_kernelINS0_14default_configENS1_27scan_by_key_config_selectorIllEEZZNS1_16scan_by_key_implILNS1_25lookback_scan_determinismE0ELb0ES3_PKlN6hipcub16HIPCUB_304000_NS21ConstantInputIteratorIllEEPllNSB_3SumENSB_8EqualityElEE10hipError_tPvRmT2_T3_T4_T5_mT6_T7_P12ihipStream_tbENKUlT_T0_E_clISt17integral_constantIbLb1EESW_IbLb0EEEEDaSS_ST_EUlSS_E_NS1_11comp_targetILNS1_3genE5ELNS1_11target_archE942ELNS1_3gpuE9ELNS1_3repE0EEENS1_30default_config_static_selectorELNS0_4arch9wavefront6targetE1EEEvT1_.kd
    .uniform_work_group_size: 1
    .uses_dynamic_stack: false
    .vgpr_count:     92
    .vgpr_spill_count: 0
    .wavefront_size: 64
  - .agpr_count:     0
    .args:
      - .offset:         0
        .size:           144
        .value_kind:     by_value
    .group_segment_fixed_size: 0
    .kernarg_segment_align: 8
    .kernarg_segment_size: 144
    .language:       OpenCL C
    .language_version:
      - 2
      - 0
    .max_flat_workgroup_size: 64
    .name:           _ZN7rocprim17ROCPRIM_400000_NS6detail17trampoline_kernelINS0_14default_configENS1_27scan_by_key_config_selectorIllEEZZNS1_16scan_by_key_implILNS1_25lookback_scan_determinismE0ELb0ES3_PKlN6hipcub16HIPCUB_304000_NS21ConstantInputIteratorIllEEPllNSB_3SumENSB_8EqualityElEE10hipError_tPvRmT2_T3_T4_T5_mT6_T7_P12ihipStream_tbENKUlT_T0_E_clISt17integral_constantIbLb1EESW_IbLb0EEEEDaSS_ST_EUlSS_E_NS1_11comp_targetILNS1_3genE4ELNS1_11target_archE910ELNS1_3gpuE8ELNS1_3repE0EEENS1_30default_config_static_selectorELNS0_4arch9wavefront6targetE1EEEvT1_
    .private_segment_fixed_size: 0
    .sgpr_count:     6
    .sgpr_spill_count: 0
    .symbol:         _ZN7rocprim17ROCPRIM_400000_NS6detail17trampoline_kernelINS0_14default_configENS1_27scan_by_key_config_selectorIllEEZZNS1_16scan_by_key_implILNS1_25lookback_scan_determinismE0ELb0ES3_PKlN6hipcub16HIPCUB_304000_NS21ConstantInputIteratorIllEEPllNSB_3SumENSB_8EqualityElEE10hipError_tPvRmT2_T3_T4_T5_mT6_T7_P12ihipStream_tbENKUlT_T0_E_clISt17integral_constantIbLb1EESW_IbLb0EEEEDaSS_ST_EUlSS_E_NS1_11comp_targetILNS1_3genE4ELNS1_11target_archE910ELNS1_3gpuE8ELNS1_3repE0EEENS1_30default_config_static_selectorELNS0_4arch9wavefront6targetE1EEEvT1_.kd
    .uniform_work_group_size: 1
    .uses_dynamic_stack: false
    .vgpr_count:     0
    .vgpr_spill_count: 0
    .wavefront_size: 64
  - .agpr_count:     0
    .args:
      - .offset:         0
        .size:           144
        .value_kind:     by_value
    .group_segment_fixed_size: 0
    .kernarg_segment_align: 8
    .kernarg_segment_size: 144
    .language:       OpenCL C
    .language_version:
      - 2
      - 0
    .max_flat_workgroup_size: 256
    .name:           _ZN7rocprim17ROCPRIM_400000_NS6detail17trampoline_kernelINS0_14default_configENS1_27scan_by_key_config_selectorIllEEZZNS1_16scan_by_key_implILNS1_25lookback_scan_determinismE0ELb0ES3_PKlN6hipcub16HIPCUB_304000_NS21ConstantInputIteratorIllEEPllNSB_3SumENSB_8EqualityElEE10hipError_tPvRmT2_T3_T4_T5_mT6_T7_P12ihipStream_tbENKUlT_T0_E_clISt17integral_constantIbLb1EESW_IbLb0EEEEDaSS_ST_EUlSS_E_NS1_11comp_targetILNS1_3genE3ELNS1_11target_archE908ELNS1_3gpuE7ELNS1_3repE0EEENS1_30default_config_static_selectorELNS0_4arch9wavefront6targetE1EEEvT1_
    .private_segment_fixed_size: 0
    .sgpr_count:     6
    .sgpr_spill_count: 0
    .symbol:         _ZN7rocprim17ROCPRIM_400000_NS6detail17trampoline_kernelINS0_14default_configENS1_27scan_by_key_config_selectorIllEEZZNS1_16scan_by_key_implILNS1_25lookback_scan_determinismE0ELb0ES3_PKlN6hipcub16HIPCUB_304000_NS21ConstantInputIteratorIllEEPllNSB_3SumENSB_8EqualityElEE10hipError_tPvRmT2_T3_T4_T5_mT6_T7_P12ihipStream_tbENKUlT_T0_E_clISt17integral_constantIbLb1EESW_IbLb0EEEEDaSS_ST_EUlSS_E_NS1_11comp_targetILNS1_3genE3ELNS1_11target_archE908ELNS1_3gpuE7ELNS1_3repE0EEENS1_30default_config_static_selectorELNS0_4arch9wavefront6targetE1EEEvT1_.kd
    .uniform_work_group_size: 1
    .uses_dynamic_stack: false
    .vgpr_count:     0
    .vgpr_spill_count: 0
    .wavefront_size: 64
  - .agpr_count:     0
    .args:
      - .offset:         0
        .size:           144
        .value_kind:     by_value
    .group_segment_fixed_size: 0
    .kernarg_segment_align: 8
    .kernarg_segment_size: 144
    .language:       OpenCL C
    .language_version:
      - 2
      - 0
    .max_flat_workgroup_size: 256
    .name:           _ZN7rocprim17ROCPRIM_400000_NS6detail17trampoline_kernelINS0_14default_configENS1_27scan_by_key_config_selectorIllEEZZNS1_16scan_by_key_implILNS1_25lookback_scan_determinismE0ELb0ES3_PKlN6hipcub16HIPCUB_304000_NS21ConstantInputIteratorIllEEPllNSB_3SumENSB_8EqualityElEE10hipError_tPvRmT2_T3_T4_T5_mT6_T7_P12ihipStream_tbENKUlT_T0_E_clISt17integral_constantIbLb1EESW_IbLb0EEEEDaSS_ST_EUlSS_E_NS1_11comp_targetILNS1_3genE2ELNS1_11target_archE906ELNS1_3gpuE6ELNS1_3repE0EEENS1_30default_config_static_selectorELNS0_4arch9wavefront6targetE1EEEvT1_
    .private_segment_fixed_size: 0
    .sgpr_count:     6
    .sgpr_spill_count: 0
    .symbol:         _ZN7rocprim17ROCPRIM_400000_NS6detail17trampoline_kernelINS0_14default_configENS1_27scan_by_key_config_selectorIllEEZZNS1_16scan_by_key_implILNS1_25lookback_scan_determinismE0ELb0ES3_PKlN6hipcub16HIPCUB_304000_NS21ConstantInputIteratorIllEEPllNSB_3SumENSB_8EqualityElEE10hipError_tPvRmT2_T3_T4_T5_mT6_T7_P12ihipStream_tbENKUlT_T0_E_clISt17integral_constantIbLb1EESW_IbLb0EEEEDaSS_ST_EUlSS_E_NS1_11comp_targetILNS1_3genE2ELNS1_11target_archE906ELNS1_3gpuE6ELNS1_3repE0EEENS1_30default_config_static_selectorELNS0_4arch9wavefront6targetE1EEEvT1_.kd
    .uniform_work_group_size: 1
    .uses_dynamic_stack: false
    .vgpr_count:     0
    .vgpr_spill_count: 0
    .wavefront_size: 64
  - .agpr_count:     0
    .args:
      - .offset:         0
        .size:           144
        .value_kind:     by_value
    .group_segment_fixed_size: 0
    .kernarg_segment_align: 8
    .kernarg_segment_size: 144
    .language:       OpenCL C
    .language_version:
      - 2
      - 0
    .max_flat_workgroup_size: 256
    .name:           _ZN7rocprim17ROCPRIM_400000_NS6detail17trampoline_kernelINS0_14default_configENS1_27scan_by_key_config_selectorIllEEZZNS1_16scan_by_key_implILNS1_25lookback_scan_determinismE0ELb0ES3_PKlN6hipcub16HIPCUB_304000_NS21ConstantInputIteratorIllEEPllNSB_3SumENSB_8EqualityElEE10hipError_tPvRmT2_T3_T4_T5_mT6_T7_P12ihipStream_tbENKUlT_T0_E_clISt17integral_constantIbLb1EESW_IbLb0EEEEDaSS_ST_EUlSS_E_NS1_11comp_targetILNS1_3genE10ELNS1_11target_archE1200ELNS1_3gpuE4ELNS1_3repE0EEENS1_30default_config_static_selectorELNS0_4arch9wavefront6targetE1EEEvT1_
    .private_segment_fixed_size: 0
    .sgpr_count:     6
    .sgpr_spill_count: 0
    .symbol:         _ZN7rocprim17ROCPRIM_400000_NS6detail17trampoline_kernelINS0_14default_configENS1_27scan_by_key_config_selectorIllEEZZNS1_16scan_by_key_implILNS1_25lookback_scan_determinismE0ELb0ES3_PKlN6hipcub16HIPCUB_304000_NS21ConstantInputIteratorIllEEPllNSB_3SumENSB_8EqualityElEE10hipError_tPvRmT2_T3_T4_T5_mT6_T7_P12ihipStream_tbENKUlT_T0_E_clISt17integral_constantIbLb1EESW_IbLb0EEEEDaSS_ST_EUlSS_E_NS1_11comp_targetILNS1_3genE10ELNS1_11target_archE1200ELNS1_3gpuE4ELNS1_3repE0EEENS1_30default_config_static_selectorELNS0_4arch9wavefront6targetE1EEEvT1_.kd
    .uniform_work_group_size: 1
    .uses_dynamic_stack: false
    .vgpr_count:     0
    .vgpr_spill_count: 0
    .wavefront_size: 64
  - .agpr_count:     0
    .args:
      - .offset:         0
        .size:           144
        .value_kind:     by_value
    .group_segment_fixed_size: 0
    .kernarg_segment_align: 8
    .kernarg_segment_size: 144
    .language:       OpenCL C
    .language_version:
      - 2
      - 0
    .max_flat_workgroup_size: 256
    .name:           _ZN7rocprim17ROCPRIM_400000_NS6detail17trampoline_kernelINS0_14default_configENS1_27scan_by_key_config_selectorIllEEZZNS1_16scan_by_key_implILNS1_25lookback_scan_determinismE0ELb0ES3_PKlN6hipcub16HIPCUB_304000_NS21ConstantInputIteratorIllEEPllNSB_3SumENSB_8EqualityElEE10hipError_tPvRmT2_T3_T4_T5_mT6_T7_P12ihipStream_tbENKUlT_T0_E_clISt17integral_constantIbLb1EESW_IbLb0EEEEDaSS_ST_EUlSS_E_NS1_11comp_targetILNS1_3genE9ELNS1_11target_archE1100ELNS1_3gpuE3ELNS1_3repE0EEENS1_30default_config_static_selectorELNS0_4arch9wavefront6targetE1EEEvT1_
    .private_segment_fixed_size: 0
    .sgpr_count:     6
    .sgpr_spill_count: 0
    .symbol:         _ZN7rocprim17ROCPRIM_400000_NS6detail17trampoline_kernelINS0_14default_configENS1_27scan_by_key_config_selectorIllEEZZNS1_16scan_by_key_implILNS1_25lookback_scan_determinismE0ELb0ES3_PKlN6hipcub16HIPCUB_304000_NS21ConstantInputIteratorIllEEPllNSB_3SumENSB_8EqualityElEE10hipError_tPvRmT2_T3_T4_T5_mT6_T7_P12ihipStream_tbENKUlT_T0_E_clISt17integral_constantIbLb1EESW_IbLb0EEEEDaSS_ST_EUlSS_E_NS1_11comp_targetILNS1_3genE9ELNS1_11target_archE1100ELNS1_3gpuE3ELNS1_3repE0EEENS1_30default_config_static_selectorELNS0_4arch9wavefront6targetE1EEEvT1_.kd
    .uniform_work_group_size: 1
    .uses_dynamic_stack: false
    .vgpr_count:     0
    .vgpr_spill_count: 0
    .wavefront_size: 64
  - .agpr_count:     0
    .args:
      - .offset:         0
        .size:           144
        .value_kind:     by_value
    .group_segment_fixed_size: 0
    .kernarg_segment_align: 8
    .kernarg_segment_size: 144
    .language:       OpenCL C
    .language_version:
      - 2
      - 0
    .max_flat_workgroup_size: 256
    .name:           _ZN7rocprim17ROCPRIM_400000_NS6detail17trampoline_kernelINS0_14default_configENS1_27scan_by_key_config_selectorIllEEZZNS1_16scan_by_key_implILNS1_25lookback_scan_determinismE0ELb0ES3_PKlN6hipcub16HIPCUB_304000_NS21ConstantInputIteratorIllEEPllNSB_3SumENSB_8EqualityElEE10hipError_tPvRmT2_T3_T4_T5_mT6_T7_P12ihipStream_tbENKUlT_T0_E_clISt17integral_constantIbLb1EESW_IbLb0EEEEDaSS_ST_EUlSS_E_NS1_11comp_targetILNS1_3genE8ELNS1_11target_archE1030ELNS1_3gpuE2ELNS1_3repE0EEENS1_30default_config_static_selectorELNS0_4arch9wavefront6targetE1EEEvT1_
    .private_segment_fixed_size: 0
    .sgpr_count:     6
    .sgpr_spill_count: 0
    .symbol:         _ZN7rocprim17ROCPRIM_400000_NS6detail17trampoline_kernelINS0_14default_configENS1_27scan_by_key_config_selectorIllEEZZNS1_16scan_by_key_implILNS1_25lookback_scan_determinismE0ELb0ES3_PKlN6hipcub16HIPCUB_304000_NS21ConstantInputIteratorIllEEPllNSB_3SumENSB_8EqualityElEE10hipError_tPvRmT2_T3_T4_T5_mT6_T7_P12ihipStream_tbENKUlT_T0_E_clISt17integral_constantIbLb1EESW_IbLb0EEEEDaSS_ST_EUlSS_E_NS1_11comp_targetILNS1_3genE8ELNS1_11target_archE1030ELNS1_3gpuE2ELNS1_3repE0EEENS1_30default_config_static_selectorELNS0_4arch9wavefront6targetE1EEEvT1_.kd
    .uniform_work_group_size: 1
    .uses_dynamic_stack: false
    .vgpr_count:     0
    .vgpr_spill_count: 0
    .wavefront_size: 64
  - .agpr_count:     0
    .args:
      - .offset:         0
        .size:           24
        .value_kind:     by_value
      - .offset:         24
        .size:           4
        .value_kind:     by_value
      - .offset:         28
        .size:           4
        .value_kind:     by_value
      - .address_space:  global
        .offset:         32
        .size:           8
        .value_kind:     global_buffer
      - .address_space:  global
        .offset:         40
        .size:           8
        .value_kind:     global_buffer
      - .actual_access:  write_only
        .address_space:  global
        .offset:         48
        .size:           8
        .value_kind:     global_buffer
      - .offset:         56
        .size:           8
        .value_kind:     by_value
      - .offset:         64
        .size:           4
        .value_kind:     by_value
      - .address_space:  global
        .offset:         72
        .size:           8
        .value_kind:     global_buffer
      - .offset:         80
        .size:           4
        .value_kind:     hidden_block_count_x
      - .offset:         84
        .size:           4
        .value_kind:     hidden_block_count_y
      - .offset:         88
        .size:           4
        .value_kind:     hidden_block_count_z
      - .offset:         92
        .size:           2
        .value_kind:     hidden_group_size_x
      - .offset:         94
        .size:           2
        .value_kind:     hidden_group_size_y
      - .offset:         96
        .size:           2
        .value_kind:     hidden_group_size_z
      - .offset:         98
        .size:           2
        .value_kind:     hidden_remainder_x
      - .offset:         100
        .size:           2
        .value_kind:     hidden_remainder_y
      - .offset:         102
        .size:           2
        .value_kind:     hidden_remainder_z
      - .offset:         120
        .size:           8
        .value_kind:     hidden_global_offset_x
      - .offset:         128
        .size:           8
        .value_kind:     hidden_global_offset_y
      - .offset:         136
        .size:           8
        .value_kind:     hidden_global_offset_z
      - .offset:         144
        .size:           2
        .value_kind:     hidden_grid_dims
    .group_segment_fixed_size: 0
    .kernarg_segment_align: 8
    .kernarg_segment_size: 336
    .language:       OpenCL C
    .language_version:
      - 2
      - 0
    .max_flat_workgroup_size: 256
    .name:           _ZN7rocprim17ROCPRIM_400000_NS6detail30init_device_scan_by_key_kernelINS1_19lookback_scan_stateINS0_5tupleIJlbEEELb0ELb0EEEPKljNS1_16block_id_wrapperIjLb1EEEEEvT_jjPNSB_10value_typeET0_PNSt15iterator_traitsISE_E10value_typeEmT1_T2_
    .private_segment_fixed_size: 0
    .sgpr_count:     28
    .sgpr_spill_count: 0
    .symbol:         _ZN7rocprim17ROCPRIM_400000_NS6detail30init_device_scan_by_key_kernelINS1_19lookback_scan_stateINS0_5tupleIJlbEEELb0ELb0EEEPKljNS1_16block_id_wrapperIjLb1EEEEEvT_jjPNSB_10value_typeET0_PNSt15iterator_traitsISE_E10value_typeEmT1_T2_.kd
    .uniform_work_group_size: 1
    .uses_dynamic_stack: false
    .vgpr_count:     8
    .vgpr_spill_count: 0
    .wavefront_size: 64
  - .agpr_count:     0
    .args:
      - .offset:         0
        .size:           24
        .value_kind:     by_value
      - .offset:         24
        .size:           4
        .value_kind:     by_value
      - .offset:         28
        .size:           4
        .value_kind:     by_value
      - .address_space:  global
        .offset:         32
        .size:           8
        .value_kind:     global_buffer
      - .address_space:  global
        .offset:         40
        .size:           8
        .value_kind:     global_buffer
      - .offset:         48
        .size:           4
        .value_kind:     hidden_block_count_x
      - .offset:         52
        .size:           4
        .value_kind:     hidden_block_count_y
      - .offset:         56
        .size:           4
        .value_kind:     hidden_block_count_z
      - .offset:         60
        .size:           2
        .value_kind:     hidden_group_size_x
      - .offset:         62
        .size:           2
        .value_kind:     hidden_group_size_y
      - .offset:         64
        .size:           2
        .value_kind:     hidden_group_size_z
      - .offset:         66
        .size:           2
        .value_kind:     hidden_remainder_x
      - .offset:         68
        .size:           2
        .value_kind:     hidden_remainder_y
      - .offset:         70
        .size:           2
        .value_kind:     hidden_remainder_z
      - .offset:         88
        .size:           8
        .value_kind:     hidden_global_offset_x
      - .offset:         96
        .size:           8
        .value_kind:     hidden_global_offset_y
      - .offset:         104
        .size:           8
        .value_kind:     hidden_global_offset_z
      - .offset:         112
        .size:           2
        .value_kind:     hidden_grid_dims
    .group_segment_fixed_size: 0
    .kernarg_segment_align: 8
    .kernarg_segment_size: 304
    .language:       OpenCL C
    .language_version:
      - 2
      - 0
    .max_flat_workgroup_size: 256
    .name:           _ZN7rocprim17ROCPRIM_400000_NS6detail30init_device_scan_by_key_kernelINS1_19lookback_scan_stateINS0_5tupleIJlbEEELb0ELb0EEENS1_16block_id_wrapperIjLb1EEEEEvT_jjPNS9_10value_typeET0_
    .private_segment_fixed_size: 0
    .sgpr_count:     24
    .sgpr_spill_count: 0
    .symbol:         _ZN7rocprim17ROCPRIM_400000_NS6detail30init_device_scan_by_key_kernelINS1_19lookback_scan_stateINS0_5tupleIJlbEEELb0ELb0EEENS1_16block_id_wrapperIjLb1EEEEEvT_jjPNS9_10value_typeET0_.kd
    .uniform_work_group_size: 1
    .uses_dynamic_stack: false
    .vgpr_count:     6
    .vgpr_spill_count: 0
    .wavefront_size: 64
  - .agpr_count:     0
    .args:
      - .offset:         0
        .size:           144
        .value_kind:     by_value
    .group_segment_fixed_size: 0
    .kernarg_segment_align: 8
    .kernarg_segment_size: 144
    .language:       OpenCL C
    .language_version:
      - 2
      - 0
    .max_flat_workgroup_size: 256
    .name:           _ZN7rocprim17ROCPRIM_400000_NS6detail17trampoline_kernelINS0_14default_configENS1_27scan_by_key_config_selectorIllEEZZNS1_16scan_by_key_implILNS1_25lookback_scan_determinismE0ELb0ES3_PKlN6hipcub16HIPCUB_304000_NS21ConstantInputIteratorIllEEPllNSB_3SumENSB_8EqualityElEE10hipError_tPvRmT2_T3_T4_T5_mT6_T7_P12ihipStream_tbENKUlT_T0_E_clISt17integral_constantIbLb0EESW_IbLb1EEEEDaSS_ST_EUlSS_E_NS1_11comp_targetILNS1_3genE0ELNS1_11target_archE4294967295ELNS1_3gpuE0ELNS1_3repE0EEENS1_30default_config_static_selectorELNS0_4arch9wavefront6targetE1EEEvT1_
    .private_segment_fixed_size: 0
    .sgpr_count:     6
    .sgpr_spill_count: 0
    .symbol:         _ZN7rocprim17ROCPRIM_400000_NS6detail17trampoline_kernelINS0_14default_configENS1_27scan_by_key_config_selectorIllEEZZNS1_16scan_by_key_implILNS1_25lookback_scan_determinismE0ELb0ES3_PKlN6hipcub16HIPCUB_304000_NS21ConstantInputIteratorIllEEPllNSB_3SumENSB_8EqualityElEE10hipError_tPvRmT2_T3_T4_T5_mT6_T7_P12ihipStream_tbENKUlT_T0_E_clISt17integral_constantIbLb0EESW_IbLb1EEEEDaSS_ST_EUlSS_E_NS1_11comp_targetILNS1_3genE0ELNS1_11target_archE4294967295ELNS1_3gpuE0ELNS1_3repE0EEENS1_30default_config_static_selectorELNS0_4arch9wavefront6targetE1EEEvT1_.kd
    .uniform_work_group_size: 1
    .uses_dynamic_stack: false
    .vgpr_count:     0
    .vgpr_spill_count: 0
    .wavefront_size: 64
  - .agpr_count:     0
    .args:
      - .offset:         0
        .size:           144
        .value_kind:     by_value
    .group_segment_fixed_size: 0
    .kernarg_segment_align: 8
    .kernarg_segment_size: 144
    .language:       OpenCL C
    .language_version:
      - 2
      - 0
    .max_flat_workgroup_size: 256
    .name:           _ZN7rocprim17ROCPRIM_400000_NS6detail17trampoline_kernelINS0_14default_configENS1_27scan_by_key_config_selectorIllEEZZNS1_16scan_by_key_implILNS1_25lookback_scan_determinismE0ELb0ES3_PKlN6hipcub16HIPCUB_304000_NS21ConstantInputIteratorIllEEPllNSB_3SumENSB_8EqualityElEE10hipError_tPvRmT2_T3_T4_T5_mT6_T7_P12ihipStream_tbENKUlT_T0_E_clISt17integral_constantIbLb0EESW_IbLb1EEEEDaSS_ST_EUlSS_E_NS1_11comp_targetILNS1_3genE10ELNS1_11target_archE1201ELNS1_3gpuE5ELNS1_3repE0EEENS1_30default_config_static_selectorELNS0_4arch9wavefront6targetE1EEEvT1_
    .private_segment_fixed_size: 0
    .sgpr_count:     6
    .sgpr_spill_count: 0
    .symbol:         _ZN7rocprim17ROCPRIM_400000_NS6detail17trampoline_kernelINS0_14default_configENS1_27scan_by_key_config_selectorIllEEZZNS1_16scan_by_key_implILNS1_25lookback_scan_determinismE0ELb0ES3_PKlN6hipcub16HIPCUB_304000_NS21ConstantInputIteratorIllEEPllNSB_3SumENSB_8EqualityElEE10hipError_tPvRmT2_T3_T4_T5_mT6_T7_P12ihipStream_tbENKUlT_T0_E_clISt17integral_constantIbLb0EESW_IbLb1EEEEDaSS_ST_EUlSS_E_NS1_11comp_targetILNS1_3genE10ELNS1_11target_archE1201ELNS1_3gpuE5ELNS1_3repE0EEENS1_30default_config_static_selectorELNS0_4arch9wavefront6targetE1EEEvT1_.kd
    .uniform_work_group_size: 1
    .uses_dynamic_stack: false
    .vgpr_count:     0
    .vgpr_spill_count: 0
    .wavefront_size: 64
  - .agpr_count:     0
    .args:
      - .offset:         0
        .size:           144
        .value_kind:     by_value
    .group_segment_fixed_size: 32768
    .kernarg_segment_align: 8
    .kernarg_segment_size: 144
    .language:       OpenCL C
    .language_version:
      - 2
      - 0
    .max_flat_workgroup_size: 256
    .name:           _ZN7rocprim17ROCPRIM_400000_NS6detail17trampoline_kernelINS0_14default_configENS1_27scan_by_key_config_selectorIllEEZZNS1_16scan_by_key_implILNS1_25lookback_scan_determinismE0ELb0ES3_PKlN6hipcub16HIPCUB_304000_NS21ConstantInputIteratorIllEEPllNSB_3SumENSB_8EqualityElEE10hipError_tPvRmT2_T3_T4_T5_mT6_T7_P12ihipStream_tbENKUlT_T0_E_clISt17integral_constantIbLb0EESW_IbLb1EEEEDaSS_ST_EUlSS_E_NS1_11comp_targetILNS1_3genE5ELNS1_11target_archE942ELNS1_3gpuE9ELNS1_3repE0EEENS1_30default_config_static_selectorELNS0_4arch9wavefront6targetE1EEEvT1_
    .private_segment_fixed_size: 0
    .sgpr_count:     76
    .sgpr_spill_count: 0
    .symbol:         _ZN7rocprim17ROCPRIM_400000_NS6detail17trampoline_kernelINS0_14default_configENS1_27scan_by_key_config_selectorIllEEZZNS1_16scan_by_key_implILNS1_25lookback_scan_determinismE0ELb0ES3_PKlN6hipcub16HIPCUB_304000_NS21ConstantInputIteratorIllEEPllNSB_3SumENSB_8EqualityElEE10hipError_tPvRmT2_T3_T4_T5_mT6_T7_P12ihipStream_tbENKUlT_T0_E_clISt17integral_constantIbLb0EESW_IbLb1EEEEDaSS_ST_EUlSS_E_NS1_11comp_targetILNS1_3genE5ELNS1_11target_archE942ELNS1_3gpuE9ELNS1_3repE0EEENS1_30default_config_static_selectorELNS0_4arch9wavefront6targetE1EEEvT1_.kd
    .uniform_work_group_size: 1
    .uses_dynamic_stack: false
    .vgpr_count:     92
    .vgpr_spill_count: 0
    .wavefront_size: 64
  - .agpr_count:     0
    .args:
      - .offset:         0
        .size:           144
        .value_kind:     by_value
    .group_segment_fixed_size: 0
    .kernarg_segment_align: 8
    .kernarg_segment_size: 144
    .language:       OpenCL C
    .language_version:
      - 2
      - 0
    .max_flat_workgroup_size: 64
    .name:           _ZN7rocprim17ROCPRIM_400000_NS6detail17trampoline_kernelINS0_14default_configENS1_27scan_by_key_config_selectorIllEEZZNS1_16scan_by_key_implILNS1_25lookback_scan_determinismE0ELb0ES3_PKlN6hipcub16HIPCUB_304000_NS21ConstantInputIteratorIllEEPllNSB_3SumENSB_8EqualityElEE10hipError_tPvRmT2_T3_T4_T5_mT6_T7_P12ihipStream_tbENKUlT_T0_E_clISt17integral_constantIbLb0EESW_IbLb1EEEEDaSS_ST_EUlSS_E_NS1_11comp_targetILNS1_3genE4ELNS1_11target_archE910ELNS1_3gpuE8ELNS1_3repE0EEENS1_30default_config_static_selectorELNS0_4arch9wavefront6targetE1EEEvT1_
    .private_segment_fixed_size: 0
    .sgpr_count:     6
    .sgpr_spill_count: 0
    .symbol:         _ZN7rocprim17ROCPRIM_400000_NS6detail17trampoline_kernelINS0_14default_configENS1_27scan_by_key_config_selectorIllEEZZNS1_16scan_by_key_implILNS1_25lookback_scan_determinismE0ELb0ES3_PKlN6hipcub16HIPCUB_304000_NS21ConstantInputIteratorIllEEPllNSB_3SumENSB_8EqualityElEE10hipError_tPvRmT2_T3_T4_T5_mT6_T7_P12ihipStream_tbENKUlT_T0_E_clISt17integral_constantIbLb0EESW_IbLb1EEEEDaSS_ST_EUlSS_E_NS1_11comp_targetILNS1_3genE4ELNS1_11target_archE910ELNS1_3gpuE8ELNS1_3repE0EEENS1_30default_config_static_selectorELNS0_4arch9wavefront6targetE1EEEvT1_.kd
    .uniform_work_group_size: 1
    .uses_dynamic_stack: false
    .vgpr_count:     0
    .vgpr_spill_count: 0
    .wavefront_size: 64
  - .agpr_count:     0
    .args:
      - .offset:         0
        .size:           144
        .value_kind:     by_value
    .group_segment_fixed_size: 0
    .kernarg_segment_align: 8
    .kernarg_segment_size: 144
    .language:       OpenCL C
    .language_version:
      - 2
      - 0
    .max_flat_workgroup_size: 256
    .name:           _ZN7rocprim17ROCPRIM_400000_NS6detail17trampoline_kernelINS0_14default_configENS1_27scan_by_key_config_selectorIllEEZZNS1_16scan_by_key_implILNS1_25lookback_scan_determinismE0ELb0ES3_PKlN6hipcub16HIPCUB_304000_NS21ConstantInputIteratorIllEEPllNSB_3SumENSB_8EqualityElEE10hipError_tPvRmT2_T3_T4_T5_mT6_T7_P12ihipStream_tbENKUlT_T0_E_clISt17integral_constantIbLb0EESW_IbLb1EEEEDaSS_ST_EUlSS_E_NS1_11comp_targetILNS1_3genE3ELNS1_11target_archE908ELNS1_3gpuE7ELNS1_3repE0EEENS1_30default_config_static_selectorELNS0_4arch9wavefront6targetE1EEEvT1_
    .private_segment_fixed_size: 0
    .sgpr_count:     6
    .sgpr_spill_count: 0
    .symbol:         _ZN7rocprim17ROCPRIM_400000_NS6detail17trampoline_kernelINS0_14default_configENS1_27scan_by_key_config_selectorIllEEZZNS1_16scan_by_key_implILNS1_25lookback_scan_determinismE0ELb0ES3_PKlN6hipcub16HIPCUB_304000_NS21ConstantInputIteratorIllEEPllNSB_3SumENSB_8EqualityElEE10hipError_tPvRmT2_T3_T4_T5_mT6_T7_P12ihipStream_tbENKUlT_T0_E_clISt17integral_constantIbLb0EESW_IbLb1EEEEDaSS_ST_EUlSS_E_NS1_11comp_targetILNS1_3genE3ELNS1_11target_archE908ELNS1_3gpuE7ELNS1_3repE0EEENS1_30default_config_static_selectorELNS0_4arch9wavefront6targetE1EEEvT1_.kd
    .uniform_work_group_size: 1
    .uses_dynamic_stack: false
    .vgpr_count:     0
    .vgpr_spill_count: 0
    .wavefront_size: 64
  - .agpr_count:     0
    .args:
      - .offset:         0
        .size:           144
        .value_kind:     by_value
    .group_segment_fixed_size: 0
    .kernarg_segment_align: 8
    .kernarg_segment_size: 144
    .language:       OpenCL C
    .language_version:
      - 2
      - 0
    .max_flat_workgroup_size: 256
    .name:           _ZN7rocprim17ROCPRIM_400000_NS6detail17trampoline_kernelINS0_14default_configENS1_27scan_by_key_config_selectorIllEEZZNS1_16scan_by_key_implILNS1_25lookback_scan_determinismE0ELb0ES3_PKlN6hipcub16HIPCUB_304000_NS21ConstantInputIteratorIllEEPllNSB_3SumENSB_8EqualityElEE10hipError_tPvRmT2_T3_T4_T5_mT6_T7_P12ihipStream_tbENKUlT_T0_E_clISt17integral_constantIbLb0EESW_IbLb1EEEEDaSS_ST_EUlSS_E_NS1_11comp_targetILNS1_3genE2ELNS1_11target_archE906ELNS1_3gpuE6ELNS1_3repE0EEENS1_30default_config_static_selectorELNS0_4arch9wavefront6targetE1EEEvT1_
    .private_segment_fixed_size: 0
    .sgpr_count:     6
    .sgpr_spill_count: 0
    .symbol:         _ZN7rocprim17ROCPRIM_400000_NS6detail17trampoline_kernelINS0_14default_configENS1_27scan_by_key_config_selectorIllEEZZNS1_16scan_by_key_implILNS1_25lookback_scan_determinismE0ELb0ES3_PKlN6hipcub16HIPCUB_304000_NS21ConstantInputIteratorIllEEPllNSB_3SumENSB_8EqualityElEE10hipError_tPvRmT2_T3_T4_T5_mT6_T7_P12ihipStream_tbENKUlT_T0_E_clISt17integral_constantIbLb0EESW_IbLb1EEEEDaSS_ST_EUlSS_E_NS1_11comp_targetILNS1_3genE2ELNS1_11target_archE906ELNS1_3gpuE6ELNS1_3repE0EEENS1_30default_config_static_selectorELNS0_4arch9wavefront6targetE1EEEvT1_.kd
    .uniform_work_group_size: 1
    .uses_dynamic_stack: false
    .vgpr_count:     0
    .vgpr_spill_count: 0
    .wavefront_size: 64
  - .agpr_count:     0
    .args:
      - .offset:         0
        .size:           144
        .value_kind:     by_value
    .group_segment_fixed_size: 0
    .kernarg_segment_align: 8
    .kernarg_segment_size: 144
    .language:       OpenCL C
    .language_version:
      - 2
      - 0
    .max_flat_workgroup_size: 256
    .name:           _ZN7rocprim17ROCPRIM_400000_NS6detail17trampoline_kernelINS0_14default_configENS1_27scan_by_key_config_selectorIllEEZZNS1_16scan_by_key_implILNS1_25lookback_scan_determinismE0ELb0ES3_PKlN6hipcub16HIPCUB_304000_NS21ConstantInputIteratorIllEEPllNSB_3SumENSB_8EqualityElEE10hipError_tPvRmT2_T3_T4_T5_mT6_T7_P12ihipStream_tbENKUlT_T0_E_clISt17integral_constantIbLb0EESW_IbLb1EEEEDaSS_ST_EUlSS_E_NS1_11comp_targetILNS1_3genE10ELNS1_11target_archE1200ELNS1_3gpuE4ELNS1_3repE0EEENS1_30default_config_static_selectorELNS0_4arch9wavefront6targetE1EEEvT1_
    .private_segment_fixed_size: 0
    .sgpr_count:     6
    .sgpr_spill_count: 0
    .symbol:         _ZN7rocprim17ROCPRIM_400000_NS6detail17trampoline_kernelINS0_14default_configENS1_27scan_by_key_config_selectorIllEEZZNS1_16scan_by_key_implILNS1_25lookback_scan_determinismE0ELb0ES3_PKlN6hipcub16HIPCUB_304000_NS21ConstantInputIteratorIllEEPllNSB_3SumENSB_8EqualityElEE10hipError_tPvRmT2_T3_T4_T5_mT6_T7_P12ihipStream_tbENKUlT_T0_E_clISt17integral_constantIbLb0EESW_IbLb1EEEEDaSS_ST_EUlSS_E_NS1_11comp_targetILNS1_3genE10ELNS1_11target_archE1200ELNS1_3gpuE4ELNS1_3repE0EEENS1_30default_config_static_selectorELNS0_4arch9wavefront6targetE1EEEvT1_.kd
    .uniform_work_group_size: 1
    .uses_dynamic_stack: false
    .vgpr_count:     0
    .vgpr_spill_count: 0
    .wavefront_size: 64
  - .agpr_count:     0
    .args:
      - .offset:         0
        .size:           144
        .value_kind:     by_value
    .group_segment_fixed_size: 0
    .kernarg_segment_align: 8
    .kernarg_segment_size: 144
    .language:       OpenCL C
    .language_version:
      - 2
      - 0
    .max_flat_workgroup_size: 256
    .name:           _ZN7rocprim17ROCPRIM_400000_NS6detail17trampoline_kernelINS0_14default_configENS1_27scan_by_key_config_selectorIllEEZZNS1_16scan_by_key_implILNS1_25lookback_scan_determinismE0ELb0ES3_PKlN6hipcub16HIPCUB_304000_NS21ConstantInputIteratorIllEEPllNSB_3SumENSB_8EqualityElEE10hipError_tPvRmT2_T3_T4_T5_mT6_T7_P12ihipStream_tbENKUlT_T0_E_clISt17integral_constantIbLb0EESW_IbLb1EEEEDaSS_ST_EUlSS_E_NS1_11comp_targetILNS1_3genE9ELNS1_11target_archE1100ELNS1_3gpuE3ELNS1_3repE0EEENS1_30default_config_static_selectorELNS0_4arch9wavefront6targetE1EEEvT1_
    .private_segment_fixed_size: 0
    .sgpr_count:     6
    .sgpr_spill_count: 0
    .symbol:         _ZN7rocprim17ROCPRIM_400000_NS6detail17trampoline_kernelINS0_14default_configENS1_27scan_by_key_config_selectorIllEEZZNS1_16scan_by_key_implILNS1_25lookback_scan_determinismE0ELb0ES3_PKlN6hipcub16HIPCUB_304000_NS21ConstantInputIteratorIllEEPllNSB_3SumENSB_8EqualityElEE10hipError_tPvRmT2_T3_T4_T5_mT6_T7_P12ihipStream_tbENKUlT_T0_E_clISt17integral_constantIbLb0EESW_IbLb1EEEEDaSS_ST_EUlSS_E_NS1_11comp_targetILNS1_3genE9ELNS1_11target_archE1100ELNS1_3gpuE3ELNS1_3repE0EEENS1_30default_config_static_selectorELNS0_4arch9wavefront6targetE1EEEvT1_.kd
    .uniform_work_group_size: 1
    .uses_dynamic_stack: false
    .vgpr_count:     0
    .vgpr_spill_count: 0
    .wavefront_size: 64
  - .agpr_count:     0
    .args:
      - .offset:         0
        .size:           144
        .value_kind:     by_value
    .group_segment_fixed_size: 0
    .kernarg_segment_align: 8
    .kernarg_segment_size: 144
    .language:       OpenCL C
    .language_version:
      - 2
      - 0
    .max_flat_workgroup_size: 256
    .name:           _ZN7rocprim17ROCPRIM_400000_NS6detail17trampoline_kernelINS0_14default_configENS1_27scan_by_key_config_selectorIllEEZZNS1_16scan_by_key_implILNS1_25lookback_scan_determinismE0ELb0ES3_PKlN6hipcub16HIPCUB_304000_NS21ConstantInputIteratorIllEEPllNSB_3SumENSB_8EqualityElEE10hipError_tPvRmT2_T3_T4_T5_mT6_T7_P12ihipStream_tbENKUlT_T0_E_clISt17integral_constantIbLb0EESW_IbLb1EEEEDaSS_ST_EUlSS_E_NS1_11comp_targetILNS1_3genE8ELNS1_11target_archE1030ELNS1_3gpuE2ELNS1_3repE0EEENS1_30default_config_static_selectorELNS0_4arch9wavefront6targetE1EEEvT1_
    .private_segment_fixed_size: 0
    .sgpr_count:     6
    .sgpr_spill_count: 0
    .symbol:         _ZN7rocprim17ROCPRIM_400000_NS6detail17trampoline_kernelINS0_14default_configENS1_27scan_by_key_config_selectorIllEEZZNS1_16scan_by_key_implILNS1_25lookback_scan_determinismE0ELb0ES3_PKlN6hipcub16HIPCUB_304000_NS21ConstantInputIteratorIllEEPllNSB_3SumENSB_8EqualityElEE10hipError_tPvRmT2_T3_T4_T5_mT6_T7_P12ihipStream_tbENKUlT_T0_E_clISt17integral_constantIbLb0EESW_IbLb1EEEEDaSS_ST_EUlSS_E_NS1_11comp_targetILNS1_3genE8ELNS1_11target_archE1030ELNS1_3gpuE2ELNS1_3repE0EEENS1_30default_config_static_selectorELNS0_4arch9wavefront6targetE1EEEvT1_.kd
    .uniform_work_group_size: 1
    .uses_dynamic_stack: false
    .vgpr_count:     0
    .vgpr_spill_count: 0
    .wavefront_size: 64
  - .agpr_count:     0
    .args:
      - .offset:         0
        .size:           24
        .value_kind:     by_value
      - .offset:         24
        .size:           4
        .value_kind:     by_value
      - .offset:         28
        .size:           4
        .value_kind:     by_value
      - .address_space:  global
        .offset:         32
        .size:           8
        .value_kind:     global_buffer
      - .address_space:  global
        .offset:         40
        .size:           8
        .value_kind:     global_buffer
      - .actual_access:  write_only
        .address_space:  global
        .offset:         48
        .size:           8
        .value_kind:     global_buffer
      - .offset:         56
        .size:           8
        .value_kind:     by_value
      - .offset:         64
        .size:           4
        .value_kind:     by_value
      - .offset:         68
        .size:           1
        .value_kind:     by_value
      - .offset:         72
        .size:           4
        .value_kind:     hidden_block_count_x
      - .offset:         76
        .size:           4
        .value_kind:     hidden_block_count_y
      - .offset:         80
        .size:           4
        .value_kind:     hidden_block_count_z
      - .offset:         84
        .size:           2
        .value_kind:     hidden_group_size_x
      - .offset:         86
        .size:           2
        .value_kind:     hidden_group_size_y
      - .offset:         88
        .size:           2
        .value_kind:     hidden_group_size_z
      - .offset:         90
        .size:           2
        .value_kind:     hidden_remainder_x
      - .offset:         92
        .size:           2
        .value_kind:     hidden_remainder_y
      - .offset:         94
        .size:           2
        .value_kind:     hidden_remainder_z
      - .offset:         112
        .size:           8
        .value_kind:     hidden_global_offset_x
      - .offset:         120
        .size:           8
        .value_kind:     hidden_global_offset_y
      - .offset:         128
        .size:           8
        .value_kind:     hidden_global_offset_z
      - .offset:         136
        .size:           2
        .value_kind:     hidden_grid_dims
    .group_segment_fixed_size: 0
    .kernarg_segment_align: 8
    .kernarg_segment_size: 328
    .language:       OpenCL C
    .language_version:
      - 2
      - 0
    .max_flat_workgroup_size: 256
    .name:           _ZN7rocprim17ROCPRIM_400000_NS6detail30init_device_scan_by_key_kernelINS1_19lookback_scan_stateINS0_5tupleIJlbEEELb0ELb0EEEN6thrust23THRUST_200600_302600_NS16reverse_iteratorIPKlEEjNS1_16block_id_wrapperIjLb0EEEEEvT_jjPNSF_10value_typeET0_PNSt15iterator_traitsISI_E10value_typeEmT1_T2_
    .private_segment_fixed_size: 0
    .sgpr_count:     28
    .sgpr_spill_count: 0
    .symbol:         _ZN7rocprim17ROCPRIM_400000_NS6detail30init_device_scan_by_key_kernelINS1_19lookback_scan_stateINS0_5tupleIJlbEEELb0ELb0EEEN6thrust23THRUST_200600_302600_NS16reverse_iteratorIPKlEEjNS1_16block_id_wrapperIjLb0EEEEEvT_jjPNSF_10value_typeET0_PNSt15iterator_traitsISI_E10value_typeEmT1_T2_.kd
    .uniform_work_group_size: 1
    .uses_dynamic_stack: false
    .vgpr_count:     8
    .vgpr_spill_count: 0
    .wavefront_size: 64
  - .agpr_count:     0
    .args:
      - .offset:         0
        .size:           136
        .value_kind:     by_value
    .group_segment_fixed_size: 0
    .kernarg_segment_align: 8
    .kernarg_segment_size: 136
    .language:       OpenCL C
    .language_version:
      - 2
      - 0
    .max_flat_workgroup_size: 256
    .name:           _ZN7rocprim17ROCPRIM_400000_NS6detail17trampoline_kernelINS0_14default_configENS1_27scan_by_key_config_selectorIllEEZZNS1_16scan_by_key_implILNS1_25lookback_scan_determinismE0ELb0ES3_N6thrust23THRUST_200600_302600_NS16reverse_iteratorIPKlEESD_NSA_IPlEElN6hipcub16HIPCUB_304000_NS3MaxENSH_8EqualityElEE10hipError_tPvRmT2_T3_T4_T5_mT6_T7_P12ihipStream_tbENKUlT_T0_E_clISt17integral_constantIbLb0EES10_EEDaSV_SW_EUlSV_E_NS1_11comp_targetILNS1_3genE0ELNS1_11target_archE4294967295ELNS1_3gpuE0ELNS1_3repE0EEENS1_30default_config_static_selectorELNS0_4arch9wavefront6targetE1EEEvT1_
    .private_segment_fixed_size: 0
    .sgpr_count:     6
    .sgpr_spill_count: 0
    .symbol:         _ZN7rocprim17ROCPRIM_400000_NS6detail17trampoline_kernelINS0_14default_configENS1_27scan_by_key_config_selectorIllEEZZNS1_16scan_by_key_implILNS1_25lookback_scan_determinismE0ELb0ES3_N6thrust23THRUST_200600_302600_NS16reverse_iteratorIPKlEESD_NSA_IPlEElN6hipcub16HIPCUB_304000_NS3MaxENSH_8EqualityElEE10hipError_tPvRmT2_T3_T4_T5_mT6_T7_P12ihipStream_tbENKUlT_T0_E_clISt17integral_constantIbLb0EES10_EEDaSV_SW_EUlSV_E_NS1_11comp_targetILNS1_3genE0ELNS1_11target_archE4294967295ELNS1_3gpuE0ELNS1_3repE0EEENS1_30default_config_static_selectorELNS0_4arch9wavefront6targetE1EEEvT1_.kd
    .uniform_work_group_size: 1
    .uses_dynamic_stack: false
    .vgpr_count:     0
    .vgpr_spill_count: 0
    .wavefront_size: 64
  - .agpr_count:     0
    .args:
      - .offset:         0
        .size:           136
        .value_kind:     by_value
    .group_segment_fixed_size: 0
    .kernarg_segment_align: 8
    .kernarg_segment_size: 136
    .language:       OpenCL C
    .language_version:
      - 2
      - 0
    .max_flat_workgroup_size: 256
    .name:           _ZN7rocprim17ROCPRIM_400000_NS6detail17trampoline_kernelINS0_14default_configENS1_27scan_by_key_config_selectorIllEEZZNS1_16scan_by_key_implILNS1_25lookback_scan_determinismE0ELb0ES3_N6thrust23THRUST_200600_302600_NS16reverse_iteratorIPKlEESD_NSA_IPlEElN6hipcub16HIPCUB_304000_NS3MaxENSH_8EqualityElEE10hipError_tPvRmT2_T3_T4_T5_mT6_T7_P12ihipStream_tbENKUlT_T0_E_clISt17integral_constantIbLb0EES10_EEDaSV_SW_EUlSV_E_NS1_11comp_targetILNS1_3genE10ELNS1_11target_archE1201ELNS1_3gpuE5ELNS1_3repE0EEENS1_30default_config_static_selectorELNS0_4arch9wavefront6targetE1EEEvT1_
    .private_segment_fixed_size: 0
    .sgpr_count:     6
    .sgpr_spill_count: 0
    .symbol:         _ZN7rocprim17ROCPRIM_400000_NS6detail17trampoline_kernelINS0_14default_configENS1_27scan_by_key_config_selectorIllEEZZNS1_16scan_by_key_implILNS1_25lookback_scan_determinismE0ELb0ES3_N6thrust23THRUST_200600_302600_NS16reverse_iteratorIPKlEESD_NSA_IPlEElN6hipcub16HIPCUB_304000_NS3MaxENSH_8EqualityElEE10hipError_tPvRmT2_T3_T4_T5_mT6_T7_P12ihipStream_tbENKUlT_T0_E_clISt17integral_constantIbLb0EES10_EEDaSV_SW_EUlSV_E_NS1_11comp_targetILNS1_3genE10ELNS1_11target_archE1201ELNS1_3gpuE5ELNS1_3repE0EEENS1_30default_config_static_selectorELNS0_4arch9wavefront6targetE1EEEvT1_.kd
    .uniform_work_group_size: 1
    .uses_dynamic_stack: false
    .vgpr_count:     0
    .vgpr_spill_count: 0
    .wavefront_size: 64
  - .agpr_count:     0
    .args:
      - .offset:         0
        .size:           136
        .value_kind:     by_value
    .group_segment_fixed_size: 32768
    .kernarg_segment_align: 8
    .kernarg_segment_size: 136
    .language:       OpenCL C
    .language_version:
      - 2
      - 0
    .max_flat_workgroup_size: 256
    .name:           _ZN7rocprim17ROCPRIM_400000_NS6detail17trampoline_kernelINS0_14default_configENS1_27scan_by_key_config_selectorIllEEZZNS1_16scan_by_key_implILNS1_25lookback_scan_determinismE0ELb0ES3_N6thrust23THRUST_200600_302600_NS16reverse_iteratorIPKlEESD_NSA_IPlEElN6hipcub16HIPCUB_304000_NS3MaxENSH_8EqualityElEE10hipError_tPvRmT2_T3_T4_T5_mT6_T7_P12ihipStream_tbENKUlT_T0_E_clISt17integral_constantIbLb0EES10_EEDaSV_SW_EUlSV_E_NS1_11comp_targetILNS1_3genE5ELNS1_11target_archE942ELNS1_3gpuE9ELNS1_3repE0EEENS1_30default_config_static_selectorELNS0_4arch9wavefront6targetE1EEEvT1_
    .private_segment_fixed_size: 0
    .sgpr_count:     72
    .sgpr_spill_count: 0
    .symbol:         _ZN7rocprim17ROCPRIM_400000_NS6detail17trampoline_kernelINS0_14default_configENS1_27scan_by_key_config_selectorIllEEZZNS1_16scan_by_key_implILNS1_25lookback_scan_determinismE0ELb0ES3_N6thrust23THRUST_200600_302600_NS16reverse_iteratorIPKlEESD_NSA_IPlEElN6hipcub16HIPCUB_304000_NS3MaxENSH_8EqualityElEE10hipError_tPvRmT2_T3_T4_T5_mT6_T7_P12ihipStream_tbENKUlT_T0_E_clISt17integral_constantIbLb0EES10_EEDaSV_SW_EUlSV_E_NS1_11comp_targetILNS1_3genE5ELNS1_11target_archE942ELNS1_3gpuE9ELNS1_3repE0EEENS1_30default_config_static_selectorELNS0_4arch9wavefront6targetE1EEEvT1_.kd
    .uniform_work_group_size: 1
    .uses_dynamic_stack: false
    .vgpr_count:     92
    .vgpr_spill_count: 0
    .wavefront_size: 64
  - .agpr_count:     0
    .args:
      - .offset:         0
        .size:           136
        .value_kind:     by_value
    .group_segment_fixed_size: 0
    .kernarg_segment_align: 8
    .kernarg_segment_size: 136
    .language:       OpenCL C
    .language_version:
      - 2
      - 0
    .max_flat_workgroup_size: 64
    .name:           _ZN7rocprim17ROCPRIM_400000_NS6detail17trampoline_kernelINS0_14default_configENS1_27scan_by_key_config_selectorIllEEZZNS1_16scan_by_key_implILNS1_25lookback_scan_determinismE0ELb0ES3_N6thrust23THRUST_200600_302600_NS16reverse_iteratorIPKlEESD_NSA_IPlEElN6hipcub16HIPCUB_304000_NS3MaxENSH_8EqualityElEE10hipError_tPvRmT2_T3_T4_T5_mT6_T7_P12ihipStream_tbENKUlT_T0_E_clISt17integral_constantIbLb0EES10_EEDaSV_SW_EUlSV_E_NS1_11comp_targetILNS1_3genE4ELNS1_11target_archE910ELNS1_3gpuE8ELNS1_3repE0EEENS1_30default_config_static_selectorELNS0_4arch9wavefront6targetE1EEEvT1_
    .private_segment_fixed_size: 0
    .sgpr_count:     6
    .sgpr_spill_count: 0
    .symbol:         _ZN7rocprim17ROCPRIM_400000_NS6detail17trampoline_kernelINS0_14default_configENS1_27scan_by_key_config_selectorIllEEZZNS1_16scan_by_key_implILNS1_25lookback_scan_determinismE0ELb0ES3_N6thrust23THRUST_200600_302600_NS16reverse_iteratorIPKlEESD_NSA_IPlEElN6hipcub16HIPCUB_304000_NS3MaxENSH_8EqualityElEE10hipError_tPvRmT2_T3_T4_T5_mT6_T7_P12ihipStream_tbENKUlT_T0_E_clISt17integral_constantIbLb0EES10_EEDaSV_SW_EUlSV_E_NS1_11comp_targetILNS1_3genE4ELNS1_11target_archE910ELNS1_3gpuE8ELNS1_3repE0EEENS1_30default_config_static_selectorELNS0_4arch9wavefront6targetE1EEEvT1_.kd
    .uniform_work_group_size: 1
    .uses_dynamic_stack: false
    .vgpr_count:     0
    .vgpr_spill_count: 0
    .wavefront_size: 64
  - .agpr_count:     0
    .args:
      - .offset:         0
        .size:           136
        .value_kind:     by_value
    .group_segment_fixed_size: 0
    .kernarg_segment_align: 8
    .kernarg_segment_size: 136
    .language:       OpenCL C
    .language_version:
      - 2
      - 0
    .max_flat_workgroup_size: 256
    .name:           _ZN7rocprim17ROCPRIM_400000_NS6detail17trampoline_kernelINS0_14default_configENS1_27scan_by_key_config_selectorIllEEZZNS1_16scan_by_key_implILNS1_25lookback_scan_determinismE0ELb0ES3_N6thrust23THRUST_200600_302600_NS16reverse_iteratorIPKlEESD_NSA_IPlEElN6hipcub16HIPCUB_304000_NS3MaxENSH_8EqualityElEE10hipError_tPvRmT2_T3_T4_T5_mT6_T7_P12ihipStream_tbENKUlT_T0_E_clISt17integral_constantIbLb0EES10_EEDaSV_SW_EUlSV_E_NS1_11comp_targetILNS1_3genE3ELNS1_11target_archE908ELNS1_3gpuE7ELNS1_3repE0EEENS1_30default_config_static_selectorELNS0_4arch9wavefront6targetE1EEEvT1_
    .private_segment_fixed_size: 0
    .sgpr_count:     6
    .sgpr_spill_count: 0
    .symbol:         _ZN7rocprim17ROCPRIM_400000_NS6detail17trampoline_kernelINS0_14default_configENS1_27scan_by_key_config_selectorIllEEZZNS1_16scan_by_key_implILNS1_25lookback_scan_determinismE0ELb0ES3_N6thrust23THRUST_200600_302600_NS16reverse_iteratorIPKlEESD_NSA_IPlEElN6hipcub16HIPCUB_304000_NS3MaxENSH_8EqualityElEE10hipError_tPvRmT2_T3_T4_T5_mT6_T7_P12ihipStream_tbENKUlT_T0_E_clISt17integral_constantIbLb0EES10_EEDaSV_SW_EUlSV_E_NS1_11comp_targetILNS1_3genE3ELNS1_11target_archE908ELNS1_3gpuE7ELNS1_3repE0EEENS1_30default_config_static_selectorELNS0_4arch9wavefront6targetE1EEEvT1_.kd
    .uniform_work_group_size: 1
    .uses_dynamic_stack: false
    .vgpr_count:     0
    .vgpr_spill_count: 0
    .wavefront_size: 64
  - .agpr_count:     0
    .args:
      - .offset:         0
        .size:           136
        .value_kind:     by_value
    .group_segment_fixed_size: 0
    .kernarg_segment_align: 8
    .kernarg_segment_size: 136
    .language:       OpenCL C
    .language_version:
      - 2
      - 0
    .max_flat_workgroup_size: 256
    .name:           _ZN7rocprim17ROCPRIM_400000_NS6detail17trampoline_kernelINS0_14default_configENS1_27scan_by_key_config_selectorIllEEZZNS1_16scan_by_key_implILNS1_25lookback_scan_determinismE0ELb0ES3_N6thrust23THRUST_200600_302600_NS16reverse_iteratorIPKlEESD_NSA_IPlEElN6hipcub16HIPCUB_304000_NS3MaxENSH_8EqualityElEE10hipError_tPvRmT2_T3_T4_T5_mT6_T7_P12ihipStream_tbENKUlT_T0_E_clISt17integral_constantIbLb0EES10_EEDaSV_SW_EUlSV_E_NS1_11comp_targetILNS1_3genE2ELNS1_11target_archE906ELNS1_3gpuE6ELNS1_3repE0EEENS1_30default_config_static_selectorELNS0_4arch9wavefront6targetE1EEEvT1_
    .private_segment_fixed_size: 0
    .sgpr_count:     6
    .sgpr_spill_count: 0
    .symbol:         _ZN7rocprim17ROCPRIM_400000_NS6detail17trampoline_kernelINS0_14default_configENS1_27scan_by_key_config_selectorIllEEZZNS1_16scan_by_key_implILNS1_25lookback_scan_determinismE0ELb0ES3_N6thrust23THRUST_200600_302600_NS16reverse_iteratorIPKlEESD_NSA_IPlEElN6hipcub16HIPCUB_304000_NS3MaxENSH_8EqualityElEE10hipError_tPvRmT2_T3_T4_T5_mT6_T7_P12ihipStream_tbENKUlT_T0_E_clISt17integral_constantIbLb0EES10_EEDaSV_SW_EUlSV_E_NS1_11comp_targetILNS1_3genE2ELNS1_11target_archE906ELNS1_3gpuE6ELNS1_3repE0EEENS1_30default_config_static_selectorELNS0_4arch9wavefront6targetE1EEEvT1_.kd
    .uniform_work_group_size: 1
    .uses_dynamic_stack: false
    .vgpr_count:     0
    .vgpr_spill_count: 0
    .wavefront_size: 64
  - .agpr_count:     0
    .args:
      - .offset:         0
        .size:           136
        .value_kind:     by_value
    .group_segment_fixed_size: 0
    .kernarg_segment_align: 8
    .kernarg_segment_size: 136
    .language:       OpenCL C
    .language_version:
      - 2
      - 0
    .max_flat_workgroup_size: 256
    .name:           _ZN7rocprim17ROCPRIM_400000_NS6detail17trampoline_kernelINS0_14default_configENS1_27scan_by_key_config_selectorIllEEZZNS1_16scan_by_key_implILNS1_25lookback_scan_determinismE0ELb0ES3_N6thrust23THRUST_200600_302600_NS16reverse_iteratorIPKlEESD_NSA_IPlEElN6hipcub16HIPCUB_304000_NS3MaxENSH_8EqualityElEE10hipError_tPvRmT2_T3_T4_T5_mT6_T7_P12ihipStream_tbENKUlT_T0_E_clISt17integral_constantIbLb0EES10_EEDaSV_SW_EUlSV_E_NS1_11comp_targetILNS1_3genE10ELNS1_11target_archE1200ELNS1_3gpuE4ELNS1_3repE0EEENS1_30default_config_static_selectorELNS0_4arch9wavefront6targetE1EEEvT1_
    .private_segment_fixed_size: 0
    .sgpr_count:     6
    .sgpr_spill_count: 0
    .symbol:         _ZN7rocprim17ROCPRIM_400000_NS6detail17trampoline_kernelINS0_14default_configENS1_27scan_by_key_config_selectorIllEEZZNS1_16scan_by_key_implILNS1_25lookback_scan_determinismE0ELb0ES3_N6thrust23THRUST_200600_302600_NS16reverse_iteratorIPKlEESD_NSA_IPlEElN6hipcub16HIPCUB_304000_NS3MaxENSH_8EqualityElEE10hipError_tPvRmT2_T3_T4_T5_mT6_T7_P12ihipStream_tbENKUlT_T0_E_clISt17integral_constantIbLb0EES10_EEDaSV_SW_EUlSV_E_NS1_11comp_targetILNS1_3genE10ELNS1_11target_archE1200ELNS1_3gpuE4ELNS1_3repE0EEENS1_30default_config_static_selectorELNS0_4arch9wavefront6targetE1EEEvT1_.kd
    .uniform_work_group_size: 1
    .uses_dynamic_stack: false
    .vgpr_count:     0
    .vgpr_spill_count: 0
    .wavefront_size: 64
  - .agpr_count:     0
    .args:
      - .offset:         0
        .size:           136
        .value_kind:     by_value
    .group_segment_fixed_size: 0
    .kernarg_segment_align: 8
    .kernarg_segment_size: 136
    .language:       OpenCL C
    .language_version:
      - 2
      - 0
    .max_flat_workgroup_size: 256
    .name:           _ZN7rocprim17ROCPRIM_400000_NS6detail17trampoline_kernelINS0_14default_configENS1_27scan_by_key_config_selectorIllEEZZNS1_16scan_by_key_implILNS1_25lookback_scan_determinismE0ELb0ES3_N6thrust23THRUST_200600_302600_NS16reverse_iteratorIPKlEESD_NSA_IPlEElN6hipcub16HIPCUB_304000_NS3MaxENSH_8EqualityElEE10hipError_tPvRmT2_T3_T4_T5_mT6_T7_P12ihipStream_tbENKUlT_T0_E_clISt17integral_constantIbLb0EES10_EEDaSV_SW_EUlSV_E_NS1_11comp_targetILNS1_3genE9ELNS1_11target_archE1100ELNS1_3gpuE3ELNS1_3repE0EEENS1_30default_config_static_selectorELNS0_4arch9wavefront6targetE1EEEvT1_
    .private_segment_fixed_size: 0
    .sgpr_count:     6
    .sgpr_spill_count: 0
    .symbol:         _ZN7rocprim17ROCPRIM_400000_NS6detail17trampoline_kernelINS0_14default_configENS1_27scan_by_key_config_selectorIllEEZZNS1_16scan_by_key_implILNS1_25lookback_scan_determinismE0ELb0ES3_N6thrust23THRUST_200600_302600_NS16reverse_iteratorIPKlEESD_NSA_IPlEElN6hipcub16HIPCUB_304000_NS3MaxENSH_8EqualityElEE10hipError_tPvRmT2_T3_T4_T5_mT6_T7_P12ihipStream_tbENKUlT_T0_E_clISt17integral_constantIbLb0EES10_EEDaSV_SW_EUlSV_E_NS1_11comp_targetILNS1_3genE9ELNS1_11target_archE1100ELNS1_3gpuE3ELNS1_3repE0EEENS1_30default_config_static_selectorELNS0_4arch9wavefront6targetE1EEEvT1_.kd
    .uniform_work_group_size: 1
    .uses_dynamic_stack: false
    .vgpr_count:     0
    .vgpr_spill_count: 0
    .wavefront_size: 64
  - .agpr_count:     0
    .args:
      - .offset:         0
        .size:           136
        .value_kind:     by_value
    .group_segment_fixed_size: 0
    .kernarg_segment_align: 8
    .kernarg_segment_size: 136
    .language:       OpenCL C
    .language_version:
      - 2
      - 0
    .max_flat_workgroup_size: 256
    .name:           _ZN7rocprim17ROCPRIM_400000_NS6detail17trampoline_kernelINS0_14default_configENS1_27scan_by_key_config_selectorIllEEZZNS1_16scan_by_key_implILNS1_25lookback_scan_determinismE0ELb0ES3_N6thrust23THRUST_200600_302600_NS16reverse_iteratorIPKlEESD_NSA_IPlEElN6hipcub16HIPCUB_304000_NS3MaxENSH_8EqualityElEE10hipError_tPvRmT2_T3_T4_T5_mT6_T7_P12ihipStream_tbENKUlT_T0_E_clISt17integral_constantIbLb0EES10_EEDaSV_SW_EUlSV_E_NS1_11comp_targetILNS1_3genE8ELNS1_11target_archE1030ELNS1_3gpuE2ELNS1_3repE0EEENS1_30default_config_static_selectorELNS0_4arch9wavefront6targetE1EEEvT1_
    .private_segment_fixed_size: 0
    .sgpr_count:     6
    .sgpr_spill_count: 0
    .symbol:         _ZN7rocprim17ROCPRIM_400000_NS6detail17trampoline_kernelINS0_14default_configENS1_27scan_by_key_config_selectorIllEEZZNS1_16scan_by_key_implILNS1_25lookback_scan_determinismE0ELb0ES3_N6thrust23THRUST_200600_302600_NS16reverse_iteratorIPKlEESD_NSA_IPlEElN6hipcub16HIPCUB_304000_NS3MaxENSH_8EqualityElEE10hipError_tPvRmT2_T3_T4_T5_mT6_T7_P12ihipStream_tbENKUlT_T0_E_clISt17integral_constantIbLb0EES10_EEDaSV_SW_EUlSV_E_NS1_11comp_targetILNS1_3genE8ELNS1_11target_archE1030ELNS1_3gpuE2ELNS1_3repE0EEENS1_30default_config_static_selectorELNS0_4arch9wavefront6targetE1EEEvT1_.kd
    .uniform_work_group_size: 1
    .uses_dynamic_stack: false
    .vgpr_count:     0
    .vgpr_spill_count: 0
    .wavefront_size: 64
  - .agpr_count:     0
    .args:
      - .offset:         0
        .size:           24
        .value_kind:     by_value
      - .offset:         24
        .size:           4
        .value_kind:     by_value
      - .offset:         28
        .size:           4
        .value_kind:     by_value
      - .address_space:  global
        .offset:         32
        .size:           8
        .value_kind:     global_buffer
      - .address_space:  global
        .offset:         40
        .size:           8
        .value_kind:     global_buffer
      - .actual_access:  write_only
        .address_space:  global
        .offset:         48
        .size:           8
        .value_kind:     global_buffer
      - .offset:         56
        .size:           8
        .value_kind:     by_value
      - .offset:         64
        .size:           4
        .value_kind:     by_value
      - .address_space:  global
        .offset:         72
        .size:           8
        .value_kind:     global_buffer
      - .offset:         80
        .size:           4
        .value_kind:     hidden_block_count_x
      - .offset:         84
        .size:           4
        .value_kind:     hidden_block_count_y
      - .offset:         88
        .size:           4
        .value_kind:     hidden_block_count_z
      - .offset:         92
        .size:           2
        .value_kind:     hidden_group_size_x
      - .offset:         94
        .size:           2
        .value_kind:     hidden_group_size_y
      - .offset:         96
        .size:           2
        .value_kind:     hidden_group_size_z
      - .offset:         98
        .size:           2
        .value_kind:     hidden_remainder_x
      - .offset:         100
        .size:           2
        .value_kind:     hidden_remainder_y
      - .offset:         102
        .size:           2
        .value_kind:     hidden_remainder_z
      - .offset:         120
        .size:           8
        .value_kind:     hidden_global_offset_x
      - .offset:         128
        .size:           8
        .value_kind:     hidden_global_offset_y
      - .offset:         136
        .size:           8
        .value_kind:     hidden_global_offset_z
      - .offset:         144
        .size:           2
        .value_kind:     hidden_grid_dims
    .group_segment_fixed_size: 0
    .kernarg_segment_align: 8
    .kernarg_segment_size: 336
    .language:       OpenCL C
    .language_version:
      - 2
      - 0
    .max_flat_workgroup_size: 256
    .name:           _ZN7rocprim17ROCPRIM_400000_NS6detail30init_device_scan_by_key_kernelINS1_19lookback_scan_stateINS0_5tupleIJlbEEELb1ELb0EEEN6thrust23THRUST_200600_302600_NS16reverse_iteratorIPKlEEjNS1_16block_id_wrapperIjLb1EEEEEvT_jjPNSF_10value_typeET0_PNSt15iterator_traitsISI_E10value_typeEmT1_T2_
    .private_segment_fixed_size: 0
    .sgpr_count:     30
    .sgpr_spill_count: 0
    .symbol:         _ZN7rocprim17ROCPRIM_400000_NS6detail30init_device_scan_by_key_kernelINS1_19lookback_scan_stateINS0_5tupleIJlbEEELb1ELb0EEEN6thrust23THRUST_200600_302600_NS16reverse_iteratorIPKlEEjNS1_16block_id_wrapperIjLb1EEEEEvT_jjPNSF_10value_typeET0_PNSt15iterator_traitsISI_E10value_typeEmT1_T2_.kd
    .uniform_work_group_size: 1
    .uses_dynamic_stack: false
    .vgpr_count:     8
    .vgpr_spill_count: 0
    .wavefront_size: 64
  - .agpr_count:     0
    .args:
      - .offset:         0
        .size:           136
        .value_kind:     by_value
    .group_segment_fixed_size: 0
    .kernarg_segment_align: 8
    .kernarg_segment_size: 136
    .language:       OpenCL C
    .language_version:
      - 2
      - 0
    .max_flat_workgroup_size: 256
    .name:           _ZN7rocprim17ROCPRIM_400000_NS6detail17trampoline_kernelINS0_14default_configENS1_27scan_by_key_config_selectorIllEEZZNS1_16scan_by_key_implILNS1_25lookback_scan_determinismE0ELb0ES3_N6thrust23THRUST_200600_302600_NS16reverse_iteratorIPKlEESD_NSA_IPlEElN6hipcub16HIPCUB_304000_NS3MaxENSH_8EqualityElEE10hipError_tPvRmT2_T3_T4_T5_mT6_T7_P12ihipStream_tbENKUlT_T0_E_clISt17integral_constantIbLb1EES10_EEDaSV_SW_EUlSV_E_NS1_11comp_targetILNS1_3genE0ELNS1_11target_archE4294967295ELNS1_3gpuE0ELNS1_3repE0EEENS1_30default_config_static_selectorELNS0_4arch9wavefront6targetE1EEEvT1_
    .private_segment_fixed_size: 0
    .sgpr_count:     6
    .sgpr_spill_count: 0
    .symbol:         _ZN7rocprim17ROCPRIM_400000_NS6detail17trampoline_kernelINS0_14default_configENS1_27scan_by_key_config_selectorIllEEZZNS1_16scan_by_key_implILNS1_25lookback_scan_determinismE0ELb0ES3_N6thrust23THRUST_200600_302600_NS16reverse_iteratorIPKlEESD_NSA_IPlEElN6hipcub16HIPCUB_304000_NS3MaxENSH_8EqualityElEE10hipError_tPvRmT2_T3_T4_T5_mT6_T7_P12ihipStream_tbENKUlT_T0_E_clISt17integral_constantIbLb1EES10_EEDaSV_SW_EUlSV_E_NS1_11comp_targetILNS1_3genE0ELNS1_11target_archE4294967295ELNS1_3gpuE0ELNS1_3repE0EEENS1_30default_config_static_selectorELNS0_4arch9wavefront6targetE1EEEvT1_.kd
    .uniform_work_group_size: 1
    .uses_dynamic_stack: false
    .vgpr_count:     0
    .vgpr_spill_count: 0
    .wavefront_size: 64
  - .agpr_count:     0
    .args:
      - .offset:         0
        .size:           136
        .value_kind:     by_value
    .group_segment_fixed_size: 0
    .kernarg_segment_align: 8
    .kernarg_segment_size: 136
    .language:       OpenCL C
    .language_version:
      - 2
      - 0
    .max_flat_workgroup_size: 256
    .name:           _ZN7rocprim17ROCPRIM_400000_NS6detail17trampoline_kernelINS0_14default_configENS1_27scan_by_key_config_selectorIllEEZZNS1_16scan_by_key_implILNS1_25lookback_scan_determinismE0ELb0ES3_N6thrust23THRUST_200600_302600_NS16reverse_iteratorIPKlEESD_NSA_IPlEElN6hipcub16HIPCUB_304000_NS3MaxENSH_8EqualityElEE10hipError_tPvRmT2_T3_T4_T5_mT6_T7_P12ihipStream_tbENKUlT_T0_E_clISt17integral_constantIbLb1EES10_EEDaSV_SW_EUlSV_E_NS1_11comp_targetILNS1_3genE10ELNS1_11target_archE1201ELNS1_3gpuE5ELNS1_3repE0EEENS1_30default_config_static_selectorELNS0_4arch9wavefront6targetE1EEEvT1_
    .private_segment_fixed_size: 0
    .sgpr_count:     6
    .sgpr_spill_count: 0
    .symbol:         _ZN7rocprim17ROCPRIM_400000_NS6detail17trampoline_kernelINS0_14default_configENS1_27scan_by_key_config_selectorIllEEZZNS1_16scan_by_key_implILNS1_25lookback_scan_determinismE0ELb0ES3_N6thrust23THRUST_200600_302600_NS16reverse_iteratorIPKlEESD_NSA_IPlEElN6hipcub16HIPCUB_304000_NS3MaxENSH_8EqualityElEE10hipError_tPvRmT2_T3_T4_T5_mT6_T7_P12ihipStream_tbENKUlT_T0_E_clISt17integral_constantIbLb1EES10_EEDaSV_SW_EUlSV_E_NS1_11comp_targetILNS1_3genE10ELNS1_11target_archE1201ELNS1_3gpuE5ELNS1_3repE0EEENS1_30default_config_static_selectorELNS0_4arch9wavefront6targetE1EEEvT1_.kd
    .uniform_work_group_size: 1
    .uses_dynamic_stack: false
    .vgpr_count:     0
    .vgpr_spill_count: 0
    .wavefront_size: 64
  - .agpr_count:     0
    .args:
      - .offset:         0
        .size:           136
        .value_kind:     by_value
    .group_segment_fixed_size: 32768
    .kernarg_segment_align: 8
    .kernarg_segment_size: 136
    .language:       OpenCL C
    .language_version:
      - 2
      - 0
    .max_flat_workgroup_size: 256
    .name:           _ZN7rocprim17ROCPRIM_400000_NS6detail17trampoline_kernelINS0_14default_configENS1_27scan_by_key_config_selectorIllEEZZNS1_16scan_by_key_implILNS1_25lookback_scan_determinismE0ELb0ES3_N6thrust23THRUST_200600_302600_NS16reverse_iteratorIPKlEESD_NSA_IPlEElN6hipcub16HIPCUB_304000_NS3MaxENSH_8EqualityElEE10hipError_tPvRmT2_T3_T4_T5_mT6_T7_P12ihipStream_tbENKUlT_T0_E_clISt17integral_constantIbLb1EES10_EEDaSV_SW_EUlSV_E_NS1_11comp_targetILNS1_3genE5ELNS1_11target_archE942ELNS1_3gpuE9ELNS1_3repE0EEENS1_30default_config_static_selectorELNS0_4arch9wavefront6targetE1EEEvT1_
    .private_segment_fixed_size: 0
    .sgpr_count:     76
    .sgpr_spill_count: 0
    .symbol:         _ZN7rocprim17ROCPRIM_400000_NS6detail17trampoline_kernelINS0_14default_configENS1_27scan_by_key_config_selectorIllEEZZNS1_16scan_by_key_implILNS1_25lookback_scan_determinismE0ELb0ES3_N6thrust23THRUST_200600_302600_NS16reverse_iteratorIPKlEESD_NSA_IPlEElN6hipcub16HIPCUB_304000_NS3MaxENSH_8EqualityElEE10hipError_tPvRmT2_T3_T4_T5_mT6_T7_P12ihipStream_tbENKUlT_T0_E_clISt17integral_constantIbLb1EES10_EEDaSV_SW_EUlSV_E_NS1_11comp_targetILNS1_3genE5ELNS1_11target_archE942ELNS1_3gpuE9ELNS1_3repE0EEENS1_30default_config_static_selectorELNS0_4arch9wavefront6targetE1EEEvT1_.kd
    .uniform_work_group_size: 1
    .uses_dynamic_stack: false
    .vgpr_count:     92
    .vgpr_spill_count: 0
    .wavefront_size: 64
  - .agpr_count:     0
    .args:
      - .offset:         0
        .size:           136
        .value_kind:     by_value
    .group_segment_fixed_size: 0
    .kernarg_segment_align: 8
    .kernarg_segment_size: 136
    .language:       OpenCL C
    .language_version:
      - 2
      - 0
    .max_flat_workgroup_size: 64
    .name:           _ZN7rocprim17ROCPRIM_400000_NS6detail17trampoline_kernelINS0_14default_configENS1_27scan_by_key_config_selectorIllEEZZNS1_16scan_by_key_implILNS1_25lookback_scan_determinismE0ELb0ES3_N6thrust23THRUST_200600_302600_NS16reverse_iteratorIPKlEESD_NSA_IPlEElN6hipcub16HIPCUB_304000_NS3MaxENSH_8EqualityElEE10hipError_tPvRmT2_T3_T4_T5_mT6_T7_P12ihipStream_tbENKUlT_T0_E_clISt17integral_constantIbLb1EES10_EEDaSV_SW_EUlSV_E_NS1_11comp_targetILNS1_3genE4ELNS1_11target_archE910ELNS1_3gpuE8ELNS1_3repE0EEENS1_30default_config_static_selectorELNS0_4arch9wavefront6targetE1EEEvT1_
    .private_segment_fixed_size: 0
    .sgpr_count:     6
    .sgpr_spill_count: 0
    .symbol:         _ZN7rocprim17ROCPRIM_400000_NS6detail17trampoline_kernelINS0_14default_configENS1_27scan_by_key_config_selectorIllEEZZNS1_16scan_by_key_implILNS1_25lookback_scan_determinismE0ELb0ES3_N6thrust23THRUST_200600_302600_NS16reverse_iteratorIPKlEESD_NSA_IPlEElN6hipcub16HIPCUB_304000_NS3MaxENSH_8EqualityElEE10hipError_tPvRmT2_T3_T4_T5_mT6_T7_P12ihipStream_tbENKUlT_T0_E_clISt17integral_constantIbLb1EES10_EEDaSV_SW_EUlSV_E_NS1_11comp_targetILNS1_3genE4ELNS1_11target_archE910ELNS1_3gpuE8ELNS1_3repE0EEENS1_30default_config_static_selectorELNS0_4arch9wavefront6targetE1EEEvT1_.kd
    .uniform_work_group_size: 1
    .uses_dynamic_stack: false
    .vgpr_count:     0
    .vgpr_spill_count: 0
    .wavefront_size: 64
  - .agpr_count:     0
    .args:
      - .offset:         0
        .size:           136
        .value_kind:     by_value
    .group_segment_fixed_size: 0
    .kernarg_segment_align: 8
    .kernarg_segment_size: 136
    .language:       OpenCL C
    .language_version:
      - 2
      - 0
    .max_flat_workgroup_size: 256
    .name:           _ZN7rocprim17ROCPRIM_400000_NS6detail17trampoline_kernelINS0_14default_configENS1_27scan_by_key_config_selectorIllEEZZNS1_16scan_by_key_implILNS1_25lookback_scan_determinismE0ELb0ES3_N6thrust23THRUST_200600_302600_NS16reverse_iteratorIPKlEESD_NSA_IPlEElN6hipcub16HIPCUB_304000_NS3MaxENSH_8EqualityElEE10hipError_tPvRmT2_T3_T4_T5_mT6_T7_P12ihipStream_tbENKUlT_T0_E_clISt17integral_constantIbLb1EES10_EEDaSV_SW_EUlSV_E_NS1_11comp_targetILNS1_3genE3ELNS1_11target_archE908ELNS1_3gpuE7ELNS1_3repE0EEENS1_30default_config_static_selectorELNS0_4arch9wavefront6targetE1EEEvT1_
    .private_segment_fixed_size: 0
    .sgpr_count:     6
    .sgpr_spill_count: 0
    .symbol:         _ZN7rocprim17ROCPRIM_400000_NS6detail17trampoline_kernelINS0_14default_configENS1_27scan_by_key_config_selectorIllEEZZNS1_16scan_by_key_implILNS1_25lookback_scan_determinismE0ELb0ES3_N6thrust23THRUST_200600_302600_NS16reverse_iteratorIPKlEESD_NSA_IPlEElN6hipcub16HIPCUB_304000_NS3MaxENSH_8EqualityElEE10hipError_tPvRmT2_T3_T4_T5_mT6_T7_P12ihipStream_tbENKUlT_T0_E_clISt17integral_constantIbLb1EES10_EEDaSV_SW_EUlSV_E_NS1_11comp_targetILNS1_3genE3ELNS1_11target_archE908ELNS1_3gpuE7ELNS1_3repE0EEENS1_30default_config_static_selectorELNS0_4arch9wavefront6targetE1EEEvT1_.kd
    .uniform_work_group_size: 1
    .uses_dynamic_stack: false
    .vgpr_count:     0
    .vgpr_spill_count: 0
    .wavefront_size: 64
  - .agpr_count:     0
    .args:
      - .offset:         0
        .size:           136
        .value_kind:     by_value
    .group_segment_fixed_size: 0
    .kernarg_segment_align: 8
    .kernarg_segment_size: 136
    .language:       OpenCL C
    .language_version:
      - 2
      - 0
    .max_flat_workgroup_size: 256
    .name:           _ZN7rocprim17ROCPRIM_400000_NS6detail17trampoline_kernelINS0_14default_configENS1_27scan_by_key_config_selectorIllEEZZNS1_16scan_by_key_implILNS1_25lookback_scan_determinismE0ELb0ES3_N6thrust23THRUST_200600_302600_NS16reverse_iteratorIPKlEESD_NSA_IPlEElN6hipcub16HIPCUB_304000_NS3MaxENSH_8EqualityElEE10hipError_tPvRmT2_T3_T4_T5_mT6_T7_P12ihipStream_tbENKUlT_T0_E_clISt17integral_constantIbLb1EES10_EEDaSV_SW_EUlSV_E_NS1_11comp_targetILNS1_3genE2ELNS1_11target_archE906ELNS1_3gpuE6ELNS1_3repE0EEENS1_30default_config_static_selectorELNS0_4arch9wavefront6targetE1EEEvT1_
    .private_segment_fixed_size: 0
    .sgpr_count:     6
    .sgpr_spill_count: 0
    .symbol:         _ZN7rocprim17ROCPRIM_400000_NS6detail17trampoline_kernelINS0_14default_configENS1_27scan_by_key_config_selectorIllEEZZNS1_16scan_by_key_implILNS1_25lookback_scan_determinismE0ELb0ES3_N6thrust23THRUST_200600_302600_NS16reverse_iteratorIPKlEESD_NSA_IPlEElN6hipcub16HIPCUB_304000_NS3MaxENSH_8EqualityElEE10hipError_tPvRmT2_T3_T4_T5_mT6_T7_P12ihipStream_tbENKUlT_T0_E_clISt17integral_constantIbLb1EES10_EEDaSV_SW_EUlSV_E_NS1_11comp_targetILNS1_3genE2ELNS1_11target_archE906ELNS1_3gpuE6ELNS1_3repE0EEENS1_30default_config_static_selectorELNS0_4arch9wavefront6targetE1EEEvT1_.kd
    .uniform_work_group_size: 1
    .uses_dynamic_stack: false
    .vgpr_count:     0
    .vgpr_spill_count: 0
    .wavefront_size: 64
  - .agpr_count:     0
    .args:
      - .offset:         0
        .size:           136
        .value_kind:     by_value
    .group_segment_fixed_size: 0
    .kernarg_segment_align: 8
    .kernarg_segment_size: 136
    .language:       OpenCL C
    .language_version:
      - 2
      - 0
    .max_flat_workgroup_size: 256
    .name:           _ZN7rocprim17ROCPRIM_400000_NS6detail17trampoline_kernelINS0_14default_configENS1_27scan_by_key_config_selectorIllEEZZNS1_16scan_by_key_implILNS1_25lookback_scan_determinismE0ELb0ES3_N6thrust23THRUST_200600_302600_NS16reverse_iteratorIPKlEESD_NSA_IPlEElN6hipcub16HIPCUB_304000_NS3MaxENSH_8EqualityElEE10hipError_tPvRmT2_T3_T4_T5_mT6_T7_P12ihipStream_tbENKUlT_T0_E_clISt17integral_constantIbLb1EES10_EEDaSV_SW_EUlSV_E_NS1_11comp_targetILNS1_3genE10ELNS1_11target_archE1200ELNS1_3gpuE4ELNS1_3repE0EEENS1_30default_config_static_selectorELNS0_4arch9wavefront6targetE1EEEvT1_
    .private_segment_fixed_size: 0
    .sgpr_count:     6
    .sgpr_spill_count: 0
    .symbol:         _ZN7rocprim17ROCPRIM_400000_NS6detail17trampoline_kernelINS0_14default_configENS1_27scan_by_key_config_selectorIllEEZZNS1_16scan_by_key_implILNS1_25lookback_scan_determinismE0ELb0ES3_N6thrust23THRUST_200600_302600_NS16reverse_iteratorIPKlEESD_NSA_IPlEElN6hipcub16HIPCUB_304000_NS3MaxENSH_8EqualityElEE10hipError_tPvRmT2_T3_T4_T5_mT6_T7_P12ihipStream_tbENKUlT_T0_E_clISt17integral_constantIbLb1EES10_EEDaSV_SW_EUlSV_E_NS1_11comp_targetILNS1_3genE10ELNS1_11target_archE1200ELNS1_3gpuE4ELNS1_3repE0EEENS1_30default_config_static_selectorELNS0_4arch9wavefront6targetE1EEEvT1_.kd
    .uniform_work_group_size: 1
    .uses_dynamic_stack: false
    .vgpr_count:     0
    .vgpr_spill_count: 0
    .wavefront_size: 64
  - .agpr_count:     0
    .args:
      - .offset:         0
        .size:           136
        .value_kind:     by_value
    .group_segment_fixed_size: 0
    .kernarg_segment_align: 8
    .kernarg_segment_size: 136
    .language:       OpenCL C
    .language_version:
      - 2
      - 0
    .max_flat_workgroup_size: 256
    .name:           _ZN7rocprim17ROCPRIM_400000_NS6detail17trampoline_kernelINS0_14default_configENS1_27scan_by_key_config_selectorIllEEZZNS1_16scan_by_key_implILNS1_25lookback_scan_determinismE0ELb0ES3_N6thrust23THRUST_200600_302600_NS16reverse_iteratorIPKlEESD_NSA_IPlEElN6hipcub16HIPCUB_304000_NS3MaxENSH_8EqualityElEE10hipError_tPvRmT2_T3_T4_T5_mT6_T7_P12ihipStream_tbENKUlT_T0_E_clISt17integral_constantIbLb1EES10_EEDaSV_SW_EUlSV_E_NS1_11comp_targetILNS1_3genE9ELNS1_11target_archE1100ELNS1_3gpuE3ELNS1_3repE0EEENS1_30default_config_static_selectorELNS0_4arch9wavefront6targetE1EEEvT1_
    .private_segment_fixed_size: 0
    .sgpr_count:     6
    .sgpr_spill_count: 0
    .symbol:         _ZN7rocprim17ROCPRIM_400000_NS6detail17trampoline_kernelINS0_14default_configENS1_27scan_by_key_config_selectorIllEEZZNS1_16scan_by_key_implILNS1_25lookback_scan_determinismE0ELb0ES3_N6thrust23THRUST_200600_302600_NS16reverse_iteratorIPKlEESD_NSA_IPlEElN6hipcub16HIPCUB_304000_NS3MaxENSH_8EqualityElEE10hipError_tPvRmT2_T3_T4_T5_mT6_T7_P12ihipStream_tbENKUlT_T0_E_clISt17integral_constantIbLb1EES10_EEDaSV_SW_EUlSV_E_NS1_11comp_targetILNS1_3genE9ELNS1_11target_archE1100ELNS1_3gpuE3ELNS1_3repE0EEENS1_30default_config_static_selectorELNS0_4arch9wavefront6targetE1EEEvT1_.kd
    .uniform_work_group_size: 1
    .uses_dynamic_stack: false
    .vgpr_count:     0
    .vgpr_spill_count: 0
    .wavefront_size: 64
  - .agpr_count:     0
    .args:
      - .offset:         0
        .size:           136
        .value_kind:     by_value
    .group_segment_fixed_size: 0
    .kernarg_segment_align: 8
    .kernarg_segment_size: 136
    .language:       OpenCL C
    .language_version:
      - 2
      - 0
    .max_flat_workgroup_size: 256
    .name:           _ZN7rocprim17ROCPRIM_400000_NS6detail17trampoline_kernelINS0_14default_configENS1_27scan_by_key_config_selectorIllEEZZNS1_16scan_by_key_implILNS1_25lookback_scan_determinismE0ELb0ES3_N6thrust23THRUST_200600_302600_NS16reverse_iteratorIPKlEESD_NSA_IPlEElN6hipcub16HIPCUB_304000_NS3MaxENSH_8EqualityElEE10hipError_tPvRmT2_T3_T4_T5_mT6_T7_P12ihipStream_tbENKUlT_T0_E_clISt17integral_constantIbLb1EES10_EEDaSV_SW_EUlSV_E_NS1_11comp_targetILNS1_3genE8ELNS1_11target_archE1030ELNS1_3gpuE2ELNS1_3repE0EEENS1_30default_config_static_selectorELNS0_4arch9wavefront6targetE1EEEvT1_
    .private_segment_fixed_size: 0
    .sgpr_count:     6
    .sgpr_spill_count: 0
    .symbol:         _ZN7rocprim17ROCPRIM_400000_NS6detail17trampoline_kernelINS0_14default_configENS1_27scan_by_key_config_selectorIllEEZZNS1_16scan_by_key_implILNS1_25lookback_scan_determinismE0ELb0ES3_N6thrust23THRUST_200600_302600_NS16reverse_iteratorIPKlEESD_NSA_IPlEElN6hipcub16HIPCUB_304000_NS3MaxENSH_8EqualityElEE10hipError_tPvRmT2_T3_T4_T5_mT6_T7_P12ihipStream_tbENKUlT_T0_E_clISt17integral_constantIbLb1EES10_EEDaSV_SW_EUlSV_E_NS1_11comp_targetILNS1_3genE8ELNS1_11target_archE1030ELNS1_3gpuE2ELNS1_3repE0EEENS1_30default_config_static_selectorELNS0_4arch9wavefront6targetE1EEEvT1_.kd
    .uniform_work_group_size: 1
    .uses_dynamic_stack: false
    .vgpr_count:     0
    .vgpr_spill_count: 0
    .wavefront_size: 64
  - .agpr_count:     0
    .args:
      - .offset:         0
        .size:           24
        .value_kind:     by_value
      - .offset:         24
        .size:           4
        .value_kind:     by_value
      - .offset:         28
        .size:           4
        .value_kind:     by_value
      - .address_space:  global
        .offset:         32
        .size:           8
        .value_kind:     global_buffer
      - .address_space:  global
        .offset:         40
        .size:           8
        .value_kind:     global_buffer
      - .actual_access:  write_only
        .address_space:  global
        .offset:         48
        .size:           8
        .value_kind:     global_buffer
      - .offset:         56
        .size:           8
        .value_kind:     by_value
      - .offset:         64
        .size:           4
        .value_kind:     by_value
      - .offset:         68
        .size:           1
        .value_kind:     by_value
      - .offset:         72
        .size:           4
        .value_kind:     hidden_block_count_x
      - .offset:         76
        .size:           4
        .value_kind:     hidden_block_count_y
      - .offset:         80
        .size:           4
        .value_kind:     hidden_block_count_z
      - .offset:         84
        .size:           2
        .value_kind:     hidden_group_size_x
      - .offset:         86
        .size:           2
        .value_kind:     hidden_group_size_y
      - .offset:         88
        .size:           2
        .value_kind:     hidden_group_size_z
      - .offset:         90
        .size:           2
        .value_kind:     hidden_remainder_x
      - .offset:         92
        .size:           2
        .value_kind:     hidden_remainder_y
      - .offset:         94
        .size:           2
        .value_kind:     hidden_remainder_z
      - .offset:         112
        .size:           8
        .value_kind:     hidden_global_offset_x
      - .offset:         120
        .size:           8
        .value_kind:     hidden_global_offset_y
      - .offset:         128
        .size:           8
        .value_kind:     hidden_global_offset_z
      - .offset:         136
        .size:           2
        .value_kind:     hidden_grid_dims
    .group_segment_fixed_size: 0
    .kernarg_segment_align: 8
    .kernarg_segment_size: 328
    .language:       OpenCL C
    .language_version:
      - 2
      - 0
    .max_flat_workgroup_size: 256
    .name:           _ZN7rocprim17ROCPRIM_400000_NS6detail30init_device_scan_by_key_kernelINS1_19lookback_scan_stateINS0_5tupleIJlbEEELb1ELb0EEEN6thrust23THRUST_200600_302600_NS16reverse_iteratorIPKlEEjNS1_16block_id_wrapperIjLb0EEEEEvT_jjPNSF_10value_typeET0_PNSt15iterator_traitsISI_E10value_typeEmT1_T2_
    .private_segment_fixed_size: 0
    .sgpr_count:     30
    .sgpr_spill_count: 0
    .symbol:         _ZN7rocprim17ROCPRIM_400000_NS6detail30init_device_scan_by_key_kernelINS1_19lookback_scan_stateINS0_5tupleIJlbEEELb1ELb0EEEN6thrust23THRUST_200600_302600_NS16reverse_iteratorIPKlEEjNS1_16block_id_wrapperIjLb0EEEEEvT_jjPNSF_10value_typeET0_PNSt15iterator_traitsISI_E10value_typeEmT1_T2_.kd
    .uniform_work_group_size: 1
    .uses_dynamic_stack: false
    .vgpr_count:     8
    .vgpr_spill_count: 0
    .wavefront_size: 64
  - .agpr_count:     0
    .args:
      - .offset:         0
        .size:           136
        .value_kind:     by_value
    .group_segment_fixed_size: 0
    .kernarg_segment_align: 8
    .kernarg_segment_size: 136
    .language:       OpenCL C
    .language_version:
      - 2
      - 0
    .max_flat_workgroup_size: 256
    .name:           _ZN7rocprim17ROCPRIM_400000_NS6detail17trampoline_kernelINS0_14default_configENS1_27scan_by_key_config_selectorIllEEZZNS1_16scan_by_key_implILNS1_25lookback_scan_determinismE0ELb0ES3_N6thrust23THRUST_200600_302600_NS16reverse_iteratorIPKlEESD_NSA_IPlEElN6hipcub16HIPCUB_304000_NS3MaxENSH_8EqualityElEE10hipError_tPvRmT2_T3_T4_T5_mT6_T7_P12ihipStream_tbENKUlT_T0_E_clISt17integral_constantIbLb1EESZ_IbLb0EEEEDaSV_SW_EUlSV_E_NS1_11comp_targetILNS1_3genE0ELNS1_11target_archE4294967295ELNS1_3gpuE0ELNS1_3repE0EEENS1_30default_config_static_selectorELNS0_4arch9wavefront6targetE1EEEvT1_
    .private_segment_fixed_size: 0
    .sgpr_count:     6
    .sgpr_spill_count: 0
    .symbol:         _ZN7rocprim17ROCPRIM_400000_NS6detail17trampoline_kernelINS0_14default_configENS1_27scan_by_key_config_selectorIllEEZZNS1_16scan_by_key_implILNS1_25lookback_scan_determinismE0ELb0ES3_N6thrust23THRUST_200600_302600_NS16reverse_iteratorIPKlEESD_NSA_IPlEElN6hipcub16HIPCUB_304000_NS3MaxENSH_8EqualityElEE10hipError_tPvRmT2_T3_T4_T5_mT6_T7_P12ihipStream_tbENKUlT_T0_E_clISt17integral_constantIbLb1EESZ_IbLb0EEEEDaSV_SW_EUlSV_E_NS1_11comp_targetILNS1_3genE0ELNS1_11target_archE4294967295ELNS1_3gpuE0ELNS1_3repE0EEENS1_30default_config_static_selectorELNS0_4arch9wavefront6targetE1EEEvT1_.kd
    .uniform_work_group_size: 1
    .uses_dynamic_stack: false
    .vgpr_count:     0
    .vgpr_spill_count: 0
    .wavefront_size: 64
  - .agpr_count:     0
    .args:
      - .offset:         0
        .size:           136
        .value_kind:     by_value
    .group_segment_fixed_size: 0
    .kernarg_segment_align: 8
    .kernarg_segment_size: 136
    .language:       OpenCL C
    .language_version:
      - 2
      - 0
    .max_flat_workgroup_size: 256
    .name:           _ZN7rocprim17ROCPRIM_400000_NS6detail17trampoline_kernelINS0_14default_configENS1_27scan_by_key_config_selectorIllEEZZNS1_16scan_by_key_implILNS1_25lookback_scan_determinismE0ELb0ES3_N6thrust23THRUST_200600_302600_NS16reverse_iteratorIPKlEESD_NSA_IPlEElN6hipcub16HIPCUB_304000_NS3MaxENSH_8EqualityElEE10hipError_tPvRmT2_T3_T4_T5_mT6_T7_P12ihipStream_tbENKUlT_T0_E_clISt17integral_constantIbLb1EESZ_IbLb0EEEEDaSV_SW_EUlSV_E_NS1_11comp_targetILNS1_3genE10ELNS1_11target_archE1201ELNS1_3gpuE5ELNS1_3repE0EEENS1_30default_config_static_selectorELNS0_4arch9wavefront6targetE1EEEvT1_
    .private_segment_fixed_size: 0
    .sgpr_count:     6
    .sgpr_spill_count: 0
    .symbol:         _ZN7rocprim17ROCPRIM_400000_NS6detail17trampoline_kernelINS0_14default_configENS1_27scan_by_key_config_selectorIllEEZZNS1_16scan_by_key_implILNS1_25lookback_scan_determinismE0ELb0ES3_N6thrust23THRUST_200600_302600_NS16reverse_iteratorIPKlEESD_NSA_IPlEElN6hipcub16HIPCUB_304000_NS3MaxENSH_8EqualityElEE10hipError_tPvRmT2_T3_T4_T5_mT6_T7_P12ihipStream_tbENKUlT_T0_E_clISt17integral_constantIbLb1EESZ_IbLb0EEEEDaSV_SW_EUlSV_E_NS1_11comp_targetILNS1_3genE10ELNS1_11target_archE1201ELNS1_3gpuE5ELNS1_3repE0EEENS1_30default_config_static_selectorELNS0_4arch9wavefront6targetE1EEEvT1_.kd
    .uniform_work_group_size: 1
    .uses_dynamic_stack: false
    .vgpr_count:     0
    .vgpr_spill_count: 0
    .wavefront_size: 64
  - .agpr_count:     0
    .args:
      - .offset:         0
        .size:           136
        .value_kind:     by_value
    .group_segment_fixed_size: 32768
    .kernarg_segment_align: 8
    .kernarg_segment_size: 136
    .language:       OpenCL C
    .language_version:
      - 2
      - 0
    .max_flat_workgroup_size: 256
    .name:           _ZN7rocprim17ROCPRIM_400000_NS6detail17trampoline_kernelINS0_14default_configENS1_27scan_by_key_config_selectorIllEEZZNS1_16scan_by_key_implILNS1_25lookback_scan_determinismE0ELb0ES3_N6thrust23THRUST_200600_302600_NS16reverse_iteratorIPKlEESD_NSA_IPlEElN6hipcub16HIPCUB_304000_NS3MaxENSH_8EqualityElEE10hipError_tPvRmT2_T3_T4_T5_mT6_T7_P12ihipStream_tbENKUlT_T0_E_clISt17integral_constantIbLb1EESZ_IbLb0EEEEDaSV_SW_EUlSV_E_NS1_11comp_targetILNS1_3genE5ELNS1_11target_archE942ELNS1_3gpuE9ELNS1_3repE0EEENS1_30default_config_static_selectorELNS0_4arch9wavefront6targetE1EEEvT1_
    .private_segment_fixed_size: 0
    .sgpr_count:     72
    .sgpr_spill_count: 0
    .symbol:         _ZN7rocprim17ROCPRIM_400000_NS6detail17trampoline_kernelINS0_14default_configENS1_27scan_by_key_config_selectorIllEEZZNS1_16scan_by_key_implILNS1_25lookback_scan_determinismE0ELb0ES3_N6thrust23THRUST_200600_302600_NS16reverse_iteratorIPKlEESD_NSA_IPlEElN6hipcub16HIPCUB_304000_NS3MaxENSH_8EqualityElEE10hipError_tPvRmT2_T3_T4_T5_mT6_T7_P12ihipStream_tbENKUlT_T0_E_clISt17integral_constantIbLb1EESZ_IbLb0EEEEDaSV_SW_EUlSV_E_NS1_11comp_targetILNS1_3genE5ELNS1_11target_archE942ELNS1_3gpuE9ELNS1_3repE0EEENS1_30default_config_static_selectorELNS0_4arch9wavefront6targetE1EEEvT1_.kd
    .uniform_work_group_size: 1
    .uses_dynamic_stack: false
    .vgpr_count:     92
    .vgpr_spill_count: 0
    .wavefront_size: 64
  - .agpr_count:     0
    .args:
      - .offset:         0
        .size:           136
        .value_kind:     by_value
    .group_segment_fixed_size: 0
    .kernarg_segment_align: 8
    .kernarg_segment_size: 136
    .language:       OpenCL C
    .language_version:
      - 2
      - 0
    .max_flat_workgroup_size: 64
    .name:           _ZN7rocprim17ROCPRIM_400000_NS6detail17trampoline_kernelINS0_14default_configENS1_27scan_by_key_config_selectorIllEEZZNS1_16scan_by_key_implILNS1_25lookback_scan_determinismE0ELb0ES3_N6thrust23THRUST_200600_302600_NS16reverse_iteratorIPKlEESD_NSA_IPlEElN6hipcub16HIPCUB_304000_NS3MaxENSH_8EqualityElEE10hipError_tPvRmT2_T3_T4_T5_mT6_T7_P12ihipStream_tbENKUlT_T0_E_clISt17integral_constantIbLb1EESZ_IbLb0EEEEDaSV_SW_EUlSV_E_NS1_11comp_targetILNS1_3genE4ELNS1_11target_archE910ELNS1_3gpuE8ELNS1_3repE0EEENS1_30default_config_static_selectorELNS0_4arch9wavefront6targetE1EEEvT1_
    .private_segment_fixed_size: 0
    .sgpr_count:     6
    .sgpr_spill_count: 0
    .symbol:         _ZN7rocprim17ROCPRIM_400000_NS6detail17trampoline_kernelINS0_14default_configENS1_27scan_by_key_config_selectorIllEEZZNS1_16scan_by_key_implILNS1_25lookback_scan_determinismE0ELb0ES3_N6thrust23THRUST_200600_302600_NS16reverse_iteratorIPKlEESD_NSA_IPlEElN6hipcub16HIPCUB_304000_NS3MaxENSH_8EqualityElEE10hipError_tPvRmT2_T3_T4_T5_mT6_T7_P12ihipStream_tbENKUlT_T0_E_clISt17integral_constantIbLb1EESZ_IbLb0EEEEDaSV_SW_EUlSV_E_NS1_11comp_targetILNS1_3genE4ELNS1_11target_archE910ELNS1_3gpuE8ELNS1_3repE0EEENS1_30default_config_static_selectorELNS0_4arch9wavefront6targetE1EEEvT1_.kd
    .uniform_work_group_size: 1
    .uses_dynamic_stack: false
    .vgpr_count:     0
    .vgpr_spill_count: 0
    .wavefront_size: 64
  - .agpr_count:     0
    .args:
      - .offset:         0
        .size:           136
        .value_kind:     by_value
    .group_segment_fixed_size: 0
    .kernarg_segment_align: 8
    .kernarg_segment_size: 136
    .language:       OpenCL C
    .language_version:
      - 2
      - 0
    .max_flat_workgroup_size: 256
    .name:           _ZN7rocprim17ROCPRIM_400000_NS6detail17trampoline_kernelINS0_14default_configENS1_27scan_by_key_config_selectorIllEEZZNS1_16scan_by_key_implILNS1_25lookback_scan_determinismE0ELb0ES3_N6thrust23THRUST_200600_302600_NS16reverse_iteratorIPKlEESD_NSA_IPlEElN6hipcub16HIPCUB_304000_NS3MaxENSH_8EqualityElEE10hipError_tPvRmT2_T3_T4_T5_mT6_T7_P12ihipStream_tbENKUlT_T0_E_clISt17integral_constantIbLb1EESZ_IbLb0EEEEDaSV_SW_EUlSV_E_NS1_11comp_targetILNS1_3genE3ELNS1_11target_archE908ELNS1_3gpuE7ELNS1_3repE0EEENS1_30default_config_static_selectorELNS0_4arch9wavefront6targetE1EEEvT1_
    .private_segment_fixed_size: 0
    .sgpr_count:     6
    .sgpr_spill_count: 0
    .symbol:         _ZN7rocprim17ROCPRIM_400000_NS6detail17trampoline_kernelINS0_14default_configENS1_27scan_by_key_config_selectorIllEEZZNS1_16scan_by_key_implILNS1_25lookback_scan_determinismE0ELb0ES3_N6thrust23THRUST_200600_302600_NS16reverse_iteratorIPKlEESD_NSA_IPlEElN6hipcub16HIPCUB_304000_NS3MaxENSH_8EqualityElEE10hipError_tPvRmT2_T3_T4_T5_mT6_T7_P12ihipStream_tbENKUlT_T0_E_clISt17integral_constantIbLb1EESZ_IbLb0EEEEDaSV_SW_EUlSV_E_NS1_11comp_targetILNS1_3genE3ELNS1_11target_archE908ELNS1_3gpuE7ELNS1_3repE0EEENS1_30default_config_static_selectorELNS0_4arch9wavefront6targetE1EEEvT1_.kd
    .uniform_work_group_size: 1
    .uses_dynamic_stack: false
    .vgpr_count:     0
    .vgpr_spill_count: 0
    .wavefront_size: 64
  - .agpr_count:     0
    .args:
      - .offset:         0
        .size:           136
        .value_kind:     by_value
    .group_segment_fixed_size: 0
    .kernarg_segment_align: 8
    .kernarg_segment_size: 136
    .language:       OpenCL C
    .language_version:
      - 2
      - 0
    .max_flat_workgroup_size: 256
    .name:           _ZN7rocprim17ROCPRIM_400000_NS6detail17trampoline_kernelINS0_14default_configENS1_27scan_by_key_config_selectorIllEEZZNS1_16scan_by_key_implILNS1_25lookback_scan_determinismE0ELb0ES3_N6thrust23THRUST_200600_302600_NS16reverse_iteratorIPKlEESD_NSA_IPlEElN6hipcub16HIPCUB_304000_NS3MaxENSH_8EqualityElEE10hipError_tPvRmT2_T3_T4_T5_mT6_T7_P12ihipStream_tbENKUlT_T0_E_clISt17integral_constantIbLb1EESZ_IbLb0EEEEDaSV_SW_EUlSV_E_NS1_11comp_targetILNS1_3genE2ELNS1_11target_archE906ELNS1_3gpuE6ELNS1_3repE0EEENS1_30default_config_static_selectorELNS0_4arch9wavefront6targetE1EEEvT1_
    .private_segment_fixed_size: 0
    .sgpr_count:     6
    .sgpr_spill_count: 0
    .symbol:         _ZN7rocprim17ROCPRIM_400000_NS6detail17trampoline_kernelINS0_14default_configENS1_27scan_by_key_config_selectorIllEEZZNS1_16scan_by_key_implILNS1_25lookback_scan_determinismE0ELb0ES3_N6thrust23THRUST_200600_302600_NS16reverse_iteratorIPKlEESD_NSA_IPlEElN6hipcub16HIPCUB_304000_NS3MaxENSH_8EqualityElEE10hipError_tPvRmT2_T3_T4_T5_mT6_T7_P12ihipStream_tbENKUlT_T0_E_clISt17integral_constantIbLb1EESZ_IbLb0EEEEDaSV_SW_EUlSV_E_NS1_11comp_targetILNS1_3genE2ELNS1_11target_archE906ELNS1_3gpuE6ELNS1_3repE0EEENS1_30default_config_static_selectorELNS0_4arch9wavefront6targetE1EEEvT1_.kd
    .uniform_work_group_size: 1
    .uses_dynamic_stack: false
    .vgpr_count:     0
    .vgpr_spill_count: 0
    .wavefront_size: 64
  - .agpr_count:     0
    .args:
      - .offset:         0
        .size:           136
        .value_kind:     by_value
    .group_segment_fixed_size: 0
    .kernarg_segment_align: 8
    .kernarg_segment_size: 136
    .language:       OpenCL C
    .language_version:
      - 2
      - 0
    .max_flat_workgroup_size: 256
    .name:           _ZN7rocprim17ROCPRIM_400000_NS6detail17trampoline_kernelINS0_14default_configENS1_27scan_by_key_config_selectorIllEEZZNS1_16scan_by_key_implILNS1_25lookback_scan_determinismE0ELb0ES3_N6thrust23THRUST_200600_302600_NS16reverse_iteratorIPKlEESD_NSA_IPlEElN6hipcub16HIPCUB_304000_NS3MaxENSH_8EqualityElEE10hipError_tPvRmT2_T3_T4_T5_mT6_T7_P12ihipStream_tbENKUlT_T0_E_clISt17integral_constantIbLb1EESZ_IbLb0EEEEDaSV_SW_EUlSV_E_NS1_11comp_targetILNS1_3genE10ELNS1_11target_archE1200ELNS1_3gpuE4ELNS1_3repE0EEENS1_30default_config_static_selectorELNS0_4arch9wavefront6targetE1EEEvT1_
    .private_segment_fixed_size: 0
    .sgpr_count:     6
    .sgpr_spill_count: 0
    .symbol:         _ZN7rocprim17ROCPRIM_400000_NS6detail17trampoline_kernelINS0_14default_configENS1_27scan_by_key_config_selectorIllEEZZNS1_16scan_by_key_implILNS1_25lookback_scan_determinismE0ELb0ES3_N6thrust23THRUST_200600_302600_NS16reverse_iteratorIPKlEESD_NSA_IPlEElN6hipcub16HIPCUB_304000_NS3MaxENSH_8EqualityElEE10hipError_tPvRmT2_T3_T4_T5_mT6_T7_P12ihipStream_tbENKUlT_T0_E_clISt17integral_constantIbLb1EESZ_IbLb0EEEEDaSV_SW_EUlSV_E_NS1_11comp_targetILNS1_3genE10ELNS1_11target_archE1200ELNS1_3gpuE4ELNS1_3repE0EEENS1_30default_config_static_selectorELNS0_4arch9wavefront6targetE1EEEvT1_.kd
    .uniform_work_group_size: 1
    .uses_dynamic_stack: false
    .vgpr_count:     0
    .vgpr_spill_count: 0
    .wavefront_size: 64
  - .agpr_count:     0
    .args:
      - .offset:         0
        .size:           136
        .value_kind:     by_value
    .group_segment_fixed_size: 0
    .kernarg_segment_align: 8
    .kernarg_segment_size: 136
    .language:       OpenCL C
    .language_version:
      - 2
      - 0
    .max_flat_workgroup_size: 256
    .name:           _ZN7rocprim17ROCPRIM_400000_NS6detail17trampoline_kernelINS0_14default_configENS1_27scan_by_key_config_selectorIllEEZZNS1_16scan_by_key_implILNS1_25lookback_scan_determinismE0ELb0ES3_N6thrust23THRUST_200600_302600_NS16reverse_iteratorIPKlEESD_NSA_IPlEElN6hipcub16HIPCUB_304000_NS3MaxENSH_8EqualityElEE10hipError_tPvRmT2_T3_T4_T5_mT6_T7_P12ihipStream_tbENKUlT_T0_E_clISt17integral_constantIbLb1EESZ_IbLb0EEEEDaSV_SW_EUlSV_E_NS1_11comp_targetILNS1_3genE9ELNS1_11target_archE1100ELNS1_3gpuE3ELNS1_3repE0EEENS1_30default_config_static_selectorELNS0_4arch9wavefront6targetE1EEEvT1_
    .private_segment_fixed_size: 0
    .sgpr_count:     6
    .sgpr_spill_count: 0
    .symbol:         _ZN7rocprim17ROCPRIM_400000_NS6detail17trampoline_kernelINS0_14default_configENS1_27scan_by_key_config_selectorIllEEZZNS1_16scan_by_key_implILNS1_25lookback_scan_determinismE0ELb0ES3_N6thrust23THRUST_200600_302600_NS16reverse_iteratorIPKlEESD_NSA_IPlEElN6hipcub16HIPCUB_304000_NS3MaxENSH_8EqualityElEE10hipError_tPvRmT2_T3_T4_T5_mT6_T7_P12ihipStream_tbENKUlT_T0_E_clISt17integral_constantIbLb1EESZ_IbLb0EEEEDaSV_SW_EUlSV_E_NS1_11comp_targetILNS1_3genE9ELNS1_11target_archE1100ELNS1_3gpuE3ELNS1_3repE0EEENS1_30default_config_static_selectorELNS0_4arch9wavefront6targetE1EEEvT1_.kd
    .uniform_work_group_size: 1
    .uses_dynamic_stack: false
    .vgpr_count:     0
    .vgpr_spill_count: 0
    .wavefront_size: 64
  - .agpr_count:     0
    .args:
      - .offset:         0
        .size:           136
        .value_kind:     by_value
    .group_segment_fixed_size: 0
    .kernarg_segment_align: 8
    .kernarg_segment_size: 136
    .language:       OpenCL C
    .language_version:
      - 2
      - 0
    .max_flat_workgroup_size: 256
    .name:           _ZN7rocprim17ROCPRIM_400000_NS6detail17trampoline_kernelINS0_14default_configENS1_27scan_by_key_config_selectorIllEEZZNS1_16scan_by_key_implILNS1_25lookback_scan_determinismE0ELb0ES3_N6thrust23THRUST_200600_302600_NS16reverse_iteratorIPKlEESD_NSA_IPlEElN6hipcub16HIPCUB_304000_NS3MaxENSH_8EqualityElEE10hipError_tPvRmT2_T3_T4_T5_mT6_T7_P12ihipStream_tbENKUlT_T0_E_clISt17integral_constantIbLb1EESZ_IbLb0EEEEDaSV_SW_EUlSV_E_NS1_11comp_targetILNS1_3genE8ELNS1_11target_archE1030ELNS1_3gpuE2ELNS1_3repE0EEENS1_30default_config_static_selectorELNS0_4arch9wavefront6targetE1EEEvT1_
    .private_segment_fixed_size: 0
    .sgpr_count:     6
    .sgpr_spill_count: 0
    .symbol:         _ZN7rocprim17ROCPRIM_400000_NS6detail17trampoline_kernelINS0_14default_configENS1_27scan_by_key_config_selectorIllEEZZNS1_16scan_by_key_implILNS1_25lookback_scan_determinismE0ELb0ES3_N6thrust23THRUST_200600_302600_NS16reverse_iteratorIPKlEESD_NSA_IPlEElN6hipcub16HIPCUB_304000_NS3MaxENSH_8EqualityElEE10hipError_tPvRmT2_T3_T4_T5_mT6_T7_P12ihipStream_tbENKUlT_T0_E_clISt17integral_constantIbLb1EESZ_IbLb0EEEEDaSV_SW_EUlSV_E_NS1_11comp_targetILNS1_3genE8ELNS1_11target_archE1030ELNS1_3gpuE2ELNS1_3repE0EEENS1_30default_config_static_selectorELNS0_4arch9wavefront6targetE1EEEvT1_.kd
    .uniform_work_group_size: 1
    .uses_dynamic_stack: false
    .vgpr_count:     0
    .vgpr_spill_count: 0
    .wavefront_size: 64
  - .agpr_count:     0
    .args:
      - .offset:         0
        .size:           24
        .value_kind:     by_value
      - .offset:         24
        .size:           4
        .value_kind:     by_value
      - .offset:         28
        .size:           4
        .value_kind:     by_value
      - .address_space:  global
        .offset:         32
        .size:           8
        .value_kind:     global_buffer
      - .address_space:  global
        .offset:         40
        .size:           8
        .value_kind:     global_buffer
      - .actual_access:  write_only
        .address_space:  global
        .offset:         48
        .size:           8
        .value_kind:     global_buffer
      - .offset:         56
        .size:           8
        .value_kind:     by_value
      - .offset:         64
        .size:           4
        .value_kind:     by_value
      - .address_space:  global
        .offset:         72
        .size:           8
        .value_kind:     global_buffer
      - .offset:         80
        .size:           4
        .value_kind:     hidden_block_count_x
      - .offset:         84
        .size:           4
        .value_kind:     hidden_block_count_y
      - .offset:         88
        .size:           4
        .value_kind:     hidden_block_count_z
      - .offset:         92
        .size:           2
        .value_kind:     hidden_group_size_x
      - .offset:         94
        .size:           2
        .value_kind:     hidden_group_size_y
      - .offset:         96
        .size:           2
        .value_kind:     hidden_group_size_z
      - .offset:         98
        .size:           2
        .value_kind:     hidden_remainder_x
      - .offset:         100
        .size:           2
        .value_kind:     hidden_remainder_y
      - .offset:         102
        .size:           2
        .value_kind:     hidden_remainder_z
      - .offset:         120
        .size:           8
        .value_kind:     hidden_global_offset_x
      - .offset:         128
        .size:           8
        .value_kind:     hidden_global_offset_y
      - .offset:         136
        .size:           8
        .value_kind:     hidden_global_offset_z
      - .offset:         144
        .size:           2
        .value_kind:     hidden_grid_dims
    .group_segment_fixed_size: 0
    .kernarg_segment_align: 8
    .kernarg_segment_size: 336
    .language:       OpenCL C
    .language_version:
      - 2
      - 0
    .max_flat_workgroup_size: 256
    .name:           _ZN7rocprim17ROCPRIM_400000_NS6detail30init_device_scan_by_key_kernelINS1_19lookback_scan_stateINS0_5tupleIJlbEEELb0ELb0EEEN6thrust23THRUST_200600_302600_NS16reverse_iteratorIPKlEEjNS1_16block_id_wrapperIjLb1EEEEEvT_jjPNSF_10value_typeET0_PNSt15iterator_traitsISI_E10value_typeEmT1_T2_
    .private_segment_fixed_size: 0
    .sgpr_count:     28
    .sgpr_spill_count: 0
    .symbol:         _ZN7rocprim17ROCPRIM_400000_NS6detail30init_device_scan_by_key_kernelINS1_19lookback_scan_stateINS0_5tupleIJlbEEELb0ELb0EEEN6thrust23THRUST_200600_302600_NS16reverse_iteratorIPKlEEjNS1_16block_id_wrapperIjLb1EEEEEvT_jjPNSF_10value_typeET0_PNSt15iterator_traitsISI_E10value_typeEmT1_T2_.kd
    .uniform_work_group_size: 1
    .uses_dynamic_stack: false
    .vgpr_count:     8
    .vgpr_spill_count: 0
    .wavefront_size: 64
  - .agpr_count:     0
    .args:
      - .offset:         0
        .size:           136
        .value_kind:     by_value
    .group_segment_fixed_size: 0
    .kernarg_segment_align: 8
    .kernarg_segment_size: 136
    .language:       OpenCL C
    .language_version:
      - 2
      - 0
    .max_flat_workgroup_size: 256
    .name:           _ZN7rocprim17ROCPRIM_400000_NS6detail17trampoline_kernelINS0_14default_configENS1_27scan_by_key_config_selectorIllEEZZNS1_16scan_by_key_implILNS1_25lookback_scan_determinismE0ELb0ES3_N6thrust23THRUST_200600_302600_NS16reverse_iteratorIPKlEESD_NSA_IPlEElN6hipcub16HIPCUB_304000_NS3MaxENSH_8EqualityElEE10hipError_tPvRmT2_T3_T4_T5_mT6_T7_P12ihipStream_tbENKUlT_T0_E_clISt17integral_constantIbLb0EESZ_IbLb1EEEEDaSV_SW_EUlSV_E_NS1_11comp_targetILNS1_3genE0ELNS1_11target_archE4294967295ELNS1_3gpuE0ELNS1_3repE0EEENS1_30default_config_static_selectorELNS0_4arch9wavefront6targetE1EEEvT1_
    .private_segment_fixed_size: 0
    .sgpr_count:     6
    .sgpr_spill_count: 0
    .symbol:         _ZN7rocprim17ROCPRIM_400000_NS6detail17trampoline_kernelINS0_14default_configENS1_27scan_by_key_config_selectorIllEEZZNS1_16scan_by_key_implILNS1_25lookback_scan_determinismE0ELb0ES3_N6thrust23THRUST_200600_302600_NS16reverse_iteratorIPKlEESD_NSA_IPlEElN6hipcub16HIPCUB_304000_NS3MaxENSH_8EqualityElEE10hipError_tPvRmT2_T3_T4_T5_mT6_T7_P12ihipStream_tbENKUlT_T0_E_clISt17integral_constantIbLb0EESZ_IbLb1EEEEDaSV_SW_EUlSV_E_NS1_11comp_targetILNS1_3genE0ELNS1_11target_archE4294967295ELNS1_3gpuE0ELNS1_3repE0EEENS1_30default_config_static_selectorELNS0_4arch9wavefront6targetE1EEEvT1_.kd
    .uniform_work_group_size: 1
    .uses_dynamic_stack: false
    .vgpr_count:     0
    .vgpr_spill_count: 0
    .wavefront_size: 64
  - .agpr_count:     0
    .args:
      - .offset:         0
        .size:           136
        .value_kind:     by_value
    .group_segment_fixed_size: 0
    .kernarg_segment_align: 8
    .kernarg_segment_size: 136
    .language:       OpenCL C
    .language_version:
      - 2
      - 0
    .max_flat_workgroup_size: 256
    .name:           _ZN7rocprim17ROCPRIM_400000_NS6detail17trampoline_kernelINS0_14default_configENS1_27scan_by_key_config_selectorIllEEZZNS1_16scan_by_key_implILNS1_25lookback_scan_determinismE0ELb0ES3_N6thrust23THRUST_200600_302600_NS16reverse_iteratorIPKlEESD_NSA_IPlEElN6hipcub16HIPCUB_304000_NS3MaxENSH_8EqualityElEE10hipError_tPvRmT2_T3_T4_T5_mT6_T7_P12ihipStream_tbENKUlT_T0_E_clISt17integral_constantIbLb0EESZ_IbLb1EEEEDaSV_SW_EUlSV_E_NS1_11comp_targetILNS1_3genE10ELNS1_11target_archE1201ELNS1_3gpuE5ELNS1_3repE0EEENS1_30default_config_static_selectorELNS0_4arch9wavefront6targetE1EEEvT1_
    .private_segment_fixed_size: 0
    .sgpr_count:     6
    .sgpr_spill_count: 0
    .symbol:         _ZN7rocprim17ROCPRIM_400000_NS6detail17trampoline_kernelINS0_14default_configENS1_27scan_by_key_config_selectorIllEEZZNS1_16scan_by_key_implILNS1_25lookback_scan_determinismE0ELb0ES3_N6thrust23THRUST_200600_302600_NS16reverse_iteratorIPKlEESD_NSA_IPlEElN6hipcub16HIPCUB_304000_NS3MaxENSH_8EqualityElEE10hipError_tPvRmT2_T3_T4_T5_mT6_T7_P12ihipStream_tbENKUlT_T0_E_clISt17integral_constantIbLb0EESZ_IbLb1EEEEDaSV_SW_EUlSV_E_NS1_11comp_targetILNS1_3genE10ELNS1_11target_archE1201ELNS1_3gpuE5ELNS1_3repE0EEENS1_30default_config_static_selectorELNS0_4arch9wavefront6targetE1EEEvT1_.kd
    .uniform_work_group_size: 1
    .uses_dynamic_stack: false
    .vgpr_count:     0
    .vgpr_spill_count: 0
    .wavefront_size: 64
  - .agpr_count:     0
    .args:
      - .offset:         0
        .size:           136
        .value_kind:     by_value
    .group_segment_fixed_size: 32768
    .kernarg_segment_align: 8
    .kernarg_segment_size: 136
    .language:       OpenCL C
    .language_version:
      - 2
      - 0
    .max_flat_workgroup_size: 256
    .name:           _ZN7rocprim17ROCPRIM_400000_NS6detail17trampoline_kernelINS0_14default_configENS1_27scan_by_key_config_selectorIllEEZZNS1_16scan_by_key_implILNS1_25lookback_scan_determinismE0ELb0ES3_N6thrust23THRUST_200600_302600_NS16reverse_iteratorIPKlEESD_NSA_IPlEElN6hipcub16HIPCUB_304000_NS3MaxENSH_8EqualityElEE10hipError_tPvRmT2_T3_T4_T5_mT6_T7_P12ihipStream_tbENKUlT_T0_E_clISt17integral_constantIbLb0EESZ_IbLb1EEEEDaSV_SW_EUlSV_E_NS1_11comp_targetILNS1_3genE5ELNS1_11target_archE942ELNS1_3gpuE9ELNS1_3repE0EEENS1_30default_config_static_selectorELNS0_4arch9wavefront6targetE1EEEvT1_
    .private_segment_fixed_size: 0
    .sgpr_count:     76
    .sgpr_spill_count: 0
    .symbol:         _ZN7rocprim17ROCPRIM_400000_NS6detail17trampoline_kernelINS0_14default_configENS1_27scan_by_key_config_selectorIllEEZZNS1_16scan_by_key_implILNS1_25lookback_scan_determinismE0ELb0ES3_N6thrust23THRUST_200600_302600_NS16reverse_iteratorIPKlEESD_NSA_IPlEElN6hipcub16HIPCUB_304000_NS3MaxENSH_8EqualityElEE10hipError_tPvRmT2_T3_T4_T5_mT6_T7_P12ihipStream_tbENKUlT_T0_E_clISt17integral_constantIbLb0EESZ_IbLb1EEEEDaSV_SW_EUlSV_E_NS1_11comp_targetILNS1_3genE5ELNS1_11target_archE942ELNS1_3gpuE9ELNS1_3repE0EEENS1_30default_config_static_selectorELNS0_4arch9wavefront6targetE1EEEvT1_.kd
    .uniform_work_group_size: 1
    .uses_dynamic_stack: false
    .vgpr_count:     92
    .vgpr_spill_count: 0
    .wavefront_size: 64
  - .agpr_count:     0
    .args:
      - .offset:         0
        .size:           136
        .value_kind:     by_value
    .group_segment_fixed_size: 0
    .kernarg_segment_align: 8
    .kernarg_segment_size: 136
    .language:       OpenCL C
    .language_version:
      - 2
      - 0
    .max_flat_workgroup_size: 64
    .name:           _ZN7rocprim17ROCPRIM_400000_NS6detail17trampoline_kernelINS0_14default_configENS1_27scan_by_key_config_selectorIllEEZZNS1_16scan_by_key_implILNS1_25lookback_scan_determinismE0ELb0ES3_N6thrust23THRUST_200600_302600_NS16reverse_iteratorIPKlEESD_NSA_IPlEElN6hipcub16HIPCUB_304000_NS3MaxENSH_8EqualityElEE10hipError_tPvRmT2_T3_T4_T5_mT6_T7_P12ihipStream_tbENKUlT_T0_E_clISt17integral_constantIbLb0EESZ_IbLb1EEEEDaSV_SW_EUlSV_E_NS1_11comp_targetILNS1_3genE4ELNS1_11target_archE910ELNS1_3gpuE8ELNS1_3repE0EEENS1_30default_config_static_selectorELNS0_4arch9wavefront6targetE1EEEvT1_
    .private_segment_fixed_size: 0
    .sgpr_count:     6
    .sgpr_spill_count: 0
    .symbol:         _ZN7rocprim17ROCPRIM_400000_NS6detail17trampoline_kernelINS0_14default_configENS1_27scan_by_key_config_selectorIllEEZZNS1_16scan_by_key_implILNS1_25lookback_scan_determinismE0ELb0ES3_N6thrust23THRUST_200600_302600_NS16reverse_iteratorIPKlEESD_NSA_IPlEElN6hipcub16HIPCUB_304000_NS3MaxENSH_8EqualityElEE10hipError_tPvRmT2_T3_T4_T5_mT6_T7_P12ihipStream_tbENKUlT_T0_E_clISt17integral_constantIbLb0EESZ_IbLb1EEEEDaSV_SW_EUlSV_E_NS1_11comp_targetILNS1_3genE4ELNS1_11target_archE910ELNS1_3gpuE8ELNS1_3repE0EEENS1_30default_config_static_selectorELNS0_4arch9wavefront6targetE1EEEvT1_.kd
    .uniform_work_group_size: 1
    .uses_dynamic_stack: false
    .vgpr_count:     0
    .vgpr_spill_count: 0
    .wavefront_size: 64
  - .agpr_count:     0
    .args:
      - .offset:         0
        .size:           136
        .value_kind:     by_value
    .group_segment_fixed_size: 0
    .kernarg_segment_align: 8
    .kernarg_segment_size: 136
    .language:       OpenCL C
    .language_version:
      - 2
      - 0
    .max_flat_workgroup_size: 256
    .name:           _ZN7rocprim17ROCPRIM_400000_NS6detail17trampoline_kernelINS0_14default_configENS1_27scan_by_key_config_selectorIllEEZZNS1_16scan_by_key_implILNS1_25lookback_scan_determinismE0ELb0ES3_N6thrust23THRUST_200600_302600_NS16reverse_iteratorIPKlEESD_NSA_IPlEElN6hipcub16HIPCUB_304000_NS3MaxENSH_8EqualityElEE10hipError_tPvRmT2_T3_T4_T5_mT6_T7_P12ihipStream_tbENKUlT_T0_E_clISt17integral_constantIbLb0EESZ_IbLb1EEEEDaSV_SW_EUlSV_E_NS1_11comp_targetILNS1_3genE3ELNS1_11target_archE908ELNS1_3gpuE7ELNS1_3repE0EEENS1_30default_config_static_selectorELNS0_4arch9wavefront6targetE1EEEvT1_
    .private_segment_fixed_size: 0
    .sgpr_count:     6
    .sgpr_spill_count: 0
    .symbol:         _ZN7rocprim17ROCPRIM_400000_NS6detail17trampoline_kernelINS0_14default_configENS1_27scan_by_key_config_selectorIllEEZZNS1_16scan_by_key_implILNS1_25lookback_scan_determinismE0ELb0ES3_N6thrust23THRUST_200600_302600_NS16reverse_iteratorIPKlEESD_NSA_IPlEElN6hipcub16HIPCUB_304000_NS3MaxENSH_8EqualityElEE10hipError_tPvRmT2_T3_T4_T5_mT6_T7_P12ihipStream_tbENKUlT_T0_E_clISt17integral_constantIbLb0EESZ_IbLb1EEEEDaSV_SW_EUlSV_E_NS1_11comp_targetILNS1_3genE3ELNS1_11target_archE908ELNS1_3gpuE7ELNS1_3repE0EEENS1_30default_config_static_selectorELNS0_4arch9wavefront6targetE1EEEvT1_.kd
    .uniform_work_group_size: 1
    .uses_dynamic_stack: false
    .vgpr_count:     0
    .vgpr_spill_count: 0
    .wavefront_size: 64
  - .agpr_count:     0
    .args:
      - .offset:         0
        .size:           136
        .value_kind:     by_value
    .group_segment_fixed_size: 0
    .kernarg_segment_align: 8
    .kernarg_segment_size: 136
    .language:       OpenCL C
    .language_version:
      - 2
      - 0
    .max_flat_workgroup_size: 256
    .name:           _ZN7rocprim17ROCPRIM_400000_NS6detail17trampoline_kernelINS0_14default_configENS1_27scan_by_key_config_selectorIllEEZZNS1_16scan_by_key_implILNS1_25lookback_scan_determinismE0ELb0ES3_N6thrust23THRUST_200600_302600_NS16reverse_iteratorIPKlEESD_NSA_IPlEElN6hipcub16HIPCUB_304000_NS3MaxENSH_8EqualityElEE10hipError_tPvRmT2_T3_T4_T5_mT6_T7_P12ihipStream_tbENKUlT_T0_E_clISt17integral_constantIbLb0EESZ_IbLb1EEEEDaSV_SW_EUlSV_E_NS1_11comp_targetILNS1_3genE2ELNS1_11target_archE906ELNS1_3gpuE6ELNS1_3repE0EEENS1_30default_config_static_selectorELNS0_4arch9wavefront6targetE1EEEvT1_
    .private_segment_fixed_size: 0
    .sgpr_count:     6
    .sgpr_spill_count: 0
    .symbol:         _ZN7rocprim17ROCPRIM_400000_NS6detail17trampoline_kernelINS0_14default_configENS1_27scan_by_key_config_selectorIllEEZZNS1_16scan_by_key_implILNS1_25lookback_scan_determinismE0ELb0ES3_N6thrust23THRUST_200600_302600_NS16reverse_iteratorIPKlEESD_NSA_IPlEElN6hipcub16HIPCUB_304000_NS3MaxENSH_8EqualityElEE10hipError_tPvRmT2_T3_T4_T5_mT6_T7_P12ihipStream_tbENKUlT_T0_E_clISt17integral_constantIbLb0EESZ_IbLb1EEEEDaSV_SW_EUlSV_E_NS1_11comp_targetILNS1_3genE2ELNS1_11target_archE906ELNS1_3gpuE6ELNS1_3repE0EEENS1_30default_config_static_selectorELNS0_4arch9wavefront6targetE1EEEvT1_.kd
    .uniform_work_group_size: 1
    .uses_dynamic_stack: false
    .vgpr_count:     0
    .vgpr_spill_count: 0
    .wavefront_size: 64
  - .agpr_count:     0
    .args:
      - .offset:         0
        .size:           136
        .value_kind:     by_value
    .group_segment_fixed_size: 0
    .kernarg_segment_align: 8
    .kernarg_segment_size: 136
    .language:       OpenCL C
    .language_version:
      - 2
      - 0
    .max_flat_workgroup_size: 256
    .name:           _ZN7rocprim17ROCPRIM_400000_NS6detail17trampoline_kernelINS0_14default_configENS1_27scan_by_key_config_selectorIllEEZZNS1_16scan_by_key_implILNS1_25lookback_scan_determinismE0ELb0ES3_N6thrust23THRUST_200600_302600_NS16reverse_iteratorIPKlEESD_NSA_IPlEElN6hipcub16HIPCUB_304000_NS3MaxENSH_8EqualityElEE10hipError_tPvRmT2_T3_T4_T5_mT6_T7_P12ihipStream_tbENKUlT_T0_E_clISt17integral_constantIbLb0EESZ_IbLb1EEEEDaSV_SW_EUlSV_E_NS1_11comp_targetILNS1_3genE10ELNS1_11target_archE1200ELNS1_3gpuE4ELNS1_3repE0EEENS1_30default_config_static_selectorELNS0_4arch9wavefront6targetE1EEEvT1_
    .private_segment_fixed_size: 0
    .sgpr_count:     6
    .sgpr_spill_count: 0
    .symbol:         _ZN7rocprim17ROCPRIM_400000_NS6detail17trampoline_kernelINS0_14default_configENS1_27scan_by_key_config_selectorIllEEZZNS1_16scan_by_key_implILNS1_25lookback_scan_determinismE0ELb0ES3_N6thrust23THRUST_200600_302600_NS16reverse_iteratorIPKlEESD_NSA_IPlEElN6hipcub16HIPCUB_304000_NS3MaxENSH_8EqualityElEE10hipError_tPvRmT2_T3_T4_T5_mT6_T7_P12ihipStream_tbENKUlT_T0_E_clISt17integral_constantIbLb0EESZ_IbLb1EEEEDaSV_SW_EUlSV_E_NS1_11comp_targetILNS1_3genE10ELNS1_11target_archE1200ELNS1_3gpuE4ELNS1_3repE0EEENS1_30default_config_static_selectorELNS0_4arch9wavefront6targetE1EEEvT1_.kd
    .uniform_work_group_size: 1
    .uses_dynamic_stack: false
    .vgpr_count:     0
    .vgpr_spill_count: 0
    .wavefront_size: 64
  - .agpr_count:     0
    .args:
      - .offset:         0
        .size:           136
        .value_kind:     by_value
    .group_segment_fixed_size: 0
    .kernarg_segment_align: 8
    .kernarg_segment_size: 136
    .language:       OpenCL C
    .language_version:
      - 2
      - 0
    .max_flat_workgroup_size: 256
    .name:           _ZN7rocprim17ROCPRIM_400000_NS6detail17trampoline_kernelINS0_14default_configENS1_27scan_by_key_config_selectorIllEEZZNS1_16scan_by_key_implILNS1_25lookback_scan_determinismE0ELb0ES3_N6thrust23THRUST_200600_302600_NS16reverse_iteratorIPKlEESD_NSA_IPlEElN6hipcub16HIPCUB_304000_NS3MaxENSH_8EqualityElEE10hipError_tPvRmT2_T3_T4_T5_mT6_T7_P12ihipStream_tbENKUlT_T0_E_clISt17integral_constantIbLb0EESZ_IbLb1EEEEDaSV_SW_EUlSV_E_NS1_11comp_targetILNS1_3genE9ELNS1_11target_archE1100ELNS1_3gpuE3ELNS1_3repE0EEENS1_30default_config_static_selectorELNS0_4arch9wavefront6targetE1EEEvT1_
    .private_segment_fixed_size: 0
    .sgpr_count:     6
    .sgpr_spill_count: 0
    .symbol:         _ZN7rocprim17ROCPRIM_400000_NS6detail17trampoline_kernelINS0_14default_configENS1_27scan_by_key_config_selectorIllEEZZNS1_16scan_by_key_implILNS1_25lookback_scan_determinismE0ELb0ES3_N6thrust23THRUST_200600_302600_NS16reverse_iteratorIPKlEESD_NSA_IPlEElN6hipcub16HIPCUB_304000_NS3MaxENSH_8EqualityElEE10hipError_tPvRmT2_T3_T4_T5_mT6_T7_P12ihipStream_tbENKUlT_T0_E_clISt17integral_constantIbLb0EESZ_IbLb1EEEEDaSV_SW_EUlSV_E_NS1_11comp_targetILNS1_3genE9ELNS1_11target_archE1100ELNS1_3gpuE3ELNS1_3repE0EEENS1_30default_config_static_selectorELNS0_4arch9wavefront6targetE1EEEvT1_.kd
    .uniform_work_group_size: 1
    .uses_dynamic_stack: false
    .vgpr_count:     0
    .vgpr_spill_count: 0
    .wavefront_size: 64
  - .agpr_count:     0
    .args:
      - .offset:         0
        .size:           136
        .value_kind:     by_value
    .group_segment_fixed_size: 0
    .kernarg_segment_align: 8
    .kernarg_segment_size: 136
    .language:       OpenCL C
    .language_version:
      - 2
      - 0
    .max_flat_workgroup_size: 256
    .name:           _ZN7rocprim17ROCPRIM_400000_NS6detail17trampoline_kernelINS0_14default_configENS1_27scan_by_key_config_selectorIllEEZZNS1_16scan_by_key_implILNS1_25lookback_scan_determinismE0ELb0ES3_N6thrust23THRUST_200600_302600_NS16reverse_iteratorIPKlEESD_NSA_IPlEElN6hipcub16HIPCUB_304000_NS3MaxENSH_8EqualityElEE10hipError_tPvRmT2_T3_T4_T5_mT6_T7_P12ihipStream_tbENKUlT_T0_E_clISt17integral_constantIbLb0EESZ_IbLb1EEEEDaSV_SW_EUlSV_E_NS1_11comp_targetILNS1_3genE8ELNS1_11target_archE1030ELNS1_3gpuE2ELNS1_3repE0EEENS1_30default_config_static_selectorELNS0_4arch9wavefront6targetE1EEEvT1_
    .private_segment_fixed_size: 0
    .sgpr_count:     6
    .sgpr_spill_count: 0
    .symbol:         _ZN7rocprim17ROCPRIM_400000_NS6detail17trampoline_kernelINS0_14default_configENS1_27scan_by_key_config_selectorIllEEZZNS1_16scan_by_key_implILNS1_25lookback_scan_determinismE0ELb0ES3_N6thrust23THRUST_200600_302600_NS16reverse_iteratorIPKlEESD_NSA_IPlEElN6hipcub16HIPCUB_304000_NS3MaxENSH_8EqualityElEE10hipError_tPvRmT2_T3_T4_T5_mT6_T7_P12ihipStream_tbENKUlT_T0_E_clISt17integral_constantIbLb0EESZ_IbLb1EEEEDaSV_SW_EUlSV_E_NS1_11comp_targetILNS1_3genE8ELNS1_11target_archE1030ELNS1_3gpuE2ELNS1_3repE0EEENS1_30default_config_static_selectorELNS0_4arch9wavefront6targetE1EEEvT1_.kd
    .uniform_work_group_size: 1
    .uses_dynamic_stack: false
    .vgpr_count:     0
    .vgpr_spill_count: 0
    .wavefront_size: 64
  - .agpr_count:     0
    .args:
      - .address_space:  global
        .offset:         0
        .size:           8
        .value_kind:     global_buffer
      - .address_space:  global
        .offset:         8
        .size:           8
        .value_kind:     global_buffer
      - .offset:         16
        .size:           8
        .value_kind:     by_value
      - .offset:         24
        .size:           8
        .value_kind:     by_value
      - .offset:         32
        .size:           4
        .value_kind:     hidden_block_count_x
      - .offset:         36
        .size:           4
        .value_kind:     hidden_block_count_y
      - .offset:         40
        .size:           4
        .value_kind:     hidden_block_count_z
      - .offset:         44
        .size:           2
        .value_kind:     hidden_group_size_x
      - .offset:         46
        .size:           2
        .value_kind:     hidden_group_size_y
      - .offset:         48
        .size:           2
        .value_kind:     hidden_group_size_z
      - .offset:         50
        .size:           2
        .value_kind:     hidden_remainder_x
      - .offset:         52
        .size:           2
        .value_kind:     hidden_remainder_y
      - .offset:         54
        .size:           2
        .value_kind:     hidden_remainder_z
      - .offset:         72
        .size:           8
        .value_kind:     hidden_global_offset_x
      - .offset:         80
        .size:           8
        .value_kind:     hidden_global_offset_y
      - .offset:         88
        .size:           8
        .value_kind:     hidden_global_offset_z
      - .offset:         96
        .size:           2
        .value_kind:     hidden_grid_dims
    .group_segment_fixed_size: 0
    .kernarg_segment_align: 8
    .kernarg_segment_size: 288
    .language:       OpenCL C
    .language_version:
      - 2
      - 0
    .max_flat_workgroup_size: 1024
    .name:           _ZN2at6native12_GLOBAL__N_136embedding_renorm_wrap_indices_kernelIiEEvPKT_PS3_ll
    .private_segment_fixed_size: 0
    .sgpr_count:     18
    .sgpr_spill_count: 0
    .symbol:         _ZN2at6native12_GLOBAL__N_136embedding_renorm_wrap_indices_kernelIiEEvPKT_PS3_ll.kd
    .uniform_work_group_size: 1
    .uses_dynamic_stack: false
    .vgpr_count:     6
    .vgpr_spill_count: 0
    .wavefront_size: 64
  - .agpr_count:     0
    .args:
      - .address_space:  global
        .offset:         0
        .size:           8
        .value_kind:     global_buffer
      - .offset:         8
        .size:           4
        .value_kind:     by_value
      - .offset:         12
        .size:           1
        .value_kind:     by_value
      - .offset:         16
        .size:           4
        .value_kind:     by_value
      - .address_space:  global
        .offset:         24
        .size:           8
        .value_kind:     global_buffer
      - .offset:         32
        .size:           4
        .value_kind:     hidden_block_count_x
      - .offset:         36
        .size:           4
        .value_kind:     hidden_block_count_y
      - .offset:         40
        .size:           4
        .value_kind:     hidden_block_count_z
      - .offset:         44
        .size:           2
        .value_kind:     hidden_group_size_x
      - .offset:         46
        .size:           2
        .value_kind:     hidden_group_size_y
      - .offset:         48
        .size:           2
        .value_kind:     hidden_group_size_z
      - .offset:         50
        .size:           2
        .value_kind:     hidden_remainder_x
      - .offset:         52
        .size:           2
        .value_kind:     hidden_remainder_y
      - .offset:         54
        .size:           2
        .value_kind:     hidden_remainder_z
      - .offset:         72
        .size:           8
        .value_kind:     hidden_global_offset_x
      - .offset:         80
        .size:           8
        .value_kind:     hidden_global_offset_y
      - .offset:         88
        .size:           8
        .value_kind:     hidden_global_offset_z
      - .offset:         96
        .size:           2
        .value_kind:     hidden_grid_dims
    .group_segment_fixed_size: 0
    .kernarg_segment_align: 8
    .kernarg_segment_size: 288
    .language:       OpenCL C
    .language_version:
      - 2
      - 0
    .max_flat_workgroup_size: 256
    .name:           _ZN7rocprim17ROCPRIM_400000_NS6detail31init_lookback_scan_state_kernelINS1_19lookback_scan_stateIjLb0ELb1EEENS1_16block_id_wrapperIjLb0EEEEEvT_jT0_jPNS7_10value_typeE
    .private_segment_fixed_size: 0
    .sgpr_count:     15
    .sgpr_spill_count: 0
    .symbol:         _ZN7rocprim17ROCPRIM_400000_NS6detail31init_lookback_scan_state_kernelINS1_19lookback_scan_stateIjLb0ELb1EEENS1_16block_id_wrapperIjLb0EEEEEvT_jT0_jPNS7_10value_typeE.kd
    .uniform_work_group_size: 1
    .uses_dynamic_stack: false
    .vgpr_count:     6
    .vgpr_spill_count: 0
    .wavefront_size: 64
  - .agpr_count:     0
    .args:
      - .offset:         0
        .size:           112
        .value_kind:     by_value
    .group_segment_fixed_size: 0
    .kernarg_segment_align: 8
    .kernarg_segment_size: 112
    .language:       OpenCL C
    .language_version:
      - 2
      - 0
    .max_flat_workgroup_size: 512
    .name:           _ZN7rocprim17ROCPRIM_400000_NS6detail17trampoline_kernelINS0_14default_configENS1_25partition_config_selectorILNS1_17partition_subalgoE8EiNS0_10empty_typeEbEEZZNS1_14partition_implILS5_8ELb0ES3_jPKiPS6_PKS6_NS0_5tupleIJPiS6_EEENSE_IJSB_SB_EEENS0_18inequality_wrapperIN6hipcub16HIPCUB_304000_NS8EqualityEEEPlJS6_EEE10hipError_tPvRmT3_T4_T5_T6_T7_T9_mT8_P12ihipStream_tbDpT10_ENKUlT_T0_E_clISt17integral_constantIbLb0EES17_EEDaS12_S13_EUlS12_E_NS1_11comp_targetILNS1_3genE0ELNS1_11target_archE4294967295ELNS1_3gpuE0ELNS1_3repE0EEENS1_30default_config_static_selectorELNS0_4arch9wavefront6targetE1EEEvT1_
    .private_segment_fixed_size: 0
    .sgpr_count:     6
    .sgpr_spill_count: 0
    .symbol:         _ZN7rocprim17ROCPRIM_400000_NS6detail17trampoline_kernelINS0_14default_configENS1_25partition_config_selectorILNS1_17partition_subalgoE8EiNS0_10empty_typeEbEEZZNS1_14partition_implILS5_8ELb0ES3_jPKiPS6_PKS6_NS0_5tupleIJPiS6_EEENSE_IJSB_SB_EEENS0_18inequality_wrapperIN6hipcub16HIPCUB_304000_NS8EqualityEEEPlJS6_EEE10hipError_tPvRmT3_T4_T5_T6_T7_T9_mT8_P12ihipStream_tbDpT10_ENKUlT_T0_E_clISt17integral_constantIbLb0EES17_EEDaS12_S13_EUlS12_E_NS1_11comp_targetILNS1_3genE0ELNS1_11target_archE4294967295ELNS1_3gpuE0ELNS1_3repE0EEENS1_30default_config_static_selectorELNS0_4arch9wavefront6targetE1EEEvT1_.kd
    .uniform_work_group_size: 1
    .uses_dynamic_stack: false
    .vgpr_count:     0
    .vgpr_spill_count: 0
    .wavefront_size: 64
  - .agpr_count:     0
    .args:
      - .offset:         0
        .size:           112
        .value_kind:     by_value
    .group_segment_fixed_size: 30728
    .kernarg_segment_align: 8
    .kernarg_segment_size: 112
    .language:       OpenCL C
    .language_version:
      - 2
      - 0
    .max_flat_workgroup_size: 512
    .name:           _ZN7rocprim17ROCPRIM_400000_NS6detail17trampoline_kernelINS0_14default_configENS1_25partition_config_selectorILNS1_17partition_subalgoE8EiNS0_10empty_typeEbEEZZNS1_14partition_implILS5_8ELb0ES3_jPKiPS6_PKS6_NS0_5tupleIJPiS6_EEENSE_IJSB_SB_EEENS0_18inequality_wrapperIN6hipcub16HIPCUB_304000_NS8EqualityEEEPlJS6_EEE10hipError_tPvRmT3_T4_T5_T6_T7_T9_mT8_P12ihipStream_tbDpT10_ENKUlT_T0_E_clISt17integral_constantIbLb0EES17_EEDaS12_S13_EUlS12_E_NS1_11comp_targetILNS1_3genE5ELNS1_11target_archE942ELNS1_3gpuE9ELNS1_3repE0EEENS1_30default_config_static_selectorELNS0_4arch9wavefront6targetE1EEEvT1_
    .private_segment_fixed_size: 0
    .sgpr_count:     54
    .sgpr_spill_count: 0
    .symbol:         _ZN7rocprim17ROCPRIM_400000_NS6detail17trampoline_kernelINS0_14default_configENS1_25partition_config_selectorILNS1_17partition_subalgoE8EiNS0_10empty_typeEbEEZZNS1_14partition_implILS5_8ELb0ES3_jPKiPS6_PKS6_NS0_5tupleIJPiS6_EEENSE_IJSB_SB_EEENS0_18inequality_wrapperIN6hipcub16HIPCUB_304000_NS8EqualityEEEPlJS6_EEE10hipError_tPvRmT3_T4_T5_T6_T7_T9_mT8_P12ihipStream_tbDpT10_ENKUlT_T0_E_clISt17integral_constantIbLb0EES17_EEDaS12_S13_EUlS12_E_NS1_11comp_targetILNS1_3genE5ELNS1_11target_archE942ELNS1_3gpuE9ELNS1_3repE0EEENS1_30default_config_static_selectorELNS0_4arch9wavefront6targetE1EEEvT1_.kd
    .uniform_work_group_size: 1
    .uses_dynamic_stack: false
    .vgpr_count:     74
    .vgpr_spill_count: 0
    .wavefront_size: 64
  - .agpr_count:     0
    .args:
      - .offset:         0
        .size:           112
        .value_kind:     by_value
    .group_segment_fixed_size: 0
    .kernarg_segment_align: 8
    .kernarg_segment_size: 112
    .language:       OpenCL C
    .language_version:
      - 2
      - 0
    .max_flat_workgroup_size: 256
    .name:           _ZN7rocprim17ROCPRIM_400000_NS6detail17trampoline_kernelINS0_14default_configENS1_25partition_config_selectorILNS1_17partition_subalgoE8EiNS0_10empty_typeEbEEZZNS1_14partition_implILS5_8ELb0ES3_jPKiPS6_PKS6_NS0_5tupleIJPiS6_EEENSE_IJSB_SB_EEENS0_18inequality_wrapperIN6hipcub16HIPCUB_304000_NS8EqualityEEEPlJS6_EEE10hipError_tPvRmT3_T4_T5_T6_T7_T9_mT8_P12ihipStream_tbDpT10_ENKUlT_T0_E_clISt17integral_constantIbLb0EES17_EEDaS12_S13_EUlS12_E_NS1_11comp_targetILNS1_3genE4ELNS1_11target_archE910ELNS1_3gpuE8ELNS1_3repE0EEENS1_30default_config_static_selectorELNS0_4arch9wavefront6targetE1EEEvT1_
    .private_segment_fixed_size: 0
    .sgpr_count:     6
    .sgpr_spill_count: 0
    .symbol:         _ZN7rocprim17ROCPRIM_400000_NS6detail17trampoline_kernelINS0_14default_configENS1_25partition_config_selectorILNS1_17partition_subalgoE8EiNS0_10empty_typeEbEEZZNS1_14partition_implILS5_8ELb0ES3_jPKiPS6_PKS6_NS0_5tupleIJPiS6_EEENSE_IJSB_SB_EEENS0_18inequality_wrapperIN6hipcub16HIPCUB_304000_NS8EqualityEEEPlJS6_EEE10hipError_tPvRmT3_T4_T5_T6_T7_T9_mT8_P12ihipStream_tbDpT10_ENKUlT_T0_E_clISt17integral_constantIbLb0EES17_EEDaS12_S13_EUlS12_E_NS1_11comp_targetILNS1_3genE4ELNS1_11target_archE910ELNS1_3gpuE8ELNS1_3repE0EEENS1_30default_config_static_selectorELNS0_4arch9wavefront6targetE1EEEvT1_.kd
    .uniform_work_group_size: 1
    .uses_dynamic_stack: false
    .vgpr_count:     0
    .vgpr_spill_count: 0
    .wavefront_size: 64
  - .agpr_count:     0
    .args:
      - .offset:         0
        .size:           112
        .value_kind:     by_value
    .group_segment_fixed_size: 0
    .kernarg_segment_align: 8
    .kernarg_segment_size: 112
    .language:       OpenCL C
    .language_version:
      - 2
      - 0
    .max_flat_workgroup_size: 512
    .name:           _ZN7rocprim17ROCPRIM_400000_NS6detail17trampoline_kernelINS0_14default_configENS1_25partition_config_selectorILNS1_17partition_subalgoE8EiNS0_10empty_typeEbEEZZNS1_14partition_implILS5_8ELb0ES3_jPKiPS6_PKS6_NS0_5tupleIJPiS6_EEENSE_IJSB_SB_EEENS0_18inequality_wrapperIN6hipcub16HIPCUB_304000_NS8EqualityEEEPlJS6_EEE10hipError_tPvRmT3_T4_T5_T6_T7_T9_mT8_P12ihipStream_tbDpT10_ENKUlT_T0_E_clISt17integral_constantIbLb0EES17_EEDaS12_S13_EUlS12_E_NS1_11comp_targetILNS1_3genE3ELNS1_11target_archE908ELNS1_3gpuE7ELNS1_3repE0EEENS1_30default_config_static_selectorELNS0_4arch9wavefront6targetE1EEEvT1_
    .private_segment_fixed_size: 0
    .sgpr_count:     6
    .sgpr_spill_count: 0
    .symbol:         _ZN7rocprim17ROCPRIM_400000_NS6detail17trampoline_kernelINS0_14default_configENS1_25partition_config_selectorILNS1_17partition_subalgoE8EiNS0_10empty_typeEbEEZZNS1_14partition_implILS5_8ELb0ES3_jPKiPS6_PKS6_NS0_5tupleIJPiS6_EEENSE_IJSB_SB_EEENS0_18inequality_wrapperIN6hipcub16HIPCUB_304000_NS8EqualityEEEPlJS6_EEE10hipError_tPvRmT3_T4_T5_T6_T7_T9_mT8_P12ihipStream_tbDpT10_ENKUlT_T0_E_clISt17integral_constantIbLb0EES17_EEDaS12_S13_EUlS12_E_NS1_11comp_targetILNS1_3genE3ELNS1_11target_archE908ELNS1_3gpuE7ELNS1_3repE0EEENS1_30default_config_static_selectorELNS0_4arch9wavefront6targetE1EEEvT1_.kd
    .uniform_work_group_size: 1
    .uses_dynamic_stack: false
    .vgpr_count:     0
    .vgpr_spill_count: 0
    .wavefront_size: 64
  - .agpr_count:     0
    .args:
      - .offset:         0
        .size:           112
        .value_kind:     by_value
    .group_segment_fixed_size: 0
    .kernarg_segment_align: 8
    .kernarg_segment_size: 112
    .language:       OpenCL C
    .language_version:
      - 2
      - 0
    .max_flat_workgroup_size: 256
    .name:           _ZN7rocprim17ROCPRIM_400000_NS6detail17trampoline_kernelINS0_14default_configENS1_25partition_config_selectorILNS1_17partition_subalgoE8EiNS0_10empty_typeEbEEZZNS1_14partition_implILS5_8ELb0ES3_jPKiPS6_PKS6_NS0_5tupleIJPiS6_EEENSE_IJSB_SB_EEENS0_18inequality_wrapperIN6hipcub16HIPCUB_304000_NS8EqualityEEEPlJS6_EEE10hipError_tPvRmT3_T4_T5_T6_T7_T9_mT8_P12ihipStream_tbDpT10_ENKUlT_T0_E_clISt17integral_constantIbLb0EES17_EEDaS12_S13_EUlS12_E_NS1_11comp_targetILNS1_3genE2ELNS1_11target_archE906ELNS1_3gpuE6ELNS1_3repE0EEENS1_30default_config_static_selectorELNS0_4arch9wavefront6targetE1EEEvT1_
    .private_segment_fixed_size: 0
    .sgpr_count:     6
    .sgpr_spill_count: 0
    .symbol:         _ZN7rocprim17ROCPRIM_400000_NS6detail17trampoline_kernelINS0_14default_configENS1_25partition_config_selectorILNS1_17partition_subalgoE8EiNS0_10empty_typeEbEEZZNS1_14partition_implILS5_8ELb0ES3_jPKiPS6_PKS6_NS0_5tupleIJPiS6_EEENSE_IJSB_SB_EEENS0_18inequality_wrapperIN6hipcub16HIPCUB_304000_NS8EqualityEEEPlJS6_EEE10hipError_tPvRmT3_T4_T5_T6_T7_T9_mT8_P12ihipStream_tbDpT10_ENKUlT_T0_E_clISt17integral_constantIbLb0EES17_EEDaS12_S13_EUlS12_E_NS1_11comp_targetILNS1_3genE2ELNS1_11target_archE906ELNS1_3gpuE6ELNS1_3repE0EEENS1_30default_config_static_selectorELNS0_4arch9wavefront6targetE1EEEvT1_.kd
    .uniform_work_group_size: 1
    .uses_dynamic_stack: false
    .vgpr_count:     0
    .vgpr_spill_count: 0
    .wavefront_size: 64
  - .agpr_count:     0
    .args:
      - .offset:         0
        .size:           112
        .value_kind:     by_value
    .group_segment_fixed_size: 0
    .kernarg_segment_align: 8
    .kernarg_segment_size: 112
    .language:       OpenCL C
    .language_version:
      - 2
      - 0
    .max_flat_workgroup_size: 384
    .name:           _ZN7rocprim17ROCPRIM_400000_NS6detail17trampoline_kernelINS0_14default_configENS1_25partition_config_selectorILNS1_17partition_subalgoE8EiNS0_10empty_typeEbEEZZNS1_14partition_implILS5_8ELb0ES3_jPKiPS6_PKS6_NS0_5tupleIJPiS6_EEENSE_IJSB_SB_EEENS0_18inequality_wrapperIN6hipcub16HIPCUB_304000_NS8EqualityEEEPlJS6_EEE10hipError_tPvRmT3_T4_T5_T6_T7_T9_mT8_P12ihipStream_tbDpT10_ENKUlT_T0_E_clISt17integral_constantIbLb0EES17_EEDaS12_S13_EUlS12_E_NS1_11comp_targetILNS1_3genE10ELNS1_11target_archE1200ELNS1_3gpuE4ELNS1_3repE0EEENS1_30default_config_static_selectorELNS0_4arch9wavefront6targetE1EEEvT1_
    .private_segment_fixed_size: 0
    .sgpr_count:     6
    .sgpr_spill_count: 0
    .symbol:         _ZN7rocprim17ROCPRIM_400000_NS6detail17trampoline_kernelINS0_14default_configENS1_25partition_config_selectorILNS1_17partition_subalgoE8EiNS0_10empty_typeEbEEZZNS1_14partition_implILS5_8ELb0ES3_jPKiPS6_PKS6_NS0_5tupleIJPiS6_EEENSE_IJSB_SB_EEENS0_18inequality_wrapperIN6hipcub16HIPCUB_304000_NS8EqualityEEEPlJS6_EEE10hipError_tPvRmT3_T4_T5_T6_T7_T9_mT8_P12ihipStream_tbDpT10_ENKUlT_T0_E_clISt17integral_constantIbLb0EES17_EEDaS12_S13_EUlS12_E_NS1_11comp_targetILNS1_3genE10ELNS1_11target_archE1200ELNS1_3gpuE4ELNS1_3repE0EEENS1_30default_config_static_selectorELNS0_4arch9wavefront6targetE1EEEvT1_.kd
    .uniform_work_group_size: 1
    .uses_dynamic_stack: false
    .vgpr_count:     0
    .vgpr_spill_count: 0
    .wavefront_size: 64
  - .agpr_count:     0
    .args:
      - .offset:         0
        .size:           112
        .value_kind:     by_value
    .group_segment_fixed_size: 0
    .kernarg_segment_align: 8
    .kernarg_segment_size: 112
    .language:       OpenCL C
    .language_version:
      - 2
      - 0
    .max_flat_workgroup_size: 384
    .name:           _ZN7rocprim17ROCPRIM_400000_NS6detail17trampoline_kernelINS0_14default_configENS1_25partition_config_selectorILNS1_17partition_subalgoE8EiNS0_10empty_typeEbEEZZNS1_14partition_implILS5_8ELb0ES3_jPKiPS6_PKS6_NS0_5tupleIJPiS6_EEENSE_IJSB_SB_EEENS0_18inequality_wrapperIN6hipcub16HIPCUB_304000_NS8EqualityEEEPlJS6_EEE10hipError_tPvRmT3_T4_T5_T6_T7_T9_mT8_P12ihipStream_tbDpT10_ENKUlT_T0_E_clISt17integral_constantIbLb0EES17_EEDaS12_S13_EUlS12_E_NS1_11comp_targetILNS1_3genE9ELNS1_11target_archE1100ELNS1_3gpuE3ELNS1_3repE0EEENS1_30default_config_static_selectorELNS0_4arch9wavefront6targetE1EEEvT1_
    .private_segment_fixed_size: 0
    .sgpr_count:     6
    .sgpr_spill_count: 0
    .symbol:         _ZN7rocprim17ROCPRIM_400000_NS6detail17trampoline_kernelINS0_14default_configENS1_25partition_config_selectorILNS1_17partition_subalgoE8EiNS0_10empty_typeEbEEZZNS1_14partition_implILS5_8ELb0ES3_jPKiPS6_PKS6_NS0_5tupleIJPiS6_EEENSE_IJSB_SB_EEENS0_18inequality_wrapperIN6hipcub16HIPCUB_304000_NS8EqualityEEEPlJS6_EEE10hipError_tPvRmT3_T4_T5_T6_T7_T9_mT8_P12ihipStream_tbDpT10_ENKUlT_T0_E_clISt17integral_constantIbLb0EES17_EEDaS12_S13_EUlS12_E_NS1_11comp_targetILNS1_3genE9ELNS1_11target_archE1100ELNS1_3gpuE3ELNS1_3repE0EEENS1_30default_config_static_selectorELNS0_4arch9wavefront6targetE1EEEvT1_.kd
    .uniform_work_group_size: 1
    .uses_dynamic_stack: false
    .vgpr_count:     0
    .vgpr_spill_count: 0
    .wavefront_size: 64
  - .agpr_count:     0
    .args:
      - .offset:         0
        .size:           112
        .value_kind:     by_value
    .group_segment_fixed_size: 0
    .kernarg_segment_align: 8
    .kernarg_segment_size: 112
    .language:       OpenCL C
    .language_version:
      - 2
      - 0
    .max_flat_workgroup_size: 512
    .name:           _ZN7rocprim17ROCPRIM_400000_NS6detail17trampoline_kernelINS0_14default_configENS1_25partition_config_selectorILNS1_17partition_subalgoE8EiNS0_10empty_typeEbEEZZNS1_14partition_implILS5_8ELb0ES3_jPKiPS6_PKS6_NS0_5tupleIJPiS6_EEENSE_IJSB_SB_EEENS0_18inequality_wrapperIN6hipcub16HIPCUB_304000_NS8EqualityEEEPlJS6_EEE10hipError_tPvRmT3_T4_T5_T6_T7_T9_mT8_P12ihipStream_tbDpT10_ENKUlT_T0_E_clISt17integral_constantIbLb0EES17_EEDaS12_S13_EUlS12_E_NS1_11comp_targetILNS1_3genE8ELNS1_11target_archE1030ELNS1_3gpuE2ELNS1_3repE0EEENS1_30default_config_static_selectorELNS0_4arch9wavefront6targetE1EEEvT1_
    .private_segment_fixed_size: 0
    .sgpr_count:     6
    .sgpr_spill_count: 0
    .symbol:         _ZN7rocprim17ROCPRIM_400000_NS6detail17trampoline_kernelINS0_14default_configENS1_25partition_config_selectorILNS1_17partition_subalgoE8EiNS0_10empty_typeEbEEZZNS1_14partition_implILS5_8ELb0ES3_jPKiPS6_PKS6_NS0_5tupleIJPiS6_EEENSE_IJSB_SB_EEENS0_18inequality_wrapperIN6hipcub16HIPCUB_304000_NS8EqualityEEEPlJS6_EEE10hipError_tPvRmT3_T4_T5_T6_T7_T9_mT8_P12ihipStream_tbDpT10_ENKUlT_T0_E_clISt17integral_constantIbLb0EES17_EEDaS12_S13_EUlS12_E_NS1_11comp_targetILNS1_3genE8ELNS1_11target_archE1030ELNS1_3gpuE2ELNS1_3repE0EEENS1_30default_config_static_selectorELNS0_4arch9wavefront6targetE1EEEvT1_.kd
    .uniform_work_group_size: 1
    .uses_dynamic_stack: false
    .vgpr_count:     0
    .vgpr_spill_count: 0
    .wavefront_size: 64
  - .agpr_count:     0
    .args:
      - .offset:         0
        .size:           40
        .value_kind:     by_value
    .group_segment_fixed_size: 0
    .kernarg_segment_align: 8
    .kernarg_segment_size: 40
    .language:       OpenCL C
    .language_version:
      - 2
      - 0
    .max_flat_workgroup_size: 128
    .name:           _ZN7rocprim17ROCPRIM_400000_NS6detail17trampoline_kernelINS0_14default_configENS1_25transform_config_selectorImLb1EEEZNS1_14transform_implILb1ES3_S5_PmPlNS0_8identityIvEEEE10hipError_tT2_T3_mT4_P12ihipStream_tbEUlT_E_NS1_11comp_targetILNS1_3genE0ELNS1_11target_archE4294967295ELNS1_3gpuE0ELNS1_3repE0EEENS1_30default_config_static_selectorELNS0_4arch9wavefront6targetE1EEEvT1_
    .private_segment_fixed_size: 0
    .sgpr_count:     6
    .sgpr_spill_count: 0
    .symbol:         _ZN7rocprim17ROCPRIM_400000_NS6detail17trampoline_kernelINS0_14default_configENS1_25transform_config_selectorImLb1EEEZNS1_14transform_implILb1ES3_S5_PmPlNS0_8identityIvEEEE10hipError_tT2_T3_mT4_P12ihipStream_tbEUlT_E_NS1_11comp_targetILNS1_3genE0ELNS1_11target_archE4294967295ELNS1_3gpuE0ELNS1_3repE0EEENS1_30default_config_static_selectorELNS0_4arch9wavefront6targetE1EEEvT1_.kd
    .uniform_work_group_size: 1
    .uses_dynamic_stack: false
    .vgpr_count:     0
    .vgpr_spill_count: 0
    .wavefront_size: 64
  - .agpr_count:     0
    .args:
      - .offset:         0
        .size:           40
        .value_kind:     by_value
    .group_segment_fixed_size: 0
    .kernarg_segment_align: 8
    .kernarg_segment_size: 40
    .language:       OpenCL C
    .language_version:
      - 2
      - 0
    .max_flat_workgroup_size: 1024
    .name:           _ZN7rocprim17ROCPRIM_400000_NS6detail17trampoline_kernelINS0_14default_configENS1_25transform_config_selectorImLb1EEEZNS1_14transform_implILb1ES3_S5_PmPlNS0_8identityIvEEEE10hipError_tT2_T3_mT4_P12ihipStream_tbEUlT_E_NS1_11comp_targetILNS1_3genE10ELNS1_11target_archE1201ELNS1_3gpuE5ELNS1_3repE0EEENS1_30default_config_static_selectorELNS0_4arch9wavefront6targetE1EEEvT1_
    .private_segment_fixed_size: 0
    .sgpr_count:     6
    .sgpr_spill_count: 0
    .symbol:         _ZN7rocprim17ROCPRIM_400000_NS6detail17trampoline_kernelINS0_14default_configENS1_25transform_config_selectorImLb1EEEZNS1_14transform_implILb1ES3_S5_PmPlNS0_8identityIvEEEE10hipError_tT2_T3_mT4_P12ihipStream_tbEUlT_E_NS1_11comp_targetILNS1_3genE10ELNS1_11target_archE1201ELNS1_3gpuE5ELNS1_3repE0EEENS1_30default_config_static_selectorELNS0_4arch9wavefront6targetE1EEEvT1_.kd
    .uniform_work_group_size: 1
    .uses_dynamic_stack: false
    .vgpr_count:     0
    .vgpr_spill_count: 0
    .wavefront_size: 64
  - .agpr_count:     0
    .args:
      - .offset:         0
        .size:           40
        .value_kind:     by_value
      - .offset:         40
        .size:           4
        .value_kind:     hidden_block_count_x
      - .offset:         44
        .size:           4
        .value_kind:     hidden_block_count_y
      - .offset:         48
        .size:           4
        .value_kind:     hidden_block_count_z
      - .offset:         52
        .size:           2
        .value_kind:     hidden_group_size_x
      - .offset:         54
        .size:           2
        .value_kind:     hidden_group_size_y
      - .offset:         56
        .size:           2
        .value_kind:     hidden_group_size_z
      - .offset:         58
        .size:           2
        .value_kind:     hidden_remainder_x
      - .offset:         60
        .size:           2
        .value_kind:     hidden_remainder_y
      - .offset:         62
        .size:           2
        .value_kind:     hidden_remainder_z
      - .offset:         80
        .size:           8
        .value_kind:     hidden_global_offset_x
      - .offset:         88
        .size:           8
        .value_kind:     hidden_global_offset_y
      - .offset:         96
        .size:           8
        .value_kind:     hidden_global_offset_z
      - .offset:         104
        .size:           2
        .value_kind:     hidden_grid_dims
    .group_segment_fixed_size: 0
    .kernarg_segment_align: 8
    .kernarg_segment_size: 296
    .language:       OpenCL C
    .language_version:
      - 2
      - 0
    .max_flat_workgroup_size: 512
    .name:           _ZN7rocprim17ROCPRIM_400000_NS6detail17trampoline_kernelINS0_14default_configENS1_25transform_config_selectorImLb1EEEZNS1_14transform_implILb1ES3_S5_PmPlNS0_8identityIvEEEE10hipError_tT2_T3_mT4_P12ihipStream_tbEUlT_E_NS1_11comp_targetILNS1_3genE5ELNS1_11target_archE942ELNS1_3gpuE9ELNS1_3repE0EEENS1_30default_config_static_selectorELNS0_4arch9wavefront6targetE1EEEvT1_
    .private_segment_fixed_size: 0
    .sgpr_count:     18
    .sgpr_spill_count: 0
    .symbol:         _ZN7rocprim17ROCPRIM_400000_NS6detail17trampoline_kernelINS0_14default_configENS1_25transform_config_selectorImLb1EEEZNS1_14transform_implILb1ES3_S5_PmPlNS0_8identityIvEEEE10hipError_tT2_T3_mT4_P12ihipStream_tbEUlT_E_NS1_11comp_targetILNS1_3genE5ELNS1_11target_archE942ELNS1_3gpuE9ELNS1_3repE0EEENS1_30default_config_static_selectorELNS0_4arch9wavefront6targetE1EEEvT1_.kd
    .uniform_work_group_size: 1
    .uses_dynamic_stack: false
    .vgpr_count:     8
    .vgpr_spill_count: 0
    .wavefront_size: 64
  - .agpr_count:     0
    .args:
      - .offset:         0
        .size:           40
        .value_kind:     by_value
    .group_segment_fixed_size: 0
    .kernarg_segment_align: 8
    .kernarg_segment_size: 40
    .language:       OpenCL C
    .language_version:
      - 2
      - 0
    .max_flat_workgroup_size: 1024
    .name:           _ZN7rocprim17ROCPRIM_400000_NS6detail17trampoline_kernelINS0_14default_configENS1_25transform_config_selectorImLb1EEEZNS1_14transform_implILb1ES3_S5_PmPlNS0_8identityIvEEEE10hipError_tT2_T3_mT4_P12ihipStream_tbEUlT_E_NS1_11comp_targetILNS1_3genE4ELNS1_11target_archE910ELNS1_3gpuE8ELNS1_3repE0EEENS1_30default_config_static_selectorELNS0_4arch9wavefront6targetE1EEEvT1_
    .private_segment_fixed_size: 0
    .sgpr_count:     6
    .sgpr_spill_count: 0
    .symbol:         _ZN7rocprim17ROCPRIM_400000_NS6detail17trampoline_kernelINS0_14default_configENS1_25transform_config_selectorImLb1EEEZNS1_14transform_implILb1ES3_S5_PmPlNS0_8identityIvEEEE10hipError_tT2_T3_mT4_P12ihipStream_tbEUlT_E_NS1_11comp_targetILNS1_3genE4ELNS1_11target_archE910ELNS1_3gpuE8ELNS1_3repE0EEENS1_30default_config_static_selectorELNS0_4arch9wavefront6targetE1EEEvT1_.kd
    .uniform_work_group_size: 1
    .uses_dynamic_stack: false
    .vgpr_count:     0
    .vgpr_spill_count: 0
    .wavefront_size: 64
  - .agpr_count:     0
    .args:
      - .offset:         0
        .size:           40
        .value_kind:     by_value
    .group_segment_fixed_size: 0
    .kernarg_segment_align: 8
    .kernarg_segment_size: 40
    .language:       OpenCL C
    .language_version:
      - 2
      - 0
    .max_flat_workgroup_size: 128
    .name:           _ZN7rocprim17ROCPRIM_400000_NS6detail17trampoline_kernelINS0_14default_configENS1_25transform_config_selectorImLb1EEEZNS1_14transform_implILb1ES3_S5_PmPlNS0_8identityIvEEEE10hipError_tT2_T3_mT4_P12ihipStream_tbEUlT_E_NS1_11comp_targetILNS1_3genE3ELNS1_11target_archE908ELNS1_3gpuE7ELNS1_3repE0EEENS1_30default_config_static_selectorELNS0_4arch9wavefront6targetE1EEEvT1_
    .private_segment_fixed_size: 0
    .sgpr_count:     6
    .sgpr_spill_count: 0
    .symbol:         _ZN7rocprim17ROCPRIM_400000_NS6detail17trampoline_kernelINS0_14default_configENS1_25transform_config_selectorImLb1EEEZNS1_14transform_implILb1ES3_S5_PmPlNS0_8identityIvEEEE10hipError_tT2_T3_mT4_P12ihipStream_tbEUlT_E_NS1_11comp_targetILNS1_3genE3ELNS1_11target_archE908ELNS1_3gpuE7ELNS1_3repE0EEENS1_30default_config_static_selectorELNS0_4arch9wavefront6targetE1EEEvT1_.kd
    .uniform_work_group_size: 1
    .uses_dynamic_stack: false
    .vgpr_count:     0
    .vgpr_spill_count: 0
    .wavefront_size: 64
  - .agpr_count:     0
    .args:
      - .offset:         0
        .size:           40
        .value_kind:     by_value
    .group_segment_fixed_size: 0
    .kernarg_segment_align: 8
    .kernarg_segment_size: 40
    .language:       OpenCL C
    .language_version:
      - 2
      - 0
    .max_flat_workgroup_size: 512
    .name:           _ZN7rocprim17ROCPRIM_400000_NS6detail17trampoline_kernelINS0_14default_configENS1_25transform_config_selectorImLb1EEEZNS1_14transform_implILb1ES3_S5_PmPlNS0_8identityIvEEEE10hipError_tT2_T3_mT4_P12ihipStream_tbEUlT_E_NS1_11comp_targetILNS1_3genE2ELNS1_11target_archE906ELNS1_3gpuE6ELNS1_3repE0EEENS1_30default_config_static_selectorELNS0_4arch9wavefront6targetE1EEEvT1_
    .private_segment_fixed_size: 0
    .sgpr_count:     6
    .sgpr_spill_count: 0
    .symbol:         _ZN7rocprim17ROCPRIM_400000_NS6detail17trampoline_kernelINS0_14default_configENS1_25transform_config_selectorImLb1EEEZNS1_14transform_implILb1ES3_S5_PmPlNS0_8identityIvEEEE10hipError_tT2_T3_mT4_P12ihipStream_tbEUlT_E_NS1_11comp_targetILNS1_3genE2ELNS1_11target_archE906ELNS1_3gpuE6ELNS1_3repE0EEENS1_30default_config_static_selectorELNS0_4arch9wavefront6targetE1EEEvT1_.kd
    .uniform_work_group_size: 1
    .uses_dynamic_stack: false
    .vgpr_count:     0
    .vgpr_spill_count: 0
    .wavefront_size: 64
  - .agpr_count:     0
    .args:
      - .offset:         0
        .size:           40
        .value_kind:     by_value
    .group_segment_fixed_size: 0
    .kernarg_segment_align: 8
    .kernarg_segment_size: 40
    .language:       OpenCL C
    .language_version:
      - 2
      - 0
    .max_flat_workgroup_size: 1024
    .name:           _ZN7rocprim17ROCPRIM_400000_NS6detail17trampoline_kernelINS0_14default_configENS1_25transform_config_selectorImLb1EEEZNS1_14transform_implILb1ES3_S5_PmPlNS0_8identityIvEEEE10hipError_tT2_T3_mT4_P12ihipStream_tbEUlT_E_NS1_11comp_targetILNS1_3genE9ELNS1_11target_archE1100ELNS1_3gpuE3ELNS1_3repE0EEENS1_30default_config_static_selectorELNS0_4arch9wavefront6targetE1EEEvT1_
    .private_segment_fixed_size: 0
    .sgpr_count:     6
    .sgpr_spill_count: 0
    .symbol:         _ZN7rocprim17ROCPRIM_400000_NS6detail17trampoline_kernelINS0_14default_configENS1_25transform_config_selectorImLb1EEEZNS1_14transform_implILb1ES3_S5_PmPlNS0_8identityIvEEEE10hipError_tT2_T3_mT4_P12ihipStream_tbEUlT_E_NS1_11comp_targetILNS1_3genE9ELNS1_11target_archE1100ELNS1_3gpuE3ELNS1_3repE0EEENS1_30default_config_static_selectorELNS0_4arch9wavefront6targetE1EEEvT1_.kd
    .uniform_work_group_size: 1
    .uses_dynamic_stack: false
    .vgpr_count:     0
    .vgpr_spill_count: 0
    .wavefront_size: 64
  - .agpr_count:     0
    .args:
      - .offset:         0
        .size:           40
        .value_kind:     by_value
    .group_segment_fixed_size: 0
    .kernarg_segment_align: 8
    .kernarg_segment_size: 40
    .language:       OpenCL C
    .language_version:
      - 2
      - 0
    .max_flat_workgroup_size: 1024
    .name:           _ZN7rocprim17ROCPRIM_400000_NS6detail17trampoline_kernelINS0_14default_configENS1_25transform_config_selectorImLb1EEEZNS1_14transform_implILb1ES3_S5_PmPlNS0_8identityIvEEEE10hipError_tT2_T3_mT4_P12ihipStream_tbEUlT_E_NS1_11comp_targetILNS1_3genE8ELNS1_11target_archE1030ELNS1_3gpuE2ELNS1_3repE0EEENS1_30default_config_static_selectorELNS0_4arch9wavefront6targetE1EEEvT1_
    .private_segment_fixed_size: 0
    .sgpr_count:     6
    .sgpr_spill_count: 0
    .symbol:         _ZN7rocprim17ROCPRIM_400000_NS6detail17trampoline_kernelINS0_14default_configENS1_25transform_config_selectorImLb1EEEZNS1_14transform_implILb1ES3_S5_PmPlNS0_8identityIvEEEE10hipError_tT2_T3_mT4_P12ihipStream_tbEUlT_E_NS1_11comp_targetILNS1_3genE8ELNS1_11target_archE1030ELNS1_3gpuE2ELNS1_3repE0EEENS1_30default_config_static_selectorELNS0_4arch9wavefront6targetE1EEEvT1_.kd
    .uniform_work_group_size: 1
    .uses_dynamic_stack: false
    .vgpr_count:     0
    .vgpr_spill_count: 0
    .wavefront_size: 64
  - .agpr_count:     0
    .args:
      - .address_space:  global
        .offset:         0
        .size:           8
        .value_kind:     global_buffer
      - .offset:         8
        .size:           4
        .value_kind:     by_value
      - .address_space:  global
        .offset:         16
        .size:           8
        .value_kind:     global_buffer
      - .offset:         24
        .size:           4
        .value_kind:     by_value
      - .address_space:  global
        .offset:         32
        .size:           8
        .value_kind:     global_buffer
      - .offset:         40
        .size:           4
        .value_kind:     hidden_block_count_x
      - .offset:         44
        .size:           4
        .value_kind:     hidden_block_count_y
      - .offset:         48
        .size:           4
        .value_kind:     hidden_block_count_z
      - .offset:         52
        .size:           2
        .value_kind:     hidden_group_size_x
      - .offset:         54
        .size:           2
        .value_kind:     hidden_group_size_y
      - .offset:         56
        .size:           2
        .value_kind:     hidden_group_size_z
      - .offset:         58
        .size:           2
        .value_kind:     hidden_remainder_x
      - .offset:         60
        .size:           2
        .value_kind:     hidden_remainder_y
      - .offset:         62
        .size:           2
        .value_kind:     hidden_remainder_z
      - .offset:         80
        .size:           8
        .value_kind:     hidden_global_offset_x
      - .offset:         88
        .size:           8
        .value_kind:     hidden_global_offset_y
      - .offset:         96
        .size:           8
        .value_kind:     hidden_global_offset_z
      - .offset:         104
        .size:           2
        .value_kind:     hidden_grid_dims
    .group_segment_fixed_size: 0
    .kernarg_segment_align: 8
    .kernarg_segment_size: 296
    .language:       OpenCL C
    .language_version:
      - 2
      - 0
    .max_flat_workgroup_size: 256
    .name:           _ZN7rocprim17ROCPRIM_400000_NS6detail31init_lookback_scan_state_kernelINS1_19lookback_scan_stateIjLb1ELb1EEENS1_16block_id_wrapperIjLb1EEEEEvT_jT0_jPNS7_10value_typeE
    .private_segment_fixed_size: 0
    .sgpr_count:     20
    .sgpr_spill_count: 0
    .symbol:         _ZN7rocprim17ROCPRIM_400000_NS6detail31init_lookback_scan_state_kernelINS1_19lookback_scan_stateIjLb1ELb1EEENS1_16block_id_wrapperIjLb1EEEEEvT_jT0_jPNS7_10value_typeE.kd
    .uniform_work_group_size: 1
    .uses_dynamic_stack: false
    .vgpr_count:     6
    .vgpr_spill_count: 0
    .wavefront_size: 64
  - .agpr_count:     0
    .args:
      - .offset:         0
        .size:           128
        .value_kind:     by_value
    .group_segment_fixed_size: 0
    .kernarg_segment_align: 8
    .kernarg_segment_size: 128
    .language:       OpenCL C
    .language_version:
      - 2
      - 0
    .max_flat_workgroup_size: 512
    .name:           _ZN7rocprim17ROCPRIM_400000_NS6detail17trampoline_kernelINS0_14default_configENS1_25partition_config_selectorILNS1_17partition_subalgoE8EiNS0_10empty_typeEbEEZZNS1_14partition_implILS5_8ELb0ES3_jPKiPS6_PKS6_NS0_5tupleIJPiS6_EEENSE_IJSB_SB_EEENS0_18inequality_wrapperIN6hipcub16HIPCUB_304000_NS8EqualityEEEPlJS6_EEE10hipError_tPvRmT3_T4_T5_T6_T7_T9_mT8_P12ihipStream_tbDpT10_ENKUlT_T0_E_clISt17integral_constantIbLb1EES17_EEDaS12_S13_EUlS12_E_NS1_11comp_targetILNS1_3genE0ELNS1_11target_archE4294967295ELNS1_3gpuE0ELNS1_3repE0EEENS1_30default_config_static_selectorELNS0_4arch9wavefront6targetE1EEEvT1_
    .private_segment_fixed_size: 0
    .sgpr_count:     6
    .sgpr_spill_count: 0
    .symbol:         _ZN7rocprim17ROCPRIM_400000_NS6detail17trampoline_kernelINS0_14default_configENS1_25partition_config_selectorILNS1_17partition_subalgoE8EiNS0_10empty_typeEbEEZZNS1_14partition_implILS5_8ELb0ES3_jPKiPS6_PKS6_NS0_5tupleIJPiS6_EEENSE_IJSB_SB_EEENS0_18inequality_wrapperIN6hipcub16HIPCUB_304000_NS8EqualityEEEPlJS6_EEE10hipError_tPvRmT3_T4_T5_T6_T7_T9_mT8_P12ihipStream_tbDpT10_ENKUlT_T0_E_clISt17integral_constantIbLb1EES17_EEDaS12_S13_EUlS12_E_NS1_11comp_targetILNS1_3genE0ELNS1_11target_archE4294967295ELNS1_3gpuE0ELNS1_3repE0EEENS1_30default_config_static_selectorELNS0_4arch9wavefront6targetE1EEEvT1_.kd
    .uniform_work_group_size: 1
    .uses_dynamic_stack: false
    .vgpr_count:     0
    .vgpr_spill_count: 0
    .wavefront_size: 64
  - .agpr_count:     0
    .args:
      - .offset:         0
        .size:           128
        .value_kind:     by_value
    .group_segment_fixed_size: 30728
    .kernarg_segment_align: 8
    .kernarg_segment_size: 128
    .language:       OpenCL C
    .language_version:
      - 2
      - 0
    .max_flat_workgroup_size: 512
    .name:           _ZN7rocprim17ROCPRIM_400000_NS6detail17trampoline_kernelINS0_14default_configENS1_25partition_config_selectorILNS1_17partition_subalgoE8EiNS0_10empty_typeEbEEZZNS1_14partition_implILS5_8ELb0ES3_jPKiPS6_PKS6_NS0_5tupleIJPiS6_EEENSE_IJSB_SB_EEENS0_18inequality_wrapperIN6hipcub16HIPCUB_304000_NS8EqualityEEEPlJS6_EEE10hipError_tPvRmT3_T4_T5_T6_T7_T9_mT8_P12ihipStream_tbDpT10_ENKUlT_T0_E_clISt17integral_constantIbLb1EES17_EEDaS12_S13_EUlS12_E_NS1_11comp_targetILNS1_3genE5ELNS1_11target_archE942ELNS1_3gpuE9ELNS1_3repE0EEENS1_30default_config_static_selectorELNS0_4arch9wavefront6targetE1EEEvT1_
    .private_segment_fixed_size: 0
    .sgpr_count:     57
    .sgpr_spill_count: 0
    .symbol:         _ZN7rocprim17ROCPRIM_400000_NS6detail17trampoline_kernelINS0_14default_configENS1_25partition_config_selectorILNS1_17partition_subalgoE8EiNS0_10empty_typeEbEEZZNS1_14partition_implILS5_8ELb0ES3_jPKiPS6_PKS6_NS0_5tupleIJPiS6_EEENSE_IJSB_SB_EEENS0_18inequality_wrapperIN6hipcub16HIPCUB_304000_NS8EqualityEEEPlJS6_EEE10hipError_tPvRmT3_T4_T5_T6_T7_T9_mT8_P12ihipStream_tbDpT10_ENKUlT_T0_E_clISt17integral_constantIbLb1EES17_EEDaS12_S13_EUlS12_E_NS1_11comp_targetILNS1_3genE5ELNS1_11target_archE942ELNS1_3gpuE9ELNS1_3repE0EEENS1_30default_config_static_selectorELNS0_4arch9wavefront6targetE1EEEvT1_.kd
    .uniform_work_group_size: 1
    .uses_dynamic_stack: false
    .vgpr_count:     76
    .vgpr_spill_count: 0
    .wavefront_size: 64
  - .agpr_count:     0
    .args:
      - .offset:         0
        .size:           128
        .value_kind:     by_value
    .group_segment_fixed_size: 0
    .kernarg_segment_align: 8
    .kernarg_segment_size: 128
    .language:       OpenCL C
    .language_version:
      - 2
      - 0
    .max_flat_workgroup_size: 256
    .name:           _ZN7rocprim17ROCPRIM_400000_NS6detail17trampoline_kernelINS0_14default_configENS1_25partition_config_selectorILNS1_17partition_subalgoE8EiNS0_10empty_typeEbEEZZNS1_14partition_implILS5_8ELb0ES3_jPKiPS6_PKS6_NS0_5tupleIJPiS6_EEENSE_IJSB_SB_EEENS0_18inequality_wrapperIN6hipcub16HIPCUB_304000_NS8EqualityEEEPlJS6_EEE10hipError_tPvRmT3_T4_T5_T6_T7_T9_mT8_P12ihipStream_tbDpT10_ENKUlT_T0_E_clISt17integral_constantIbLb1EES17_EEDaS12_S13_EUlS12_E_NS1_11comp_targetILNS1_3genE4ELNS1_11target_archE910ELNS1_3gpuE8ELNS1_3repE0EEENS1_30default_config_static_selectorELNS0_4arch9wavefront6targetE1EEEvT1_
    .private_segment_fixed_size: 0
    .sgpr_count:     6
    .sgpr_spill_count: 0
    .symbol:         _ZN7rocprim17ROCPRIM_400000_NS6detail17trampoline_kernelINS0_14default_configENS1_25partition_config_selectorILNS1_17partition_subalgoE8EiNS0_10empty_typeEbEEZZNS1_14partition_implILS5_8ELb0ES3_jPKiPS6_PKS6_NS0_5tupleIJPiS6_EEENSE_IJSB_SB_EEENS0_18inequality_wrapperIN6hipcub16HIPCUB_304000_NS8EqualityEEEPlJS6_EEE10hipError_tPvRmT3_T4_T5_T6_T7_T9_mT8_P12ihipStream_tbDpT10_ENKUlT_T0_E_clISt17integral_constantIbLb1EES17_EEDaS12_S13_EUlS12_E_NS1_11comp_targetILNS1_3genE4ELNS1_11target_archE910ELNS1_3gpuE8ELNS1_3repE0EEENS1_30default_config_static_selectorELNS0_4arch9wavefront6targetE1EEEvT1_.kd
    .uniform_work_group_size: 1
    .uses_dynamic_stack: false
    .vgpr_count:     0
    .vgpr_spill_count: 0
    .wavefront_size: 64
  - .agpr_count:     0
    .args:
      - .offset:         0
        .size:           128
        .value_kind:     by_value
    .group_segment_fixed_size: 0
    .kernarg_segment_align: 8
    .kernarg_segment_size: 128
    .language:       OpenCL C
    .language_version:
      - 2
      - 0
    .max_flat_workgroup_size: 512
    .name:           _ZN7rocprim17ROCPRIM_400000_NS6detail17trampoline_kernelINS0_14default_configENS1_25partition_config_selectorILNS1_17partition_subalgoE8EiNS0_10empty_typeEbEEZZNS1_14partition_implILS5_8ELb0ES3_jPKiPS6_PKS6_NS0_5tupleIJPiS6_EEENSE_IJSB_SB_EEENS0_18inequality_wrapperIN6hipcub16HIPCUB_304000_NS8EqualityEEEPlJS6_EEE10hipError_tPvRmT3_T4_T5_T6_T7_T9_mT8_P12ihipStream_tbDpT10_ENKUlT_T0_E_clISt17integral_constantIbLb1EES17_EEDaS12_S13_EUlS12_E_NS1_11comp_targetILNS1_3genE3ELNS1_11target_archE908ELNS1_3gpuE7ELNS1_3repE0EEENS1_30default_config_static_selectorELNS0_4arch9wavefront6targetE1EEEvT1_
    .private_segment_fixed_size: 0
    .sgpr_count:     6
    .sgpr_spill_count: 0
    .symbol:         _ZN7rocprim17ROCPRIM_400000_NS6detail17trampoline_kernelINS0_14default_configENS1_25partition_config_selectorILNS1_17partition_subalgoE8EiNS0_10empty_typeEbEEZZNS1_14partition_implILS5_8ELb0ES3_jPKiPS6_PKS6_NS0_5tupleIJPiS6_EEENSE_IJSB_SB_EEENS0_18inequality_wrapperIN6hipcub16HIPCUB_304000_NS8EqualityEEEPlJS6_EEE10hipError_tPvRmT3_T4_T5_T6_T7_T9_mT8_P12ihipStream_tbDpT10_ENKUlT_T0_E_clISt17integral_constantIbLb1EES17_EEDaS12_S13_EUlS12_E_NS1_11comp_targetILNS1_3genE3ELNS1_11target_archE908ELNS1_3gpuE7ELNS1_3repE0EEENS1_30default_config_static_selectorELNS0_4arch9wavefront6targetE1EEEvT1_.kd
    .uniform_work_group_size: 1
    .uses_dynamic_stack: false
    .vgpr_count:     0
    .vgpr_spill_count: 0
    .wavefront_size: 64
  - .agpr_count:     0
    .args:
      - .offset:         0
        .size:           128
        .value_kind:     by_value
    .group_segment_fixed_size: 0
    .kernarg_segment_align: 8
    .kernarg_segment_size: 128
    .language:       OpenCL C
    .language_version:
      - 2
      - 0
    .max_flat_workgroup_size: 256
    .name:           _ZN7rocprim17ROCPRIM_400000_NS6detail17trampoline_kernelINS0_14default_configENS1_25partition_config_selectorILNS1_17partition_subalgoE8EiNS0_10empty_typeEbEEZZNS1_14partition_implILS5_8ELb0ES3_jPKiPS6_PKS6_NS0_5tupleIJPiS6_EEENSE_IJSB_SB_EEENS0_18inequality_wrapperIN6hipcub16HIPCUB_304000_NS8EqualityEEEPlJS6_EEE10hipError_tPvRmT3_T4_T5_T6_T7_T9_mT8_P12ihipStream_tbDpT10_ENKUlT_T0_E_clISt17integral_constantIbLb1EES17_EEDaS12_S13_EUlS12_E_NS1_11comp_targetILNS1_3genE2ELNS1_11target_archE906ELNS1_3gpuE6ELNS1_3repE0EEENS1_30default_config_static_selectorELNS0_4arch9wavefront6targetE1EEEvT1_
    .private_segment_fixed_size: 0
    .sgpr_count:     6
    .sgpr_spill_count: 0
    .symbol:         _ZN7rocprim17ROCPRIM_400000_NS6detail17trampoline_kernelINS0_14default_configENS1_25partition_config_selectorILNS1_17partition_subalgoE8EiNS0_10empty_typeEbEEZZNS1_14partition_implILS5_8ELb0ES3_jPKiPS6_PKS6_NS0_5tupleIJPiS6_EEENSE_IJSB_SB_EEENS0_18inequality_wrapperIN6hipcub16HIPCUB_304000_NS8EqualityEEEPlJS6_EEE10hipError_tPvRmT3_T4_T5_T6_T7_T9_mT8_P12ihipStream_tbDpT10_ENKUlT_T0_E_clISt17integral_constantIbLb1EES17_EEDaS12_S13_EUlS12_E_NS1_11comp_targetILNS1_3genE2ELNS1_11target_archE906ELNS1_3gpuE6ELNS1_3repE0EEENS1_30default_config_static_selectorELNS0_4arch9wavefront6targetE1EEEvT1_.kd
    .uniform_work_group_size: 1
    .uses_dynamic_stack: false
    .vgpr_count:     0
    .vgpr_spill_count: 0
    .wavefront_size: 64
  - .agpr_count:     0
    .args:
      - .offset:         0
        .size:           128
        .value_kind:     by_value
    .group_segment_fixed_size: 0
    .kernarg_segment_align: 8
    .kernarg_segment_size: 128
    .language:       OpenCL C
    .language_version:
      - 2
      - 0
    .max_flat_workgroup_size: 384
    .name:           _ZN7rocprim17ROCPRIM_400000_NS6detail17trampoline_kernelINS0_14default_configENS1_25partition_config_selectorILNS1_17partition_subalgoE8EiNS0_10empty_typeEbEEZZNS1_14partition_implILS5_8ELb0ES3_jPKiPS6_PKS6_NS0_5tupleIJPiS6_EEENSE_IJSB_SB_EEENS0_18inequality_wrapperIN6hipcub16HIPCUB_304000_NS8EqualityEEEPlJS6_EEE10hipError_tPvRmT3_T4_T5_T6_T7_T9_mT8_P12ihipStream_tbDpT10_ENKUlT_T0_E_clISt17integral_constantIbLb1EES17_EEDaS12_S13_EUlS12_E_NS1_11comp_targetILNS1_3genE10ELNS1_11target_archE1200ELNS1_3gpuE4ELNS1_3repE0EEENS1_30default_config_static_selectorELNS0_4arch9wavefront6targetE1EEEvT1_
    .private_segment_fixed_size: 0
    .sgpr_count:     6
    .sgpr_spill_count: 0
    .symbol:         _ZN7rocprim17ROCPRIM_400000_NS6detail17trampoline_kernelINS0_14default_configENS1_25partition_config_selectorILNS1_17partition_subalgoE8EiNS0_10empty_typeEbEEZZNS1_14partition_implILS5_8ELb0ES3_jPKiPS6_PKS6_NS0_5tupleIJPiS6_EEENSE_IJSB_SB_EEENS0_18inequality_wrapperIN6hipcub16HIPCUB_304000_NS8EqualityEEEPlJS6_EEE10hipError_tPvRmT3_T4_T5_T6_T7_T9_mT8_P12ihipStream_tbDpT10_ENKUlT_T0_E_clISt17integral_constantIbLb1EES17_EEDaS12_S13_EUlS12_E_NS1_11comp_targetILNS1_3genE10ELNS1_11target_archE1200ELNS1_3gpuE4ELNS1_3repE0EEENS1_30default_config_static_selectorELNS0_4arch9wavefront6targetE1EEEvT1_.kd
    .uniform_work_group_size: 1
    .uses_dynamic_stack: false
    .vgpr_count:     0
    .vgpr_spill_count: 0
    .wavefront_size: 64
  - .agpr_count:     0
    .args:
      - .offset:         0
        .size:           128
        .value_kind:     by_value
    .group_segment_fixed_size: 0
    .kernarg_segment_align: 8
    .kernarg_segment_size: 128
    .language:       OpenCL C
    .language_version:
      - 2
      - 0
    .max_flat_workgroup_size: 384
    .name:           _ZN7rocprim17ROCPRIM_400000_NS6detail17trampoline_kernelINS0_14default_configENS1_25partition_config_selectorILNS1_17partition_subalgoE8EiNS0_10empty_typeEbEEZZNS1_14partition_implILS5_8ELb0ES3_jPKiPS6_PKS6_NS0_5tupleIJPiS6_EEENSE_IJSB_SB_EEENS0_18inequality_wrapperIN6hipcub16HIPCUB_304000_NS8EqualityEEEPlJS6_EEE10hipError_tPvRmT3_T4_T5_T6_T7_T9_mT8_P12ihipStream_tbDpT10_ENKUlT_T0_E_clISt17integral_constantIbLb1EES17_EEDaS12_S13_EUlS12_E_NS1_11comp_targetILNS1_3genE9ELNS1_11target_archE1100ELNS1_3gpuE3ELNS1_3repE0EEENS1_30default_config_static_selectorELNS0_4arch9wavefront6targetE1EEEvT1_
    .private_segment_fixed_size: 0
    .sgpr_count:     6
    .sgpr_spill_count: 0
    .symbol:         _ZN7rocprim17ROCPRIM_400000_NS6detail17trampoline_kernelINS0_14default_configENS1_25partition_config_selectorILNS1_17partition_subalgoE8EiNS0_10empty_typeEbEEZZNS1_14partition_implILS5_8ELb0ES3_jPKiPS6_PKS6_NS0_5tupleIJPiS6_EEENSE_IJSB_SB_EEENS0_18inequality_wrapperIN6hipcub16HIPCUB_304000_NS8EqualityEEEPlJS6_EEE10hipError_tPvRmT3_T4_T5_T6_T7_T9_mT8_P12ihipStream_tbDpT10_ENKUlT_T0_E_clISt17integral_constantIbLb1EES17_EEDaS12_S13_EUlS12_E_NS1_11comp_targetILNS1_3genE9ELNS1_11target_archE1100ELNS1_3gpuE3ELNS1_3repE0EEENS1_30default_config_static_selectorELNS0_4arch9wavefront6targetE1EEEvT1_.kd
    .uniform_work_group_size: 1
    .uses_dynamic_stack: false
    .vgpr_count:     0
    .vgpr_spill_count: 0
    .wavefront_size: 64
  - .agpr_count:     0
    .args:
      - .offset:         0
        .size:           128
        .value_kind:     by_value
    .group_segment_fixed_size: 0
    .kernarg_segment_align: 8
    .kernarg_segment_size: 128
    .language:       OpenCL C
    .language_version:
      - 2
      - 0
    .max_flat_workgroup_size: 512
    .name:           _ZN7rocprim17ROCPRIM_400000_NS6detail17trampoline_kernelINS0_14default_configENS1_25partition_config_selectorILNS1_17partition_subalgoE8EiNS0_10empty_typeEbEEZZNS1_14partition_implILS5_8ELb0ES3_jPKiPS6_PKS6_NS0_5tupleIJPiS6_EEENSE_IJSB_SB_EEENS0_18inequality_wrapperIN6hipcub16HIPCUB_304000_NS8EqualityEEEPlJS6_EEE10hipError_tPvRmT3_T4_T5_T6_T7_T9_mT8_P12ihipStream_tbDpT10_ENKUlT_T0_E_clISt17integral_constantIbLb1EES17_EEDaS12_S13_EUlS12_E_NS1_11comp_targetILNS1_3genE8ELNS1_11target_archE1030ELNS1_3gpuE2ELNS1_3repE0EEENS1_30default_config_static_selectorELNS0_4arch9wavefront6targetE1EEEvT1_
    .private_segment_fixed_size: 0
    .sgpr_count:     6
    .sgpr_spill_count: 0
    .symbol:         _ZN7rocprim17ROCPRIM_400000_NS6detail17trampoline_kernelINS0_14default_configENS1_25partition_config_selectorILNS1_17partition_subalgoE8EiNS0_10empty_typeEbEEZZNS1_14partition_implILS5_8ELb0ES3_jPKiPS6_PKS6_NS0_5tupleIJPiS6_EEENSE_IJSB_SB_EEENS0_18inequality_wrapperIN6hipcub16HIPCUB_304000_NS8EqualityEEEPlJS6_EEE10hipError_tPvRmT3_T4_T5_T6_T7_T9_mT8_P12ihipStream_tbDpT10_ENKUlT_T0_E_clISt17integral_constantIbLb1EES17_EEDaS12_S13_EUlS12_E_NS1_11comp_targetILNS1_3genE8ELNS1_11target_archE1030ELNS1_3gpuE2ELNS1_3repE0EEENS1_30default_config_static_selectorELNS0_4arch9wavefront6targetE1EEEvT1_.kd
    .uniform_work_group_size: 1
    .uses_dynamic_stack: false
    .vgpr_count:     0
    .vgpr_spill_count: 0
    .wavefront_size: 64
  - .agpr_count:     0
    .args:
      - .address_space:  global
        .offset:         0
        .size:           8
        .value_kind:     global_buffer
      - .offset:         8
        .size:           4
        .value_kind:     by_value
      - .offset:         12
        .size:           1
        .value_kind:     by_value
      - .offset:         16
        .size:           4
        .value_kind:     by_value
      - .address_space:  global
        .offset:         24
        .size:           8
        .value_kind:     global_buffer
      - .offset:         32
        .size:           4
        .value_kind:     hidden_block_count_x
      - .offset:         36
        .size:           4
        .value_kind:     hidden_block_count_y
      - .offset:         40
        .size:           4
        .value_kind:     hidden_block_count_z
      - .offset:         44
        .size:           2
        .value_kind:     hidden_group_size_x
      - .offset:         46
        .size:           2
        .value_kind:     hidden_group_size_y
      - .offset:         48
        .size:           2
        .value_kind:     hidden_group_size_z
      - .offset:         50
        .size:           2
        .value_kind:     hidden_remainder_x
      - .offset:         52
        .size:           2
        .value_kind:     hidden_remainder_y
      - .offset:         54
        .size:           2
        .value_kind:     hidden_remainder_z
      - .offset:         72
        .size:           8
        .value_kind:     hidden_global_offset_x
      - .offset:         80
        .size:           8
        .value_kind:     hidden_global_offset_y
      - .offset:         88
        .size:           8
        .value_kind:     hidden_global_offset_z
      - .offset:         96
        .size:           2
        .value_kind:     hidden_grid_dims
    .group_segment_fixed_size: 0
    .kernarg_segment_align: 8
    .kernarg_segment_size: 288
    .language:       OpenCL C
    .language_version:
      - 2
      - 0
    .max_flat_workgroup_size: 256
    .name:           _ZN7rocprim17ROCPRIM_400000_NS6detail31init_lookback_scan_state_kernelINS1_19lookback_scan_stateIjLb1ELb1EEENS1_16block_id_wrapperIjLb0EEEEEvT_jT0_jPNS7_10value_typeE
    .private_segment_fixed_size: 0
    .sgpr_count:     18
    .sgpr_spill_count: 0
    .symbol:         _ZN7rocprim17ROCPRIM_400000_NS6detail31init_lookback_scan_state_kernelINS1_19lookback_scan_stateIjLb1ELb1EEENS1_16block_id_wrapperIjLb0EEEEEvT_jT0_jPNS7_10value_typeE.kd
    .uniform_work_group_size: 1
    .uses_dynamic_stack: false
    .vgpr_count:     6
    .vgpr_spill_count: 0
    .wavefront_size: 64
  - .agpr_count:     0
    .args:
      - .offset:         0
        .size:           112
        .value_kind:     by_value
    .group_segment_fixed_size: 0
    .kernarg_segment_align: 8
    .kernarg_segment_size: 112
    .language:       OpenCL C
    .language_version:
      - 2
      - 0
    .max_flat_workgroup_size: 512
    .name:           _ZN7rocprim17ROCPRIM_400000_NS6detail17trampoline_kernelINS0_14default_configENS1_25partition_config_selectorILNS1_17partition_subalgoE8EiNS0_10empty_typeEbEEZZNS1_14partition_implILS5_8ELb0ES3_jPKiPS6_PKS6_NS0_5tupleIJPiS6_EEENSE_IJSB_SB_EEENS0_18inequality_wrapperIN6hipcub16HIPCUB_304000_NS8EqualityEEEPlJS6_EEE10hipError_tPvRmT3_T4_T5_T6_T7_T9_mT8_P12ihipStream_tbDpT10_ENKUlT_T0_E_clISt17integral_constantIbLb1EES16_IbLb0EEEEDaS12_S13_EUlS12_E_NS1_11comp_targetILNS1_3genE0ELNS1_11target_archE4294967295ELNS1_3gpuE0ELNS1_3repE0EEENS1_30default_config_static_selectorELNS0_4arch9wavefront6targetE1EEEvT1_
    .private_segment_fixed_size: 0
    .sgpr_count:     6
    .sgpr_spill_count: 0
    .symbol:         _ZN7rocprim17ROCPRIM_400000_NS6detail17trampoline_kernelINS0_14default_configENS1_25partition_config_selectorILNS1_17partition_subalgoE8EiNS0_10empty_typeEbEEZZNS1_14partition_implILS5_8ELb0ES3_jPKiPS6_PKS6_NS0_5tupleIJPiS6_EEENSE_IJSB_SB_EEENS0_18inequality_wrapperIN6hipcub16HIPCUB_304000_NS8EqualityEEEPlJS6_EEE10hipError_tPvRmT3_T4_T5_T6_T7_T9_mT8_P12ihipStream_tbDpT10_ENKUlT_T0_E_clISt17integral_constantIbLb1EES16_IbLb0EEEEDaS12_S13_EUlS12_E_NS1_11comp_targetILNS1_3genE0ELNS1_11target_archE4294967295ELNS1_3gpuE0ELNS1_3repE0EEENS1_30default_config_static_selectorELNS0_4arch9wavefront6targetE1EEEvT1_.kd
    .uniform_work_group_size: 1
    .uses_dynamic_stack: false
    .vgpr_count:     0
    .vgpr_spill_count: 0
    .wavefront_size: 64
  - .agpr_count:     0
    .args:
      - .offset:         0
        .size:           112
        .value_kind:     by_value
    .group_segment_fixed_size: 30728
    .kernarg_segment_align: 8
    .kernarg_segment_size: 112
    .language:       OpenCL C
    .language_version:
      - 2
      - 0
    .max_flat_workgroup_size: 512
    .name:           _ZN7rocprim17ROCPRIM_400000_NS6detail17trampoline_kernelINS0_14default_configENS1_25partition_config_selectorILNS1_17partition_subalgoE8EiNS0_10empty_typeEbEEZZNS1_14partition_implILS5_8ELb0ES3_jPKiPS6_PKS6_NS0_5tupleIJPiS6_EEENSE_IJSB_SB_EEENS0_18inequality_wrapperIN6hipcub16HIPCUB_304000_NS8EqualityEEEPlJS6_EEE10hipError_tPvRmT3_T4_T5_T6_T7_T9_mT8_P12ihipStream_tbDpT10_ENKUlT_T0_E_clISt17integral_constantIbLb1EES16_IbLb0EEEEDaS12_S13_EUlS12_E_NS1_11comp_targetILNS1_3genE5ELNS1_11target_archE942ELNS1_3gpuE9ELNS1_3repE0EEENS1_30default_config_static_selectorELNS0_4arch9wavefront6targetE1EEEvT1_
    .private_segment_fixed_size: 0
    .sgpr_count:     54
    .sgpr_spill_count: 0
    .symbol:         _ZN7rocprim17ROCPRIM_400000_NS6detail17trampoline_kernelINS0_14default_configENS1_25partition_config_selectorILNS1_17partition_subalgoE8EiNS0_10empty_typeEbEEZZNS1_14partition_implILS5_8ELb0ES3_jPKiPS6_PKS6_NS0_5tupleIJPiS6_EEENSE_IJSB_SB_EEENS0_18inequality_wrapperIN6hipcub16HIPCUB_304000_NS8EqualityEEEPlJS6_EEE10hipError_tPvRmT3_T4_T5_T6_T7_T9_mT8_P12ihipStream_tbDpT10_ENKUlT_T0_E_clISt17integral_constantIbLb1EES16_IbLb0EEEEDaS12_S13_EUlS12_E_NS1_11comp_targetILNS1_3genE5ELNS1_11target_archE942ELNS1_3gpuE9ELNS1_3repE0EEENS1_30default_config_static_selectorELNS0_4arch9wavefront6targetE1EEEvT1_.kd
    .uniform_work_group_size: 1
    .uses_dynamic_stack: false
    .vgpr_count:     74
    .vgpr_spill_count: 0
    .wavefront_size: 64
  - .agpr_count:     0
    .args:
      - .offset:         0
        .size:           112
        .value_kind:     by_value
    .group_segment_fixed_size: 0
    .kernarg_segment_align: 8
    .kernarg_segment_size: 112
    .language:       OpenCL C
    .language_version:
      - 2
      - 0
    .max_flat_workgroup_size: 256
    .name:           _ZN7rocprim17ROCPRIM_400000_NS6detail17trampoline_kernelINS0_14default_configENS1_25partition_config_selectorILNS1_17partition_subalgoE8EiNS0_10empty_typeEbEEZZNS1_14partition_implILS5_8ELb0ES3_jPKiPS6_PKS6_NS0_5tupleIJPiS6_EEENSE_IJSB_SB_EEENS0_18inequality_wrapperIN6hipcub16HIPCUB_304000_NS8EqualityEEEPlJS6_EEE10hipError_tPvRmT3_T4_T5_T6_T7_T9_mT8_P12ihipStream_tbDpT10_ENKUlT_T0_E_clISt17integral_constantIbLb1EES16_IbLb0EEEEDaS12_S13_EUlS12_E_NS1_11comp_targetILNS1_3genE4ELNS1_11target_archE910ELNS1_3gpuE8ELNS1_3repE0EEENS1_30default_config_static_selectorELNS0_4arch9wavefront6targetE1EEEvT1_
    .private_segment_fixed_size: 0
    .sgpr_count:     6
    .sgpr_spill_count: 0
    .symbol:         _ZN7rocprim17ROCPRIM_400000_NS6detail17trampoline_kernelINS0_14default_configENS1_25partition_config_selectorILNS1_17partition_subalgoE8EiNS0_10empty_typeEbEEZZNS1_14partition_implILS5_8ELb0ES3_jPKiPS6_PKS6_NS0_5tupleIJPiS6_EEENSE_IJSB_SB_EEENS0_18inequality_wrapperIN6hipcub16HIPCUB_304000_NS8EqualityEEEPlJS6_EEE10hipError_tPvRmT3_T4_T5_T6_T7_T9_mT8_P12ihipStream_tbDpT10_ENKUlT_T0_E_clISt17integral_constantIbLb1EES16_IbLb0EEEEDaS12_S13_EUlS12_E_NS1_11comp_targetILNS1_3genE4ELNS1_11target_archE910ELNS1_3gpuE8ELNS1_3repE0EEENS1_30default_config_static_selectorELNS0_4arch9wavefront6targetE1EEEvT1_.kd
    .uniform_work_group_size: 1
    .uses_dynamic_stack: false
    .vgpr_count:     0
    .vgpr_spill_count: 0
    .wavefront_size: 64
  - .agpr_count:     0
    .args:
      - .offset:         0
        .size:           112
        .value_kind:     by_value
    .group_segment_fixed_size: 0
    .kernarg_segment_align: 8
    .kernarg_segment_size: 112
    .language:       OpenCL C
    .language_version:
      - 2
      - 0
    .max_flat_workgroup_size: 512
    .name:           _ZN7rocprim17ROCPRIM_400000_NS6detail17trampoline_kernelINS0_14default_configENS1_25partition_config_selectorILNS1_17partition_subalgoE8EiNS0_10empty_typeEbEEZZNS1_14partition_implILS5_8ELb0ES3_jPKiPS6_PKS6_NS0_5tupleIJPiS6_EEENSE_IJSB_SB_EEENS0_18inequality_wrapperIN6hipcub16HIPCUB_304000_NS8EqualityEEEPlJS6_EEE10hipError_tPvRmT3_T4_T5_T6_T7_T9_mT8_P12ihipStream_tbDpT10_ENKUlT_T0_E_clISt17integral_constantIbLb1EES16_IbLb0EEEEDaS12_S13_EUlS12_E_NS1_11comp_targetILNS1_3genE3ELNS1_11target_archE908ELNS1_3gpuE7ELNS1_3repE0EEENS1_30default_config_static_selectorELNS0_4arch9wavefront6targetE1EEEvT1_
    .private_segment_fixed_size: 0
    .sgpr_count:     6
    .sgpr_spill_count: 0
    .symbol:         _ZN7rocprim17ROCPRIM_400000_NS6detail17trampoline_kernelINS0_14default_configENS1_25partition_config_selectorILNS1_17partition_subalgoE8EiNS0_10empty_typeEbEEZZNS1_14partition_implILS5_8ELb0ES3_jPKiPS6_PKS6_NS0_5tupleIJPiS6_EEENSE_IJSB_SB_EEENS0_18inequality_wrapperIN6hipcub16HIPCUB_304000_NS8EqualityEEEPlJS6_EEE10hipError_tPvRmT3_T4_T5_T6_T7_T9_mT8_P12ihipStream_tbDpT10_ENKUlT_T0_E_clISt17integral_constantIbLb1EES16_IbLb0EEEEDaS12_S13_EUlS12_E_NS1_11comp_targetILNS1_3genE3ELNS1_11target_archE908ELNS1_3gpuE7ELNS1_3repE0EEENS1_30default_config_static_selectorELNS0_4arch9wavefront6targetE1EEEvT1_.kd
    .uniform_work_group_size: 1
    .uses_dynamic_stack: false
    .vgpr_count:     0
    .vgpr_spill_count: 0
    .wavefront_size: 64
  - .agpr_count:     0
    .args:
      - .offset:         0
        .size:           112
        .value_kind:     by_value
    .group_segment_fixed_size: 0
    .kernarg_segment_align: 8
    .kernarg_segment_size: 112
    .language:       OpenCL C
    .language_version:
      - 2
      - 0
    .max_flat_workgroup_size: 256
    .name:           _ZN7rocprim17ROCPRIM_400000_NS6detail17trampoline_kernelINS0_14default_configENS1_25partition_config_selectorILNS1_17partition_subalgoE8EiNS0_10empty_typeEbEEZZNS1_14partition_implILS5_8ELb0ES3_jPKiPS6_PKS6_NS0_5tupleIJPiS6_EEENSE_IJSB_SB_EEENS0_18inequality_wrapperIN6hipcub16HIPCUB_304000_NS8EqualityEEEPlJS6_EEE10hipError_tPvRmT3_T4_T5_T6_T7_T9_mT8_P12ihipStream_tbDpT10_ENKUlT_T0_E_clISt17integral_constantIbLb1EES16_IbLb0EEEEDaS12_S13_EUlS12_E_NS1_11comp_targetILNS1_3genE2ELNS1_11target_archE906ELNS1_3gpuE6ELNS1_3repE0EEENS1_30default_config_static_selectorELNS0_4arch9wavefront6targetE1EEEvT1_
    .private_segment_fixed_size: 0
    .sgpr_count:     6
    .sgpr_spill_count: 0
    .symbol:         _ZN7rocprim17ROCPRIM_400000_NS6detail17trampoline_kernelINS0_14default_configENS1_25partition_config_selectorILNS1_17partition_subalgoE8EiNS0_10empty_typeEbEEZZNS1_14partition_implILS5_8ELb0ES3_jPKiPS6_PKS6_NS0_5tupleIJPiS6_EEENSE_IJSB_SB_EEENS0_18inequality_wrapperIN6hipcub16HIPCUB_304000_NS8EqualityEEEPlJS6_EEE10hipError_tPvRmT3_T4_T5_T6_T7_T9_mT8_P12ihipStream_tbDpT10_ENKUlT_T0_E_clISt17integral_constantIbLb1EES16_IbLb0EEEEDaS12_S13_EUlS12_E_NS1_11comp_targetILNS1_3genE2ELNS1_11target_archE906ELNS1_3gpuE6ELNS1_3repE0EEENS1_30default_config_static_selectorELNS0_4arch9wavefront6targetE1EEEvT1_.kd
    .uniform_work_group_size: 1
    .uses_dynamic_stack: false
    .vgpr_count:     0
    .vgpr_spill_count: 0
    .wavefront_size: 64
  - .agpr_count:     0
    .args:
      - .offset:         0
        .size:           112
        .value_kind:     by_value
    .group_segment_fixed_size: 0
    .kernarg_segment_align: 8
    .kernarg_segment_size: 112
    .language:       OpenCL C
    .language_version:
      - 2
      - 0
    .max_flat_workgroup_size: 384
    .name:           _ZN7rocprim17ROCPRIM_400000_NS6detail17trampoline_kernelINS0_14default_configENS1_25partition_config_selectorILNS1_17partition_subalgoE8EiNS0_10empty_typeEbEEZZNS1_14partition_implILS5_8ELb0ES3_jPKiPS6_PKS6_NS0_5tupleIJPiS6_EEENSE_IJSB_SB_EEENS0_18inequality_wrapperIN6hipcub16HIPCUB_304000_NS8EqualityEEEPlJS6_EEE10hipError_tPvRmT3_T4_T5_T6_T7_T9_mT8_P12ihipStream_tbDpT10_ENKUlT_T0_E_clISt17integral_constantIbLb1EES16_IbLb0EEEEDaS12_S13_EUlS12_E_NS1_11comp_targetILNS1_3genE10ELNS1_11target_archE1200ELNS1_3gpuE4ELNS1_3repE0EEENS1_30default_config_static_selectorELNS0_4arch9wavefront6targetE1EEEvT1_
    .private_segment_fixed_size: 0
    .sgpr_count:     6
    .sgpr_spill_count: 0
    .symbol:         _ZN7rocprim17ROCPRIM_400000_NS6detail17trampoline_kernelINS0_14default_configENS1_25partition_config_selectorILNS1_17partition_subalgoE8EiNS0_10empty_typeEbEEZZNS1_14partition_implILS5_8ELb0ES3_jPKiPS6_PKS6_NS0_5tupleIJPiS6_EEENSE_IJSB_SB_EEENS0_18inequality_wrapperIN6hipcub16HIPCUB_304000_NS8EqualityEEEPlJS6_EEE10hipError_tPvRmT3_T4_T5_T6_T7_T9_mT8_P12ihipStream_tbDpT10_ENKUlT_T0_E_clISt17integral_constantIbLb1EES16_IbLb0EEEEDaS12_S13_EUlS12_E_NS1_11comp_targetILNS1_3genE10ELNS1_11target_archE1200ELNS1_3gpuE4ELNS1_3repE0EEENS1_30default_config_static_selectorELNS0_4arch9wavefront6targetE1EEEvT1_.kd
    .uniform_work_group_size: 1
    .uses_dynamic_stack: false
    .vgpr_count:     0
    .vgpr_spill_count: 0
    .wavefront_size: 64
  - .agpr_count:     0
    .args:
      - .offset:         0
        .size:           112
        .value_kind:     by_value
    .group_segment_fixed_size: 0
    .kernarg_segment_align: 8
    .kernarg_segment_size: 112
    .language:       OpenCL C
    .language_version:
      - 2
      - 0
    .max_flat_workgroup_size: 384
    .name:           _ZN7rocprim17ROCPRIM_400000_NS6detail17trampoline_kernelINS0_14default_configENS1_25partition_config_selectorILNS1_17partition_subalgoE8EiNS0_10empty_typeEbEEZZNS1_14partition_implILS5_8ELb0ES3_jPKiPS6_PKS6_NS0_5tupleIJPiS6_EEENSE_IJSB_SB_EEENS0_18inequality_wrapperIN6hipcub16HIPCUB_304000_NS8EqualityEEEPlJS6_EEE10hipError_tPvRmT3_T4_T5_T6_T7_T9_mT8_P12ihipStream_tbDpT10_ENKUlT_T0_E_clISt17integral_constantIbLb1EES16_IbLb0EEEEDaS12_S13_EUlS12_E_NS1_11comp_targetILNS1_3genE9ELNS1_11target_archE1100ELNS1_3gpuE3ELNS1_3repE0EEENS1_30default_config_static_selectorELNS0_4arch9wavefront6targetE1EEEvT1_
    .private_segment_fixed_size: 0
    .sgpr_count:     6
    .sgpr_spill_count: 0
    .symbol:         _ZN7rocprim17ROCPRIM_400000_NS6detail17trampoline_kernelINS0_14default_configENS1_25partition_config_selectorILNS1_17partition_subalgoE8EiNS0_10empty_typeEbEEZZNS1_14partition_implILS5_8ELb0ES3_jPKiPS6_PKS6_NS0_5tupleIJPiS6_EEENSE_IJSB_SB_EEENS0_18inequality_wrapperIN6hipcub16HIPCUB_304000_NS8EqualityEEEPlJS6_EEE10hipError_tPvRmT3_T4_T5_T6_T7_T9_mT8_P12ihipStream_tbDpT10_ENKUlT_T0_E_clISt17integral_constantIbLb1EES16_IbLb0EEEEDaS12_S13_EUlS12_E_NS1_11comp_targetILNS1_3genE9ELNS1_11target_archE1100ELNS1_3gpuE3ELNS1_3repE0EEENS1_30default_config_static_selectorELNS0_4arch9wavefront6targetE1EEEvT1_.kd
    .uniform_work_group_size: 1
    .uses_dynamic_stack: false
    .vgpr_count:     0
    .vgpr_spill_count: 0
    .wavefront_size: 64
  - .agpr_count:     0
    .args:
      - .offset:         0
        .size:           112
        .value_kind:     by_value
    .group_segment_fixed_size: 0
    .kernarg_segment_align: 8
    .kernarg_segment_size: 112
    .language:       OpenCL C
    .language_version:
      - 2
      - 0
    .max_flat_workgroup_size: 512
    .name:           _ZN7rocprim17ROCPRIM_400000_NS6detail17trampoline_kernelINS0_14default_configENS1_25partition_config_selectorILNS1_17partition_subalgoE8EiNS0_10empty_typeEbEEZZNS1_14partition_implILS5_8ELb0ES3_jPKiPS6_PKS6_NS0_5tupleIJPiS6_EEENSE_IJSB_SB_EEENS0_18inequality_wrapperIN6hipcub16HIPCUB_304000_NS8EqualityEEEPlJS6_EEE10hipError_tPvRmT3_T4_T5_T6_T7_T9_mT8_P12ihipStream_tbDpT10_ENKUlT_T0_E_clISt17integral_constantIbLb1EES16_IbLb0EEEEDaS12_S13_EUlS12_E_NS1_11comp_targetILNS1_3genE8ELNS1_11target_archE1030ELNS1_3gpuE2ELNS1_3repE0EEENS1_30default_config_static_selectorELNS0_4arch9wavefront6targetE1EEEvT1_
    .private_segment_fixed_size: 0
    .sgpr_count:     6
    .sgpr_spill_count: 0
    .symbol:         _ZN7rocprim17ROCPRIM_400000_NS6detail17trampoline_kernelINS0_14default_configENS1_25partition_config_selectorILNS1_17partition_subalgoE8EiNS0_10empty_typeEbEEZZNS1_14partition_implILS5_8ELb0ES3_jPKiPS6_PKS6_NS0_5tupleIJPiS6_EEENSE_IJSB_SB_EEENS0_18inequality_wrapperIN6hipcub16HIPCUB_304000_NS8EqualityEEEPlJS6_EEE10hipError_tPvRmT3_T4_T5_T6_T7_T9_mT8_P12ihipStream_tbDpT10_ENKUlT_T0_E_clISt17integral_constantIbLb1EES16_IbLb0EEEEDaS12_S13_EUlS12_E_NS1_11comp_targetILNS1_3genE8ELNS1_11target_archE1030ELNS1_3gpuE2ELNS1_3repE0EEENS1_30default_config_static_selectorELNS0_4arch9wavefront6targetE1EEEvT1_.kd
    .uniform_work_group_size: 1
    .uses_dynamic_stack: false
    .vgpr_count:     0
    .vgpr_spill_count: 0
    .wavefront_size: 64
  - .agpr_count:     0
    .args:
      - .address_space:  global
        .offset:         0
        .size:           8
        .value_kind:     global_buffer
      - .offset:         8
        .size:           4
        .value_kind:     by_value
      - .address_space:  global
        .offset:         16
        .size:           8
        .value_kind:     global_buffer
      - .offset:         24
        .size:           4
        .value_kind:     by_value
      - .address_space:  global
        .offset:         32
        .size:           8
        .value_kind:     global_buffer
      - .offset:         40
        .size:           4
        .value_kind:     hidden_block_count_x
      - .offset:         44
        .size:           4
        .value_kind:     hidden_block_count_y
      - .offset:         48
        .size:           4
        .value_kind:     hidden_block_count_z
      - .offset:         52
        .size:           2
        .value_kind:     hidden_group_size_x
      - .offset:         54
        .size:           2
        .value_kind:     hidden_group_size_y
      - .offset:         56
        .size:           2
        .value_kind:     hidden_group_size_z
      - .offset:         58
        .size:           2
        .value_kind:     hidden_remainder_x
      - .offset:         60
        .size:           2
        .value_kind:     hidden_remainder_y
      - .offset:         62
        .size:           2
        .value_kind:     hidden_remainder_z
      - .offset:         80
        .size:           8
        .value_kind:     hidden_global_offset_x
      - .offset:         88
        .size:           8
        .value_kind:     hidden_global_offset_y
      - .offset:         96
        .size:           8
        .value_kind:     hidden_global_offset_z
      - .offset:         104
        .size:           2
        .value_kind:     hidden_grid_dims
    .group_segment_fixed_size: 0
    .kernarg_segment_align: 8
    .kernarg_segment_size: 296
    .language:       OpenCL C
    .language_version:
      - 2
      - 0
    .max_flat_workgroup_size: 256
    .name:           _ZN7rocprim17ROCPRIM_400000_NS6detail31init_lookback_scan_state_kernelINS1_19lookback_scan_stateIjLb0ELb1EEENS1_16block_id_wrapperIjLb1EEEEEvT_jT0_jPNS7_10value_typeE
    .private_segment_fixed_size: 0
    .sgpr_count:     17
    .sgpr_spill_count: 0
    .symbol:         _ZN7rocprim17ROCPRIM_400000_NS6detail31init_lookback_scan_state_kernelINS1_19lookback_scan_stateIjLb0ELb1EEENS1_16block_id_wrapperIjLb1EEEEEvT_jT0_jPNS7_10value_typeE.kd
    .uniform_work_group_size: 1
    .uses_dynamic_stack: false
    .vgpr_count:     6
    .vgpr_spill_count: 0
    .wavefront_size: 64
  - .agpr_count:     0
    .args:
      - .offset:         0
        .size:           128
        .value_kind:     by_value
    .group_segment_fixed_size: 0
    .kernarg_segment_align: 8
    .kernarg_segment_size: 128
    .language:       OpenCL C
    .language_version:
      - 2
      - 0
    .max_flat_workgroup_size: 512
    .name:           _ZN7rocprim17ROCPRIM_400000_NS6detail17trampoline_kernelINS0_14default_configENS1_25partition_config_selectorILNS1_17partition_subalgoE8EiNS0_10empty_typeEbEEZZNS1_14partition_implILS5_8ELb0ES3_jPKiPS6_PKS6_NS0_5tupleIJPiS6_EEENSE_IJSB_SB_EEENS0_18inequality_wrapperIN6hipcub16HIPCUB_304000_NS8EqualityEEEPlJS6_EEE10hipError_tPvRmT3_T4_T5_T6_T7_T9_mT8_P12ihipStream_tbDpT10_ENKUlT_T0_E_clISt17integral_constantIbLb0EES16_IbLb1EEEEDaS12_S13_EUlS12_E_NS1_11comp_targetILNS1_3genE0ELNS1_11target_archE4294967295ELNS1_3gpuE0ELNS1_3repE0EEENS1_30default_config_static_selectorELNS0_4arch9wavefront6targetE1EEEvT1_
    .private_segment_fixed_size: 0
    .sgpr_count:     6
    .sgpr_spill_count: 0
    .symbol:         _ZN7rocprim17ROCPRIM_400000_NS6detail17trampoline_kernelINS0_14default_configENS1_25partition_config_selectorILNS1_17partition_subalgoE8EiNS0_10empty_typeEbEEZZNS1_14partition_implILS5_8ELb0ES3_jPKiPS6_PKS6_NS0_5tupleIJPiS6_EEENSE_IJSB_SB_EEENS0_18inequality_wrapperIN6hipcub16HIPCUB_304000_NS8EqualityEEEPlJS6_EEE10hipError_tPvRmT3_T4_T5_T6_T7_T9_mT8_P12ihipStream_tbDpT10_ENKUlT_T0_E_clISt17integral_constantIbLb0EES16_IbLb1EEEEDaS12_S13_EUlS12_E_NS1_11comp_targetILNS1_3genE0ELNS1_11target_archE4294967295ELNS1_3gpuE0ELNS1_3repE0EEENS1_30default_config_static_selectorELNS0_4arch9wavefront6targetE1EEEvT1_.kd
    .uniform_work_group_size: 1
    .uses_dynamic_stack: false
    .vgpr_count:     0
    .vgpr_spill_count: 0
    .wavefront_size: 64
  - .agpr_count:     0
    .args:
      - .offset:         0
        .size:           128
        .value_kind:     by_value
    .group_segment_fixed_size: 30728
    .kernarg_segment_align: 8
    .kernarg_segment_size: 128
    .language:       OpenCL C
    .language_version:
      - 2
      - 0
    .max_flat_workgroup_size: 512
    .name:           _ZN7rocprim17ROCPRIM_400000_NS6detail17trampoline_kernelINS0_14default_configENS1_25partition_config_selectorILNS1_17partition_subalgoE8EiNS0_10empty_typeEbEEZZNS1_14partition_implILS5_8ELb0ES3_jPKiPS6_PKS6_NS0_5tupleIJPiS6_EEENSE_IJSB_SB_EEENS0_18inequality_wrapperIN6hipcub16HIPCUB_304000_NS8EqualityEEEPlJS6_EEE10hipError_tPvRmT3_T4_T5_T6_T7_T9_mT8_P12ihipStream_tbDpT10_ENKUlT_T0_E_clISt17integral_constantIbLb0EES16_IbLb1EEEEDaS12_S13_EUlS12_E_NS1_11comp_targetILNS1_3genE5ELNS1_11target_archE942ELNS1_3gpuE9ELNS1_3repE0EEENS1_30default_config_static_selectorELNS0_4arch9wavefront6targetE1EEEvT1_
    .private_segment_fixed_size: 0
    .sgpr_count:     57
    .sgpr_spill_count: 0
    .symbol:         _ZN7rocprim17ROCPRIM_400000_NS6detail17trampoline_kernelINS0_14default_configENS1_25partition_config_selectorILNS1_17partition_subalgoE8EiNS0_10empty_typeEbEEZZNS1_14partition_implILS5_8ELb0ES3_jPKiPS6_PKS6_NS0_5tupleIJPiS6_EEENSE_IJSB_SB_EEENS0_18inequality_wrapperIN6hipcub16HIPCUB_304000_NS8EqualityEEEPlJS6_EEE10hipError_tPvRmT3_T4_T5_T6_T7_T9_mT8_P12ihipStream_tbDpT10_ENKUlT_T0_E_clISt17integral_constantIbLb0EES16_IbLb1EEEEDaS12_S13_EUlS12_E_NS1_11comp_targetILNS1_3genE5ELNS1_11target_archE942ELNS1_3gpuE9ELNS1_3repE0EEENS1_30default_config_static_selectorELNS0_4arch9wavefront6targetE1EEEvT1_.kd
    .uniform_work_group_size: 1
    .uses_dynamic_stack: false
    .vgpr_count:     76
    .vgpr_spill_count: 0
    .wavefront_size: 64
  - .agpr_count:     0
    .args:
      - .offset:         0
        .size:           128
        .value_kind:     by_value
    .group_segment_fixed_size: 0
    .kernarg_segment_align: 8
    .kernarg_segment_size: 128
    .language:       OpenCL C
    .language_version:
      - 2
      - 0
    .max_flat_workgroup_size: 256
    .name:           _ZN7rocprim17ROCPRIM_400000_NS6detail17trampoline_kernelINS0_14default_configENS1_25partition_config_selectorILNS1_17partition_subalgoE8EiNS0_10empty_typeEbEEZZNS1_14partition_implILS5_8ELb0ES3_jPKiPS6_PKS6_NS0_5tupleIJPiS6_EEENSE_IJSB_SB_EEENS0_18inequality_wrapperIN6hipcub16HIPCUB_304000_NS8EqualityEEEPlJS6_EEE10hipError_tPvRmT3_T4_T5_T6_T7_T9_mT8_P12ihipStream_tbDpT10_ENKUlT_T0_E_clISt17integral_constantIbLb0EES16_IbLb1EEEEDaS12_S13_EUlS12_E_NS1_11comp_targetILNS1_3genE4ELNS1_11target_archE910ELNS1_3gpuE8ELNS1_3repE0EEENS1_30default_config_static_selectorELNS0_4arch9wavefront6targetE1EEEvT1_
    .private_segment_fixed_size: 0
    .sgpr_count:     6
    .sgpr_spill_count: 0
    .symbol:         _ZN7rocprim17ROCPRIM_400000_NS6detail17trampoline_kernelINS0_14default_configENS1_25partition_config_selectorILNS1_17partition_subalgoE8EiNS0_10empty_typeEbEEZZNS1_14partition_implILS5_8ELb0ES3_jPKiPS6_PKS6_NS0_5tupleIJPiS6_EEENSE_IJSB_SB_EEENS0_18inequality_wrapperIN6hipcub16HIPCUB_304000_NS8EqualityEEEPlJS6_EEE10hipError_tPvRmT3_T4_T5_T6_T7_T9_mT8_P12ihipStream_tbDpT10_ENKUlT_T0_E_clISt17integral_constantIbLb0EES16_IbLb1EEEEDaS12_S13_EUlS12_E_NS1_11comp_targetILNS1_3genE4ELNS1_11target_archE910ELNS1_3gpuE8ELNS1_3repE0EEENS1_30default_config_static_selectorELNS0_4arch9wavefront6targetE1EEEvT1_.kd
    .uniform_work_group_size: 1
    .uses_dynamic_stack: false
    .vgpr_count:     0
    .vgpr_spill_count: 0
    .wavefront_size: 64
  - .agpr_count:     0
    .args:
      - .offset:         0
        .size:           128
        .value_kind:     by_value
    .group_segment_fixed_size: 0
    .kernarg_segment_align: 8
    .kernarg_segment_size: 128
    .language:       OpenCL C
    .language_version:
      - 2
      - 0
    .max_flat_workgroup_size: 512
    .name:           _ZN7rocprim17ROCPRIM_400000_NS6detail17trampoline_kernelINS0_14default_configENS1_25partition_config_selectorILNS1_17partition_subalgoE8EiNS0_10empty_typeEbEEZZNS1_14partition_implILS5_8ELb0ES3_jPKiPS6_PKS6_NS0_5tupleIJPiS6_EEENSE_IJSB_SB_EEENS0_18inequality_wrapperIN6hipcub16HIPCUB_304000_NS8EqualityEEEPlJS6_EEE10hipError_tPvRmT3_T4_T5_T6_T7_T9_mT8_P12ihipStream_tbDpT10_ENKUlT_T0_E_clISt17integral_constantIbLb0EES16_IbLb1EEEEDaS12_S13_EUlS12_E_NS1_11comp_targetILNS1_3genE3ELNS1_11target_archE908ELNS1_3gpuE7ELNS1_3repE0EEENS1_30default_config_static_selectorELNS0_4arch9wavefront6targetE1EEEvT1_
    .private_segment_fixed_size: 0
    .sgpr_count:     6
    .sgpr_spill_count: 0
    .symbol:         _ZN7rocprim17ROCPRIM_400000_NS6detail17trampoline_kernelINS0_14default_configENS1_25partition_config_selectorILNS1_17partition_subalgoE8EiNS0_10empty_typeEbEEZZNS1_14partition_implILS5_8ELb0ES3_jPKiPS6_PKS6_NS0_5tupleIJPiS6_EEENSE_IJSB_SB_EEENS0_18inequality_wrapperIN6hipcub16HIPCUB_304000_NS8EqualityEEEPlJS6_EEE10hipError_tPvRmT3_T4_T5_T6_T7_T9_mT8_P12ihipStream_tbDpT10_ENKUlT_T0_E_clISt17integral_constantIbLb0EES16_IbLb1EEEEDaS12_S13_EUlS12_E_NS1_11comp_targetILNS1_3genE3ELNS1_11target_archE908ELNS1_3gpuE7ELNS1_3repE0EEENS1_30default_config_static_selectorELNS0_4arch9wavefront6targetE1EEEvT1_.kd
    .uniform_work_group_size: 1
    .uses_dynamic_stack: false
    .vgpr_count:     0
    .vgpr_spill_count: 0
    .wavefront_size: 64
  - .agpr_count:     0
    .args:
      - .offset:         0
        .size:           128
        .value_kind:     by_value
    .group_segment_fixed_size: 0
    .kernarg_segment_align: 8
    .kernarg_segment_size: 128
    .language:       OpenCL C
    .language_version:
      - 2
      - 0
    .max_flat_workgroup_size: 256
    .name:           _ZN7rocprim17ROCPRIM_400000_NS6detail17trampoline_kernelINS0_14default_configENS1_25partition_config_selectorILNS1_17partition_subalgoE8EiNS0_10empty_typeEbEEZZNS1_14partition_implILS5_8ELb0ES3_jPKiPS6_PKS6_NS0_5tupleIJPiS6_EEENSE_IJSB_SB_EEENS0_18inequality_wrapperIN6hipcub16HIPCUB_304000_NS8EqualityEEEPlJS6_EEE10hipError_tPvRmT3_T4_T5_T6_T7_T9_mT8_P12ihipStream_tbDpT10_ENKUlT_T0_E_clISt17integral_constantIbLb0EES16_IbLb1EEEEDaS12_S13_EUlS12_E_NS1_11comp_targetILNS1_3genE2ELNS1_11target_archE906ELNS1_3gpuE6ELNS1_3repE0EEENS1_30default_config_static_selectorELNS0_4arch9wavefront6targetE1EEEvT1_
    .private_segment_fixed_size: 0
    .sgpr_count:     6
    .sgpr_spill_count: 0
    .symbol:         _ZN7rocprim17ROCPRIM_400000_NS6detail17trampoline_kernelINS0_14default_configENS1_25partition_config_selectorILNS1_17partition_subalgoE8EiNS0_10empty_typeEbEEZZNS1_14partition_implILS5_8ELb0ES3_jPKiPS6_PKS6_NS0_5tupleIJPiS6_EEENSE_IJSB_SB_EEENS0_18inequality_wrapperIN6hipcub16HIPCUB_304000_NS8EqualityEEEPlJS6_EEE10hipError_tPvRmT3_T4_T5_T6_T7_T9_mT8_P12ihipStream_tbDpT10_ENKUlT_T0_E_clISt17integral_constantIbLb0EES16_IbLb1EEEEDaS12_S13_EUlS12_E_NS1_11comp_targetILNS1_3genE2ELNS1_11target_archE906ELNS1_3gpuE6ELNS1_3repE0EEENS1_30default_config_static_selectorELNS0_4arch9wavefront6targetE1EEEvT1_.kd
    .uniform_work_group_size: 1
    .uses_dynamic_stack: false
    .vgpr_count:     0
    .vgpr_spill_count: 0
    .wavefront_size: 64
  - .agpr_count:     0
    .args:
      - .offset:         0
        .size:           128
        .value_kind:     by_value
    .group_segment_fixed_size: 0
    .kernarg_segment_align: 8
    .kernarg_segment_size: 128
    .language:       OpenCL C
    .language_version:
      - 2
      - 0
    .max_flat_workgroup_size: 384
    .name:           _ZN7rocprim17ROCPRIM_400000_NS6detail17trampoline_kernelINS0_14default_configENS1_25partition_config_selectorILNS1_17partition_subalgoE8EiNS0_10empty_typeEbEEZZNS1_14partition_implILS5_8ELb0ES3_jPKiPS6_PKS6_NS0_5tupleIJPiS6_EEENSE_IJSB_SB_EEENS0_18inequality_wrapperIN6hipcub16HIPCUB_304000_NS8EqualityEEEPlJS6_EEE10hipError_tPvRmT3_T4_T5_T6_T7_T9_mT8_P12ihipStream_tbDpT10_ENKUlT_T0_E_clISt17integral_constantIbLb0EES16_IbLb1EEEEDaS12_S13_EUlS12_E_NS1_11comp_targetILNS1_3genE10ELNS1_11target_archE1200ELNS1_3gpuE4ELNS1_3repE0EEENS1_30default_config_static_selectorELNS0_4arch9wavefront6targetE1EEEvT1_
    .private_segment_fixed_size: 0
    .sgpr_count:     6
    .sgpr_spill_count: 0
    .symbol:         _ZN7rocprim17ROCPRIM_400000_NS6detail17trampoline_kernelINS0_14default_configENS1_25partition_config_selectorILNS1_17partition_subalgoE8EiNS0_10empty_typeEbEEZZNS1_14partition_implILS5_8ELb0ES3_jPKiPS6_PKS6_NS0_5tupleIJPiS6_EEENSE_IJSB_SB_EEENS0_18inequality_wrapperIN6hipcub16HIPCUB_304000_NS8EqualityEEEPlJS6_EEE10hipError_tPvRmT3_T4_T5_T6_T7_T9_mT8_P12ihipStream_tbDpT10_ENKUlT_T0_E_clISt17integral_constantIbLb0EES16_IbLb1EEEEDaS12_S13_EUlS12_E_NS1_11comp_targetILNS1_3genE10ELNS1_11target_archE1200ELNS1_3gpuE4ELNS1_3repE0EEENS1_30default_config_static_selectorELNS0_4arch9wavefront6targetE1EEEvT1_.kd
    .uniform_work_group_size: 1
    .uses_dynamic_stack: false
    .vgpr_count:     0
    .vgpr_spill_count: 0
    .wavefront_size: 64
  - .agpr_count:     0
    .args:
      - .offset:         0
        .size:           128
        .value_kind:     by_value
    .group_segment_fixed_size: 0
    .kernarg_segment_align: 8
    .kernarg_segment_size: 128
    .language:       OpenCL C
    .language_version:
      - 2
      - 0
    .max_flat_workgroup_size: 384
    .name:           _ZN7rocprim17ROCPRIM_400000_NS6detail17trampoline_kernelINS0_14default_configENS1_25partition_config_selectorILNS1_17partition_subalgoE8EiNS0_10empty_typeEbEEZZNS1_14partition_implILS5_8ELb0ES3_jPKiPS6_PKS6_NS0_5tupleIJPiS6_EEENSE_IJSB_SB_EEENS0_18inequality_wrapperIN6hipcub16HIPCUB_304000_NS8EqualityEEEPlJS6_EEE10hipError_tPvRmT3_T4_T5_T6_T7_T9_mT8_P12ihipStream_tbDpT10_ENKUlT_T0_E_clISt17integral_constantIbLb0EES16_IbLb1EEEEDaS12_S13_EUlS12_E_NS1_11comp_targetILNS1_3genE9ELNS1_11target_archE1100ELNS1_3gpuE3ELNS1_3repE0EEENS1_30default_config_static_selectorELNS0_4arch9wavefront6targetE1EEEvT1_
    .private_segment_fixed_size: 0
    .sgpr_count:     6
    .sgpr_spill_count: 0
    .symbol:         _ZN7rocprim17ROCPRIM_400000_NS6detail17trampoline_kernelINS0_14default_configENS1_25partition_config_selectorILNS1_17partition_subalgoE8EiNS0_10empty_typeEbEEZZNS1_14partition_implILS5_8ELb0ES3_jPKiPS6_PKS6_NS0_5tupleIJPiS6_EEENSE_IJSB_SB_EEENS0_18inequality_wrapperIN6hipcub16HIPCUB_304000_NS8EqualityEEEPlJS6_EEE10hipError_tPvRmT3_T4_T5_T6_T7_T9_mT8_P12ihipStream_tbDpT10_ENKUlT_T0_E_clISt17integral_constantIbLb0EES16_IbLb1EEEEDaS12_S13_EUlS12_E_NS1_11comp_targetILNS1_3genE9ELNS1_11target_archE1100ELNS1_3gpuE3ELNS1_3repE0EEENS1_30default_config_static_selectorELNS0_4arch9wavefront6targetE1EEEvT1_.kd
    .uniform_work_group_size: 1
    .uses_dynamic_stack: false
    .vgpr_count:     0
    .vgpr_spill_count: 0
    .wavefront_size: 64
  - .agpr_count:     0
    .args:
      - .offset:         0
        .size:           128
        .value_kind:     by_value
    .group_segment_fixed_size: 0
    .kernarg_segment_align: 8
    .kernarg_segment_size: 128
    .language:       OpenCL C
    .language_version:
      - 2
      - 0
    .max_flat_workgroup_size: 512
    .name:           _ZN7rocprim17ROCPRIM_400000_NS6detail17trampoline_kernelINS0_14default_configENS1_25partition_config_selectorILNS1_17partition_subalgoE8EiNS0_10empty_typeEbEEZZNS1_14partition_implILS5_8ELb0ES3_jPKiPS6_PKS6_NS0_5tupleIJPiS6_EEENSE_IJSB_SB_EEENS0_18inequality_wrapperIN6hipcub16HIPCUB_304000_NS8EqualityEEEPlJS6_EEE10hipError_tPvRmT3_T4_T5_T6_T7_T9_mT8_P12ihipStream_tbDpT10_ENKUlT_T0_E_clISt17integral_constantIbLb0EES16_IbLb1EEEEDaS12_S13_EUlS12_E_NS1_11comp_targetILNS1_3genE8ELNS1_11target_archE1030ELNS1_3gpuE2ELNS1_3repE0EEENS1_30default_config_static_selectorELNS0_4arch9wavefront6targetE1EEEvT1_
    .private_segment_fixed_size: 0
    .sgpr_count:     6
    .sgpr_spill_count: 0
    .symbol:         _ZN7rocprim17ROCPRIM_400000_NS6detail17trampoline_kernelINS0_14default_configENS1_25partition_config_selectorILNS1_17partition_subalgoE8EiNS0_10empty_typeEbEEZZNS1_14partition_implILS5_8ELb0ES3_jPKiPS6_PKS6_NS0_5tupleIJPiS6_EEENSE_IJSB_SB_EEENS0_18inequality_wrapperIN6hipcub16HIPCUB_304000_NS8EqualityEEEPlJS6_EEE10hipError_tPvRmT3_T4_T5_T6_T7_T9_mT8_P12ihipStream_tbDpT10_ENKUlT_T0_E_clISt17integral_constantIbLb0EES16_IbLb1EEEEDaS12_S13_EUlS12_E_NS1_11comp_targetILNS1_3genE8ELNS1_11target_archE1030ELNS1_3gpuE2ELNS1_3repE0EEENS1_30default_config_static_selectorELNS0_4arch9wavefront6targetE1EEEvT1_.kd
    .uniform_work_group_size: 1
    .uses_dynamic_stack: false
    .vgpr_count:     0
    .vgpr_spill_count: 0
    .wavefront_size: 64
  - .agpr_count:     0
    .args:
      - .address_space:  global
        .offset:         0
        .size:           8
        .value_kind:     global_buffer
      - .address_space:  global
        .offset:         8
        .size:           8
        .value_kind:     global_buffer
      - .offset:         16
        .size:           8
        .value_kind:     by_value
      - .offset:         24
        .size:           8
        .value_kind:     by_value
      - .offset:         32
        .size:           8
        .value_kind:     by_value
      - .offset:         40
        .size:           8
        .value_kind:     by_value
      - .offset:         48
        .size:           8
        .value_kind:     by_value
      - .offset:         56
        .size:           8
        .value_kind:     by_value
      - .address_space:  global
        .offset:         64
        .size:           8
        .value_kind:     global_buffer
      - .offset:         72
        .size:           4
        .value_kind:     hidden_block_count_x
      - .offset:         76
        .size:           4
        .value_kind:     hidden_block_count_y
      - .offset:         80
        .size:           4
        .value_kind:     hidden_block_count_z
      - .offset:         84
        .size:           2
        .value_kind:     hidden_group_size_x
      - .offset:         86
        .size:           2
        .value_kind:     hidden_group_size_y
      - .offset:         88
        .size:           2
        .value_kind:     hidden_group_size_z
      - .offset:         90
        .size:           2
        .value_kind:     hidden_remainder_x
      - .offset:         92
        .size:           2
        .value_kind:     hidden_remainder_y
      - .offset:         94
        .size:           2
        .value_kind:     hidden_remainder_z
      - .offset:         112
        .size:           8
        .value_kind:     hidden_global_offset_x
      - .offset:         120
        .size:           8
        .value_kind:     hidden_global_offset_y
      - .offset:         128
        .size:           8
        .value_kind:     hidden_global_offset_z
      - .offset:         136
        .size:           2
        .value_kind:     hidden_grid_dims
      - .offset:         192
        .size:           4
        .value_kind:     hidden_dynamic_lds_size
    .group_segment_fixed_size: 0
    .kernarg_segment_align: 8
    .kernarg_segment_size: 328
    .language:       OpenCL C
    .language_version:
      - 2
      - 0
    .max_flat_workgroup_size: 1024
    .name:           _ZN2at6native12_GLOBAL__N_113renorm_kernelIddKiEEvPT_PT1_T0_S8_llllPKl
    .private_segment_fixed_size: 0
    .sgpr_count:     71
    .sgpr_spill_count: 0
    .symbol:         _ZN2at6native12_GLOBAL__N_113renorm_kernelIddKiEEvPT_PT1_T0_S8_llllPKl.kd
    .uniform_work_group_size: 1
    .uses_dynamic_stack: false
    .vgpr_count:     70
    .vgpr_spill_count: 0
    .wavefront_size: 64
  - .agpr_count:     0
    .args:
      - .address_space:  global
        .offset:         0
        .size:           8
        .value_kind:     global_buffer
      - .address_space:  global
        .offset:         8
        .size:           8
        .value_kind:     global_buffer
      - .offset:         16
        .size:           4
        .value_kind:     by_value
      - .offset:         20
        .size:           4
        .value_kind:     by_value
      - .offset:         24
        .size:           8
        .value_kind:     by_value
      - .offset:         32
        .size:           8
        .value_kind:     by_value
      - .offset:         40
        .size:           8
        .value_kind:     by_value
      - .offset:         48
        .size:           8
        .value_kind:     by_value
      - .address_space:  global
        .offset:         56
        .size:           8
        .value_kind:     global_buffer
      - .offset:         64
        .size:           4
        .value_kind:     hidden_block_count_x
      - .offset:         68
        .size:           4
        .value_kind:     hidden_block_count_y
      - .offset:         72
        .size:           4
        .value_kind:     hidden_block_count_z
      - .offset:         76
        .size:           2
        .value_kind:     hidden_group_size_x
      - .offset:         78
        .size:           2
        .value_kind:     hidden_group_size_y
      - .offset:         80
        .size:           2
        .value_kind:     hidden_group_size_z
      - .offset:         82
        .size:           2
        .value_kind:     hidden_remainder_x
      - .offset:         84
        .size:           2
        .value_kind:     hidden_remainder_y
      - .offset:         86
        .size:           2
        .value_kind:     hidden_remainder_z
      - .offset:         104
        .size:           8
        .value_kind:     hidden_global_offset_x
      - .offset:         112
        .size:           8
        .value_kind:     hidden_global_offset_y
      - .offset:         120
        .size:           8
        .value_kind:     hidden_global_offset_z
      - .offset:         128
        .size:           2
        .value_kind:     hidden_grid_dims
      - .offset:         184
        .size:           4
        .value_kind:     hidden_dynamic_lds_size
    .group_segment_fixed_size: 0
    .kernarg_segment_align: 8
    .kernarg_segment_size: 320
    .language:       OpenCL C
    .language_version:
      - 2
      - 0
    .max_flat_workgroup_size: 1024
    .name:           _ZN2at6native12_GLOBAL__N_113renorm_kernelIffKiEEvPT_PT1_T0_S8_llllPKl
    .private_segment_fixed_size: 0
    .sgpr_count:     48
    .sgpr_spill_count: 0
    .symbol:         _ZN2at6native12_GLOBAL__N_113renorm_kernelIffKiEEvPT_PT1_T0_S8_llllPKl.kd
    .uniform_work_group_size: 1
    .uses_dynamic_stack: false
    .vgpr_count:     29
    .vgpr_spill_count: 0
    .wavefront_size: 64
  - .agpr_count:     0
    .args:
      - .address_space:  global
        .offset:         0
        .size:           8
        .value_kind:     global_buffer
      - .address_space:  global
        .offset:         8
        .size:           8
        .value_kind:     global_buffer
      - .offset:         16
        .size:           4
        .value_kind:     by_value
      - .offset:         20
        .size:           4
        .value_kind:     by_value
      - .offset:         24
        .size:           8
        .value_kind:     by_value
      - .offset:         32
        .size:           8
        .value_kind:     by_value
      - .offset:         40
        .size:           8
        .value_kind:     by_value
      - .offset:         48
        .size:           8
        .value_kind:     by_value
      - .address_space:  global
        .offset:         56
        .size:           8
        .value_kind:     global_buffer
      - .offset:         64
        .size:           4
        .value_kind:     hidden_block_count_x
      - .offset:         68
        .size:           4
        .value_kind:     hidden_block_count_y
      - .offset:         72
        .size:           4
        .value_kind:     hidden_block_count_z
      - .offset:         76
        .size:           2
        .value_kind:     hidden_group_size_x
      - .offset:         78
        .size:           2
        .value_kind:     hidden_group_size_y
      - .offset:         80
        .size:           2
        .value_kind:     hidden_group_size_z
      - .offset:         82
        .size:           2
        .value_kind:     hidden_remainder_x
      - .offset:         84
        .size:           2
        .value_kind:     hidden_remainder_y
      - .offset:         86
        .size:           2
        .value_kind:     hidden_remainder_z
      - .offset:         104
        .size:           8
        .value_kind:     hidden_global_offset_x
      - .offset:         112
        .size:           8
        .value_kind:     hidden_global_offset_y
      - .offset:         120
        .size:           8
        .value_kind:     hidden_global_offset_z
      - .offset:         128
        .size:           2
        .value_kind:     hidden_grid_dims
      - .offset:         184
        .size:           4
        .value_kind:     hidden_dynamic_lds_size
    .group_segment_fixed_size: 0
    .kernarg_segment_align: 8
    .kernarg_segment_size: 320
    .language:       OpenCL C
    .language_version:
      - 2
      - 0
    .max_flat_workgroup_size: 1024
    .name:           _ZN2at6native12_GLOBAL__N_113renorm_kernelIN3c104HalfEfKiEEvPT_PT1_T0_SA_llllPKl
    .private_segment_fixed_size: 0
    .sgpr_count:     48
    .sgpr_spill_count: 0
    .symbol:         _ZN2at6native12_GLOBAL__N_113renorm_kernelIN3c104HalfEfKiEEvPT_PT1_T0_SA_llllPKl.kd
    .uniform_work_group_size: 1
    .uses_dynamic_stack: false
    .vgpr_count:     29
    .vgpr_spill_count: 0
    .wavefront_size: 64
  - .agpr_count:     0
    .args:
      - .address_space:  global
        .offset:         0
        .size:           8
        .value_kind:     global_buffer
      - .address_space:  global
        .offset:         8
        .size:           8
        .value_kind:     global_buffer
      - .offset:         16
        .size:           4
        .value_kind:     by_value
      - .offset:         20
        .size:           4
        .value_kind:     by_value
      - .offset:         24
        .size:           8
        .value_kind:     by_value
      - .offset:         32
        .size:           8
        .value_kind:     by_value
      - .offset:         40
        .size:           8
        .value_kind:     by_value
      - .offset:         48
        .size:           8
        .value_kind:     by_value
      - .address_space:  global
        .offset:         56
        .size:           8
        .value_kind:     global_buffer
      - .offset:         64
        .size:           4
        .value_kind:     hidden_block_count_x
      - .offset:         68
        .size:           4
        .value_kind:     hidden_block_count_y
      - .offset:         72
        .size:           4
        .value_kind:     hidden_block_count_z
      - .offset:         76
        .size:           2
        .value_kind:     hidden_group_size_x
      - .offset:         78
        .size:           2
        .value_kind:     hidden_group_size_y
      - .offset:         80
        .size:           2
        .value_kind:     hidden_group_size_z
      - .offset:         82
        .size:           2
        .value_kind:     hidden_remainder_x
      - .offset:         84
        .size:           2
        .value_kind:     hidden_remainder_y
      - .offset:         86
        .size:           2
        .value_kind:     hidden_remainder_z
      - .offset:         104
        .size:           8
        .value_kind:     hidden_global_offset_x
      - .offset:         112
        .size:           8
        .value_kind:     hidden_global_offset_y
      - .offset:         120
        .size:           8
        .value_kind:     hidden_global_offset_z
      - .offset:         128
        .size:           2
        .value_kind:     hidden_grid_dims
      - .offset:         184
        .size:           4
        .value_kind:     hidden_dynamic_lds_size
    .group_segment_fixed_size: 0
    .kernarg_segment_align: 8
    .kernarg_segment_size: 320
    .language:       OpenCL C
    .language_version:
      - 2
      - 0
    .max_flat_workgroup_size: 1024
    .name:           _ZN2at6native12_GLOBAL__N_113renorm_kernelIN3c108BFloat16EfKiEEvPT_PT1_T0_SA_llllPKl
    .private_segment_fixed_size: 0
    .sgpr_count:     48
    .sgpr_spill_count: 0
    .symbol:         _ZN2at6native12_GLOBAL__N_113renorm_kernelIN3c108BFloat16EfKiEEvPT_PT1_T0_SA_llllPKl.kd
    .uniform_work_group_size: 1
    .uses_dynamic_stack: false
    .vgpr_count:     29
    .vgpr_spill_count: 0
    .wavefront_size: 64
  - .agpr_count:     0
    .args:
      - .address_space:  global
        .offset:         0
        .size:           8
        .value_kind:     global_buffer
      - .address_space:  global
        .offset:         8
        .size:           8
        .value_kind:     global_buffer
      - .offset:         16
        .size:           8
        .value_kind:     by_value
      - .offset:         24
        .size:           8
        .value_kind:     by_value
      - .offset:         32
        .size:           4
        .value_kind:     hidden_block_count_x
      - .offset:         36
        .size:           4
        .value_kind:     hidden_block_count_y
      - .offset:         40
        .size:           4
        .value_kind:     hidden_block_count_z
      - .offset:         44
        .size:           2
        .value_kind:     hidden_group_size_x
      - .offset:         46
        .size:           2
        .value_kind:     hidden_group_size_y
      - .offset:         48
        .size:           2
        .value_kind:     hidden_group_size_z
      - .offset:         50
        .size:           2
        .value_kind:     hidden_remainder_x
      - .offset:         52
        .size:           2
        .value_kind:     hidden_remainder_y
      - .offset:         54
        .size:           2
        .value_kind:     hidden_remainder_z
      - .offset:         72
        .size:           8
        .value_kind:     hidden_global_offset_x
      - .offset:         80
        .size:           8
        .value_kind:     hidden_global_offset_y
      - .offset:         88
        .size:           8
        .value_kind:     hidden_global_offset_z
      - .offset:         96
        .size:           2
        .value_kind:     hidden_grid_dims
    .group_segment_fixed_size: 0
    .kernarg_segment_align: 8
    .kernarg_segment_size: 288
    .language:       OpenCL C
    .language_version:
      - 2
      - 0
    .max_flat_workgroup_size: 1024
    .name:           _ZN2at6native12_GLOBAL__N_136embedding_renorm_wrap_indices_kernelIlEEvPKT_PS3_ll
    .private_segment_fixed_size: 0
    .sgpr_count:     18
    .sgpr_spill_count: 0
    .symbol:         _ZN2at6native12_GLOBAL__N_136embedding_renorm_wrap_indices_kernelIlEEvPKT_PS3_ll.kd
    .uniform_work_group_size: 1
    .uses_dynamic_stack: false
    .vgpr_count:     8
    .vgpr_spill_count: 0
    .wavefront_size: 64
  - .agpr_count:     0
    .args:
      - .offset:         0
        .size:           112
        .value_kind:     by_value
    .group_segment_fixed_size: 0
    .kernarg_segment_align: 8
    .kernarg_segment_size: 112
    .language:       OpenCL C
    .language_version:
      - 2
      - 0
    .max_flat_workgroup_size: 512
    .name:           _ZN7rocprim17ROCPRIM_400000_NS6detail17trampoline_kernelINS0_14default_configENS1_25partition_config_selectorILNS1_17partition_subalgoE8ElNS0_10empty_typeEbEEZZNS1_14partition_implILS5_8ELb0ES3_jPKlPS6_PKS6_NS0_5tupleIJPlS6_EEENSE_IJSB_SB_EEENS0_18inequality_wrapperIN6hipcub16HIPCUB_304000_NS8EqualityEEESF_JS6_EEE10hipError_tPvRmT3_T4_T5_T6_T7_T9_mT8_P12ihipStream_tbDpT10_ENKUlT_T0_E_clISt17integral_constantIbLb0EES16_EEDaS11_S12_EUlS11_E_NS1_11comp_targetILNS1_3genE0ELNS1_11target_archE4294967295ELNS1_3gpuE0ELNS1_3repE0EEENS1_30default_config_static_selectorELNS0_4arch9wavefront6targetE1EEEvT1_
    .private_segment_fixed_size: 0
    .sgpr_count:     6
    .sgpr_spill_count: 0
    .symbol:         _ZN7rocprim17ROCPRIM_400000_NS6detail17trampoline_kernelINS0_14default_configENS1_25partition_config_selectorILNS1_17partition_subalgoE8ElNS0_10empty_typeEbEEZZNS1_14partition_implILS5_8ELb0ES3_jPKlPS6_PKS6_NS0_5tupleIJPlS6_EEENSE_IJSB_SB_EEENS0_18inequality_wrapperIN6hipcub16HIPCUB_304000_NS8EqualityEEESF_JS6_EEE10hipError_tPvRmT3_T4_T5_T6_T7_T9_mT8_P12ihipStream_tbDpT10_ENKUlT_T0_E_clISt17integral_constantIbLb0EES16_EEDaS11_S12_EUlS11_E_NS1_11comp_targetILNS1_3genE0ELNS1_11target_archE4294967295ELNS1_3gpuE0ELNS1_3repE0EEENS1_30default_config_static_selectorELNS0_4arch9wavefront6targetE1EEEvT1_.kd
    .uniform_work_group_size: 1
    .uses_dynamic_stack: false
    .vgpr_count:     0
    .vgpr_spill_count: 0
    .wavefront_size: 64
  - .agpr_count:     0
    .args:
      - .offset:         0
        .size:           112
        .value_kind:     by_value
    .group_segment_fixed_size: 28680
    .kernarg_segment_align: 8
    .kernarg_segment_size: 112
    .language:       OpenCL C
    .language_version:
      - 2
      - 0
    .max_flat_workgroup_size: 512
    .name:           _ZN7rocprim17ROCPRIM_400000_NS6detail17trampoline_kernelINS0_14default_configENS1_25partition_config_selectorILNS1_17partition_subalgoE8ElNS0_10empty_typeEbEEZZNS1_14partition_implILS5_8ELb0ES3_jPKlPS6_PKS6_NS0_5tupleIJPlS6_EEENSE_IJSB_SB_EEENS0_18inequality_wrapperIN6hipcub16HIPCUB_304000_NS8EqualityEEESF_JS6_EEE10hipError_tPvRmT3_T4_T5_T6_T7_T9_mT8_P12ihipStream_tbDpT10_ENKUlT_T0_E_clISt17integral_constantIbLb0EES16_EEDaS11_S12_EUlS11_E_NS1_11comp_targetILNS1_3genE5ELNS1_11target_archE942ELNS1_3gpuE9ELNS1_3repE0EEENS1_30default_config_static_selectorELNS0_4arch9wavefront6targetE1EEEvT1_
    .private_segment_fixed_size: 0
    .sgpr_count:     46
    .sgpr_spill_count: 0
    .symbol:         _ZN7rocprim17ROCPRIM_400000_NS6detail17trampoline_kernelINS0_14default_configENS1_25partition_config_selectorILNS1_17partition_subalgoE8ElNS0_10empty_typeEbEEZZNS1_14partition_implILS5_8ELb0ES3_jPKlPS6_PKS6_NS0_5tupleIJPlS6_EEENSE_IJSB_SB_EEENS0_18inequality_wrapperIN6hipcub16HIPCUB_304000_NS8EqualityEEESF_JS6_EEE10hipError_tPvRmT3_T4_T5_T6_T7_T9_mT8_P12ihipStream_tbDpT10_ENKUlT_T0_E_clISt17integral_constantIbLb0EES16_EEDaS11_S12_EUlS11_E_NS1_11comp_targetILNS1_3genE5ELNS1_11target_archE942ELNS1_3gpuE9ELNS1_3repE0EEENS1_30default_config_static_selectorELNS0_4arch9wavefront6targetE1EEEvT1_.kd
    .uniform_work_group_size: 1
    .uses_dynamic_stack: false
    .vgpr_count:     53
    .vgpr_spill_count: 0
    .wavefront_size: 64
  - .agpr_count:     0
    .args:
      - .offset:         0
        .size:           112
        .value_kind:     by_value
    .group_segment_fixed_size: 0
    .kernarg_segment_align: 8
    .kernarg_segment_size: 112
    .language:       OpenCL C
    .language_version:
      - 2
      - 0
    .max_flat_workgroup_size: 256
    .name:           _ZN7rocprim17ROCPRIM_400000_NS6detail17trampoline_kernelINS0_14default_configENS1_25partition_config_selectorILNS1_17partition_subalgoE8ElNS0_10empty_typeEbEEZZNS1_14partition_implILS5_8ELb0ES3_jPKlPS6_PKS6_NS0_5tupleIJPlS6_EEENSE_IJSB_SB_EEENS0_18inequality_wrapperIN6hipcub16HIPCUB_304000_NS8EqualityEEESF_JS6_EEE10hipError_tPvRmT3_T4_T5_T6_T7_T9_mT8_P12ihipStream_tbDpT10_ENKUlT_T0_E_clISt17integral_constantIbLb0EES16_EEDaS11_S12_EUlS11_E_NS1_11comp_targetILNS1_3genE4ELNS1_11target_archE910ELNS1_3gpuE8ELNS1_3repE0EEENS1_30default_config_static_selectorELNS0_4arch9wavefront6targetE1EEEvT1_
    .private_segment_fixed_size: 0
    .sgpr_count:     6
    .sgpr_spill_count: 0
    .symbol:         _ZN7rocprim17ROCPRIM_400000_NS6detail17trampoline_kernelINS0_14default_configENS1_25partition_config_selectorILNS1_17partition_subalgoE8ElNS0_10empty_typeEbEEZZNS1_14partition_implILS5_8ELb0ES3_jPKlPS6_PKS6_NS0_5tupleIJPlS6_EEENSE_IJSB_SB_EEENS0_18inequality_wrapperIN6hipcub16HIPCUB_304000_NS8EqualityEEESF_JS6_EEE10hipError_tPvRmT3_T4_T5_T6_T7_T9_mT8_P12ihipStream_tbDpT10_ENKUlT_T0_E_clISt17integral_constantIbLb0EES16_EEDaS11_S12_EUlS11_E_NS1_11comp_targetILNS1_3genE4ELNS1_11target_archE910ELNS1_3gpuE8ELNS1_3repE0EEENS1_30default_config_static_selectorELNS0_4arch9wavefront6targetE1EEEvT1_.kd
    .uniform_work_group_size: 1
    .uses_dynamic_stack: false
    .vgpr_count:     0
    .vgpr_spill_count: 0
    .wavefront_size: 64
  - .agpr_count:     0
    .args:
      - .offset:         0
        .size:           112
        .value_kind:     by_value
    .group_segment_fixed_size: 0
    .kernarg_segment_align: 8
    .kernarg_segment_size: 112
    .language:       OpenCL C
    .language_version:
      - 2
      - 0
    .max_flat_workgroup_size: 512
    .name:           _ZN7rocprim17ROCPRIM_400000_NS6detail17trampoline_kernelINS0_14default_configENS1_25partition_config_selectorILNS1_17partition_subalgoE8ElNS0_10empty_typeEbEEZZNS1_14partition_implILS5_8ELb0ES3_jPKlPS6_PKS6_NS0_5tupleIJPlS6_EEENSE_IJSB_SB_EEENS0_18inequality_wrapperIN6hipcub16HIPCUB_304000_NS8EqualityEEESF_JS6_EEE10hipError_tPvRmT3_T4_T5_T6_T7_T9_mT8_P12ihipStream_tbDpT10_ENKUlT_T0_E_clISt17integral_constantIbLb0EES16_EEDaS11_S12_EUlS11_E_NS1_11comp_targetILNS1_3genE3ELNS1_11target_archE908ELNS1_3gpuE7ELNS1_3repE0EEENS1_30default_config_static_selectorELNS0_4arch9wavefront6targetE1EEEvT1_
    .private_segment_fixed_size: 0
    .sgpr_count:     6
    .sgpr_spill_count: 0
    .symbol:         _ZN7rocprim17ROCPRIM_400000_NS6detail17trampoline_kernelINS0_14default_configENS1_25partition_config_selectorILNS1_17partition_subalgoE8ElNS0_10empty_typeEbEEZZNS1_14partition_implILS5_8ELb0ES3_jPKlPS6_PKS6_NS0_5tupleIJPlS6_EEENSE_IJSB_SB_EEENS0_18inequality_wrapperIN6hipcub16HIPCUB_304000_NS8EqualityEEESF_JS6_EEE10hipError_tPvRmT3_T4_T5_T6_T7_T9_mT8_P12ihipStream_tbDpT10_ENKUlT_T0_E_clISt17integral_constantIbLb0EES16_EEDaS11_S12_EUlS11_E_NS1_11comp_targetILNS1_3genE3ELNS1_11target_archE908ELNS1_3gpuE7ELNS1_3repE0EEENS1_30default_config_static_selectorELNS0_4arch9wavefront6targetE1EEEvT1_.kd
    .uniform_work_group_size: 1
    .uses_dynamic_stack: false
    .vgpr_count:     0
    .vgpr_spill_count: 0
    .wavefront_size: 64
  - .agpr_count:     0
    .args:
      - .offset:         0
        .size:           112
        .value_kind:     by_value
    .group_segment_fixed_size: 0
    .kernarg_segment_align: 8
    .kernarg_segment_size: 112
    .language:       OpenCL C
    .language_version:
      - 2
      - 0
    .max_flat_workgroup_size: 256
    .name:           _ZN7rocprim17ROCPRIM_400000_NS6detail17trampoline_kernelINS0_14default_configENS1_25partition_config_selectorILNS1_17partition_subalgoE8ElNS0_10empty_typeEbEEZZNS1_14partition_implILS5_8ELb0ES3_jPKlPS6_PKS6_NS0_5tupleIJPlS6_EEENSE_IJSB_SB_EEENS0_18inequality_wrapperIN6hipcub16HIPCUB_304000_NS8EqualityEEESF_JS6_EEE10hipError_tPvRmT3_T4_T5_T6_T7_T9_mT8_P12ihipStream_tbDpT10_ENKUlT_T0_E_clISt17integral_constantIbLb0EES16_EEDaS11_S12_EUlS11_E_NS1_11comp_targetILNS1_3genE2ELNS1_11target_archE906ELNS1_3gpuE6ELNS1_3repE0EEENS1_30default_config_static_selectorELNS0_4arch9wavefront6targetE1EEEvT1_
    .private_segment_fixed_size: 0
    .sgpr_count:     6
    .sgpr_spill_count: 0
    .symbol:         _ZN7rocprim17ROCPRIM_400000_NS6detail17trampoline_kernelINS0_14default_configENS1_25partition_config_selectorILNS1_17partition_subalgoE8ElNS0_10empty_typeEbEEZZNS1_14partition_implILS5_8ELb0ES3_jPKlPS6_PKS6_NS0_5tupleIJPlS6_EEENSE_IJSB_SB_EEENS0_18inequality_wrapperIN6hipcub16HIPCUB_304000_NS8EqualityEEESF_JS6_EEE10hipError_tPvRmT3_T4_T5_T6_T7_T9_mT8_P12ihipStream_tbDpT10_ENKUlT_T0_E_clISt17integral_constantIbLb0EES16_EEDaS11_S12_EUlS11_E_NS1_11comp_targetILNS1_3genE2ELNS1_11target_archE906ELNS1_3gpuE6ELNS1_3repE0EEENS1_30default_config_static_selectorELNS0_4arch9wavefront6targetE1EEEvT1_.kd
    .uniform_work_group_size: 1
    .uses_dynamic_stack: false
    .vgpr_count:     0
    .vgpr_spill_count: 0
    .wavefront_size: 64
  - .agpr_count:     0
    .args:
      - .offset:         0
        .size:           112
        .value_kind:     by_value
    .group_segment_fixed_size: 0
    .kernarg_segment_align: 8
    .kernarg_segment_size: 112
    .language:       OpenCL C
    .language_version:
      - 2
      - 0
    .max_flat_workgroup_size: 384
    .name:           _ZN7rocprim17ROCPRIM_400000_NS6detail17trampoline_kernelINS0_14default_configENS1_25partition_config_selectorILNS1_17partition_subalgoE8ElNS0_10empty_typeEbEEZZNS1_14partition_implILS5_8ELb0ES3_jPKlPS6_PKS6_NS0_5tupleIJPlS6_EEENSE_IJSB_SB_EEENS0_18inequality_wrapperIN6hipcub16HIPCUB_304000_NS8EqualityEEESF_JS6_EEE10hipError_tPvRmT3_T4_T5_T6_T7_T9_mT8_P12ihipStream_tbDpT10_ENKUlT_T0_E_clISt17integral_constantIbLb0EES16_EEDaS11_S12_EUlS11_E_NS1_11comp_targetILNS1_3genE10ELNS1_11target_archE1200ELNS1_3gpuE4ELNS1_3repE0EEENS1_30default_config_static_selectorELNS0_4arch9wavefront6targetE1EEEvT1_
    .private_segment_fixed_size: 0
    .sgpr_count:     6
    .sgpr_spill_count: 0
    .symbol:         _ZN7rocprim17ROCPRIM_400000_NS6detail17trampoline_kernelINS0_14default_configENS1_25partition_config_selectorILNS1_17partition_subalgoE8ElNS0_10empty_typeEbEEZZNS1_14partition_implILS5_8ELb0ES3_jPKlPS6_PKS6_NS0_5tupleIJPlS6_EEENSE_IJSB_SB_EEENS0_18inequality_wrapperIN6hipcub16HIPCUB_304000_NS8EqualityEEESF_JS6_EEE10hipError_tPvRmT3_T4_T5_T6_T7_T9_mT8_P12ihipStream_tbDpT10_ENKUlT_T0_E_clISt17integral_constantIbLb0EES16_EEDaS11_S12_EUlS11_E_NS1_11comp_targetILNS1_3genE10ELNS1_11target_archE1200ELNS1_3gpuE4ELNS1_3repE0EEENS1_30default_config_static_selectorELNS0_4arch9wavefront6targetE1EEEvT1_.kd
    .uniform_work_group_size: 1
    .uses_dynamic_stack: false
    .vgpr_count:     0
    .vgpr_spill_count: 0
    .wavefront_size: 64
  - .agpr_count:     0
    .args:
      - .offset:         0
        .size:           112
        .value_kind:     by_value
    .group_segment_fixed_size: 0
    .kernarg_segment_align: 8
    .kernarg_segment_size: 112
    .language:       OpenCL C
    .language_version:
      - 2
      - 0
    .max_flat_workgroup_size: 512
    .name:           _ZN7rocprim17ROCPRIM_400000_NS6detail17trampoline_kernelINS0_14default_configENS1_25partition_config_selectorILNS1_17partition_subalgoE8ElNS0_10empty_typeEbEEZZNS1_14partition_implILS5_8ELb0ES3_jPKlPS6_PKS6_NS0_5tupleIJPlS6_EEENSE_IJSB_SB_EEENS0_18inequality_wrapperIN6hipcub16HIPCUB_304000_NS8EqualityEEESF_JS6_EEE10hipError_tPvRmT3_T4_T5_T6_T7_T9_mT8_P12ihipStream_tbDpT10_ENKUlT_T0_E_clISt17integral_constantIbLb0EES16_EEDaS11_S12_EUlS11_E_NS1_11comp_targetILNS1_3genE9ELNS1_11target_archE1100ELNS1_3gpuE3ELNS1_3repE0EEENS1_30default_config_static_selectorELNS0_4arch9wavefront6targetE1EEEvT1_
    .private_segment_fixed_size: 0
    .sgpr_count:     6
    .sgpr_spill_count: 0
    .symbol:         _ZN7rocprim17ROCPRIM_400000_NS6detail17trampoline_kernelINS0_14default_configENS1_25partition_config_selectorILNS1_17partition_subalgoE8ElNS0_10empty_typeEbEEZZNS1_14partition_implILS5_8ELb0ES3_jPKlPS6_PKS6_NS0_5tupleIJPlS6_EEENSE_IJSB_SB_EEENS0_18inequality_wrapperIN6hipcub16HIPCUB_304000_NS8EqualityEEESF_JS6_EEE10hipError_tPvRmT3_T4_T5_T6_T7_T9_mT8_P12ihipStream_tbDpT10_ENKUlT_T0_E_clISt17integral_constantIbLb0EES16_EEDaS11_S12_EUlS11_E_NS1_11comp_targetILNS1_3genE9ELNS1_11target_archE1100ELNS1_3gpuE3ELNS1_3repE0EEENS1_30default_config_static_selectorELNS0_4arch9wavefront6targetE1EEEvT1_.kd
    .uniform_work_group_size: 1
    .uses_dynamic_stack: false
    .vgpr_count:     0
    .vgpr_spill_count: 0
    .wavefront_size: 64
  - .agpr_count:     0
    .args:
      - .offset:         0
        .size:           112
        .value_kind:     by_value
    .group_segment_fixed_size: 0
    .kernarg_segment_align: 8
    .kernarg_segment_size: 112
    .language:       OpenCL C
    .language_version:
      - 2
      - 0
    .max_flat_workgroup_size: 512
    .name:           _ZN7rocprim17ROCPRIM_400000_NS6detail17trampoline_kernelINS0_14default_configENS1_25partition_config_selectorILNS1_17partition_subalgoE8ElNS0_10empty_typeEbEEZZNS1_14partition_implILS5_8ELb0ES3_jPKlPS6_PKS6_NS0_5tupleIJPlS6_EEENSE_IJSB_SB_EEENS0_18inequality_wrapperIN6hipcub16HIPCUB_304000_NS8EqualityEEESF_JS6_EEE10hipError_tPvRmT3_T4_T5_T6_T7_T9_mT8_P12ihipStream_tbDpT10_ENKUlT_T0_E_clISt17integral_constantIbLb0EES16_EEDaS11_S12_EUlS11_E_NS1_11comp_targetILNS1_3genE8ELNS1_11target_archE1030ELNS1_3gpuE2ELNS1_3repE0EEENS1_30default_config_static_selectorELNS0_4arch9wavefront6targetE1EEEvT1_
    .private_segment_fixed_size: 0
    .sgpr_count:     6
    .sgpr_spill_count: 0
    .symbol:         _ZN7rocprim17ROCPRIM_400000_NS6detail17trampoline_kernelINS0_14default_configENS1_25partition_config_selectorILNS1_17partition_subalgoE8ElNS0_10empty_typeEbEEZZNS1_14partition_implILS5_8ELb0ES3_jPKlPS6_PKS6_NS0_5tupleIJPlS6_EEENSE_IJSB_SB_EEENS0_18inequality_wrapperIN6hipcub16HIPCUB_304000_NS8EqualityEEESF_JS6_EEE10hipError_tPvRmT3_T4_T5_T6_T7_T9_mT8_P12ihipStream_tbDpT10_ENKUlT_T0_E_clISt17integral_constantIbLb0EES16_EEDaS11_S12_EUlS11_E_NS1_11comp_targetILNS1_3genE8ELNS1_11target_archE1030ELNS1_3gpuE2ELNS1_3repE0EEENS1_30default_config_static_selectorELNS0_4arch9wavefront6targetE1EEEvT1_.kd
    .uniform_work_group_size: 1
    .uses_dynamic_stack: false
    .vgpr_count:     0
    .vgpr_spill_count: 0
    .wavefront_size: 64
  - .agpr_count:     0
    .args:
      - .offset:         0
        .size:           128
        .value_kind:     by_value
    .group_segment_fixed_size: 0
    .kernarg_segment_align: 8
    .kernarg_segment_size: 128
    .language:       OpenCL C
    .language_version:
      - 2
      - 0
    .max_flat_workgroup_size: 512
    .name:           _ZN7rocprim17ROCPRIM_400000_NS6detail17trampoline_kernelINS0_14default_configENS1_25partition_config_selectorILNS1_17partition_subalgoE8ElNS0_10empty_typeEbEEZZNS1_14partition_implILS5_8ELb0ES3_jPKlPS6_PKS6_NS0_5tupleIJPlS6_EEENSE_IJSB_SB_EEENS0_18inequality_wrapperIN6hipcub16HIPCUB_304000_NS8EqualityEEESF_JS6_EEE10hipError_tPvRmT3_T4_T5_T6_T7_T9_mT8_P12ihipStream_tbDpT10_ENKUlT_T0_E_clISt17integral_constantIbLb1EES16_EEDaS11_S12_EUlS11_E_NS1_11comp_targetILNS1_3genE0ELNS1_11target_archE4294967295ELNS1_3gpuE0ELNS1_3repE0EEENS1_30default_config_static_selectorELNS0_4arch9wavefront6targetE1EEEvT1_
    .private_segment_fixed_size: 0
    .sgpr_count:     6
    .sgpr_spill_count: 0
    .symbol:         _ZN7rocprim17ROCPRIM_400000_NS6detail17trampoline_kernelINS0_14default_configENS1_25partition_config_selectorILNS1_17partition_subalgoE8ElNS0_10empty_typeEbEEZZNS1_14partition_implILS5_8ELb0ES3_jPKlPS6_PKS6_NS0_5tupleIJPlS6_EEENSE_IJSB_SB_EEENS0_18inequality_wrapperIN6hipcub16HIPCUB_304000_NS8EqualityEEESF_JS6_EEE10hipError_tPvRmT3_T4_T5_T6_T7_T9_mT8_P12ihipStream_tbDpT10_ENKUlT_T0_E_clISt17integral_constantIbLb1EES16_EEDaS11_S12_EUlS11_E_NS1_11comp_targetILNS1_3genE0ELNS1_11target_archE4294967295ELNS1_3gpuE0ELNS1_3repE0EEENS1_30default_config_static_selectorELNS0_4arch9wavefront6targetE1EEEvT1_.kd
    .uniform_work_group_size: 1
    .uses_dynamic_stack: false
    .vgpr_count:     0
    .vgpr_spill_count: 0
    .wavefront_size: 64
  - .agpr_count:     0
    .args:
      - .offset:         0
        .size:           128
        .value_kind:     by_value
    .group_segment_fixed_size: 28680
    .kernarg_segment_align: 8
    .kernarg_segment_size: 128
    .language:       OpenCL C
    .language_version:
      - 2
      - 0
    .max_flat_workgroup_size: 512
    .name:           _ZN7rocprim17ROCPRIM_400000_NS6detail17trampoline_kernelINS0_14default_configENS1_25partition_config_selectorILNS1_17partition_subalgoE8ElNS0_10empty_typeEbEEZZNS1_14partition_implILS5_8ELb0ES3_jPKlPS6_PKS6_NS0_5tupleIJPlS6_EEENSE_IJSB_SB_EEENS0_18inequality_wrapperIN6hipcub16HIPCUB_304000_NS8EqualityEEESF_JS6_EEE10hipError_tPvRmT3_T4_T5_T6_T7_T9_mT8_P12ihipStream_tbDpT10_ENKUlT_T0_E_clISt17integral_constantIbLb1EES16_EEDaS11_S12_EUlS11_E_NS1_11comp_targetILNS1_3genE5ELNS1_11target_archE942ELNS1_3gpuE9ELNS1_3repE0EEENS1_30default_config_static_selectorELNS0_4arch9wavefront6targetE1EEEvT1_
    .private_segment_fixed_size: 0
    .sgpr_count:     48
    .sgpr_spill_count: 0
    .symbol:         _ZN7rocprim17ROCPRIM_400000_NS6detail17trampoline_kernelINS0_14default_configENS1_25partition_config_selectorILNS1_17partition_subalgoE8ElNS0_10empty_typeEbEEZZNS1_14partition_implILS5_8ELb0ES3_jPKlPS6_PKS6_NS0_5tupleIJPlS6_EEENSE_IJSB_SB_EEENS0_18inequality_wrapperIN6hipcub16HIPCUB_304000_NS8EqualityEEESF_JS6_EEE10hipError_tPvRmT3_T4_T5_T6_T7_T9_mT8_P12ihipStream_tbDpT10_ENKUlT_T0_E_clISt17integral_constantIbLb1EES16_EEDaS11_S12_EUlS11_E_NS1_11comp_targetILNS1_3genE5ELNS1_11target_archE942ELNS1_3gpuE9ELNS1_3repE0EEENS1_30default_config_static_selectorELNS0_4arch9wavefront6targetE1EEEvT1_.kd
    .uniform_work_group_size: 1
    .uses_dynamic_stack: false
    .vgpr_count:     53
    .vgpr_spill_count: 0
    .wavefront_size: 64
  - .agpr_count:     0
    .args:
      - .offset:         0
        .size:           128
        .value_kind:     by_value
    .group_segment_fixed_size: 0
    .kernarg_segment_align: 8
    .kernarg_segment_size: 128
    .language:       OpenCL C
    .language_version:
      - 2
      - 0
    .max_flat_workgroup_size: 256
    .name:           _ZN7rocprim17ROCPRIM_400000_NS6detail17trampoline_kernelINS0_14default_configENS1_25partition_config_selectorILNS1_17partition_subalgoE8ElNS0_10empty_typeEbEEZZNS1_14partition_implILS5_8ELb0ES3_jPKlPS6_PKS6_NS0_5tupleIJPlS6_EEENSE_IJSB_SB_EEENS0_18inequality_wrapperIN6hipcub16HIPCUB_304000_NS8EqualityEEESF_JS6_EEE10hipError_tPvRmT3_T4_T5_T6_T7_T9_mT8_P12ihipStream_tbDpT10_ENKUlT_T0_E_clISt17integral_constantIbLb1EES16_EEDaS11_S12_EUlS11_E_NS1_11comp_targetILNS1_3genE4ELNS1_11target_archE910ELNS1_3gpuE8ELNS1_3repE0EEENS1_30default_config_static_selectorELNS0_4arch9wavefront6targetE1EEEvT1_
    .private_segment_fixed_size: 0
    .sgpr_count:     6
    .sgpr_spill_count: 0
    .symbol:         _ZN7rocprim17ROCPRIM_400000_NS6detail17trampoline_kernelINS0_14default_configENS1_25partition_config_selectorILNS1_17partition_subalgoE8ElNS0_10empty_typeEbEEZZNS1_14partition_implILS5_8ELb0ES3_jPKlPS6_PKS6_NS0_5tupleIJPlS6_EEENSE_IJSB_SB_EEENS0_18inequality_wrapperIN6hipcub16HIPCUB_304000_NS8EqualityEEESF_JS6_EEE10hipError_tPvRmT3_T4_T5_T6_T7_T9_mT8_P12ihipStream_tbDpT10_ENKUlT_T0_E_clISt17integral_constantIbLb1EES16_EEDaS11_S12_EUlS11_E_NS1_11comp_targetILNS1_3genE4ELNS1_11target_archE910ELNS1_3gpuE8ELNS1_3repE0EEENS1_30default_config_static_selectorELNS0_4arch9wavefront6targetE1EEEvT1_.kd
    .uniform_work_group_size: 1
    .uses_dynamic_stack: false
    .vgpr_count:     0
    .vgpr_spill_count: 0
    .wavefront_size: 64
  - .agpr_count:     0
    .args:
      - .offset:         0
        .size:           128
        .value_kind:     by_value
    .group_segment_fixed_size: 0
    .kernarg_segment_align: 8
    .kernarg_segment_size: 128
    .language:       OpenCL C
    .language_version:
      - 2
      - 0
    .max_flat_workgroup_size: 512
    .name:           _ZN7rocprim17ROCPRIM_400000_NS6detail17trampoline_kernelINS0_14default_configENS1_25partition_config_selectorILNS1_17partition_subalgoE8ElNS0_10empty_typeEbEEZZNS1_14partition_implILS5_8ELb0ES3_jPKlPS6_PKS6_NS0_5tupleIJPlS6_EEENSE_IJSB_SB_EEENS0_18inequality_wrapperIN6hipcub16HIPCUB_304000_NS8EqualityEEESF_JS6_EEE10hipError_tPvRmT3_T4_T5_T6_T7_T9_mT8_P12ihipStream_tbDpT10_ENKUlT_T0_E_clISt17integral_constantIbLb1EES16_EEDaS11_S12_EUlS11_E_NS1_11comp_targetILNS1_3genE3ELNS1_11target_archE908ELNS1_3gpuE7ELNS1_3repE0EEENS1_30default_config_static_selectorELNS0_4arch9wavefront6targetE1EEEvT1_
    .private_segment_fixed_size: 0
    .sgpr_count:     6
    .sgpr_spill_count: 0
    .symbol:         _ZN7rocprim17ROCPRIM_400000_NS6detail17trampoline_kernelINS0_14default_configENS1_25partition_config_selectorILNS1_17partition_subalgoE8ElNS0_10empty_typeEbEEZZNS1_14partition_implILS5_8ELb0ES3_jPKlPS6_PKS6_NS0_5tupleIJPlS6_EEENSE_IJSB_SB_EEENS0_18inequality_wrapperIN6hipcub16HIPCUB_304000_NS8EqualityEEESF_JS6_EEE10hipError_tPvRmT3_T4_T5_T6_T7_T9_mT8_P12ihipStream_tbDpT10_ENKUlT_T0_E_clISt17integral_constantIbLb1EES16_EEDaS11_S12_EUlS11_E_NS1_11comp_targetILNS1_3genE3ELNS1_11target_archE908ELNS1_3gpuE7ELNS1_3repE0EEENS1_30default_config_static_selectorELNS0_4arch9wavefront6targetE1EEEvT1_.kd
    .uniform_work_group_size: 1
    .uses_dynamic_stack: false
    .vgpr_count:     0
    .vgpr_spill_count: 0
    .wavefront_size: 64
  - .agpr_count:     0
    .args:
      - .offset:         0
        .size:           128
        .value_kind:     by_value
    .group_segment_fixed_size: 0
    .kernarg_segment_align: 8
    .kernarg_segment_size: 128
    .language:       OpenCL C
    .language_version:
      - 2
      - 0
    .max_flat_workgroup_size: 256
    .name:           _ZN7rocprim17ROCPRIM_400000_NS6detail17trampoline_kernelINS0_14default_configENS1_25partition_config_selectorILNS1_17partition_subalgoE8ElNS0_10empty_typeEbEEZZNS1_14partition_implILS5_8ELb0ES3_jPKlPS6_PKS6_NS0_5tupleIJPlS6_EEENSE_IJSB_SB_EEENS0_18inequality_wrapperIN6hipcub16HIPCUB_304000_NS8EqualityEEESF_JS6_EEE10hipError_tPvRmT3_T4_T5_T6_T7_T9_mT8_P12ihipStream_tbDpT10_ENKUlT_T0_E_clISt17integral_constantIbLb1EES16_EEDaS11_S12_EUlS11_E_NS1_11comp_targetILNS1_3genE2ELNS1_11target_archE906ELNS1_3gpuE6ELNS1_3repE0EEENS1_30default_config_static_selectorELNS0_4arch9wavefront6targetE1EEEvT1_
    .private_segment_fixed_size: 0
    .sgpr_count:     6
    .sgpr_spill_count: 0
    .symbol:         _ZN7rocprim17ROCPRIM_400000_NS6detail17trampoline_kernelINS0_14default_configENS1_25partition_config_selectorILNS1_17partition_subalgoE8ElNS0_10empty_typeEbEEZZNS1_14partition_implILS5_8ELb0ES3_jPKlPS6_PKS6_NS0_5tupleIJPlS6_EEENSE_IJSB_SB_EEENS0_18inequality_wrapperIN6hipcub16HIPCUB_304000_NS8EqualityEEESF_JS6_EEE10hipError_tPvRmT3_T4_T5_T6_T7_T9_mT8_P12ihipStream_tbDpT10_ENKUlT_T0_E_clISt17integral_constantIbLb1EES16_EEDaS11_S12_EUlS11_E_NS1_11comp_targetILNS1_3genE2ELNS1_11target_archE906ELNS1_3gpuE6ELNS1_3repE0EEENS1_30default_config_static_selectorELNS0_4arch9wavefront6targetE1EEEvT1_.kd
    .uniform_work_group_size: 1
    .uses_dynamic_stack: false
    .vgpr_count:     0
    .vgpr_spill_count: 0
    .wavefront_size: 64
  - .agpr_count:     0
    .args:
      - .offset:         0
        .size:           128
        .value_kind:     by_value
    .group_segment_fixed_size: 0
    .kernarg_segment_align: 8
    .kernarg_segment_size: 128
    .language:       OpenCL C
    .language_version:
      - 2
      - 0
    .max_flat_workgroup_size: 384
    .name:           _ZN7rocprim17ROCPRIM_400000_NS6detail17trampoline_kernelINS0_14default_configENS1_25partition_config_selectorILNS1_17partition_subalgoE8ElNS0_10empty_typeEbEEZZNS1_14partition_implILS5_8ELb0ES3_jPKlPS6_PKS6_NS0_5tupleIJPlS6_EEENSE_IJSB_SB_EEENS0_18inequality_wrapperIN6hipcub16HIPCUB_304000_NS8EqualityEEESF_JS6_EEE10hipError_tPvRmT3_T4_T5_T6_T7_T9_mT8_P12ihipStream_tbDpT10_ENKUlT_T0_E_clISt17integral_constantIbLb1EES16_EEDaS11_S12_EUlS11_E_NS1_11comp_targetILNS1_3genE10ELNS1_11target_archE1200ELNS1_3gpuE4ELNS1_3repE0EEENS1_30default_config_static_selectorELNS0_4arch9wavefront6targetE1EEEvT1_
    .private_segment_fixed_size: 0
    .sgpr_count:     6
    .sgpr_spill_count: 0
    .symbol:         _ZN7rocprim17ROCPRIM_400000_NS6detail17trampoline_kernelINS0_14default_configENS1_25partition_config_selectorILNS1_17partition_subalgoE8ElNS0_10empty_typeEbEEZZNS1_14partition_implILS5_8ELb0ES3_jPKlPS6_PKS6_NS0_5tupleIJPlS6_EEENSE_IJSB_SB_EEENS0_18inequality_wrapperIN6hipcub16HIPCUB_304000_NS8EqualityEEESF_JS6_EEE10hipError_tPvRmT3_T4_T5_T6_T7_T9_mT8_P12ihipStream_tbDpT10_ENKUlT_T0_E_clISt17integral_constantIbLb1EES16_EEDaS11_S12_EUlS11_E_NS1_11comp_targetILNS1_3genE10ELNS1_11target_archE1200ELNS1_3gpuE4ELNS1_3repE0EEENS1_30default_config_static_selectorELNS0_4arch9wavefront6targetE1EEEvT1_.kd
    .uniform_work_group_size: 1
    .uses_dynamic_stack: false
    .vgpr_count:     0
    .vgpr_spill_count: 0
    .wavefront_size: 64
  - .agpr_count:     0
    .args:
      - .offset:         0
        .size:           128
        .value_kind:     by_value
    .group_segment_fixed_size: 0
    .kernarg_segment_align: 8
    .kernarg_segment_size: 128
    .language:       OpenCL C
    .language_version:
      - 2
      - 0
    .max_flat_workgroup_size: 512
    .name:           _ZN7rocprim17ROCPRIM_400000_NS6detail17trampoline_kernelINS0_14default_configENS1_25partition_config_selectorILNS1_17partition_subalgoE8ElNS0_10empty_typeEbEEZZNS1_14partition_implILS5_8ELb0ES3_jPKlPS6_PKS6_NS0_5tupleIJPlS6_EEENSE_IJSB_SB_EEENS0_18inequality_wrapperIN6hipcub16HIPCUB_304000_NS8EqualityEEESF_JS6_EEE10hipError_tPvRmT3_T4_T5_T6_T7_T9_mT8_P12ihipStream_tbDpT10_ENKUlT_T0_E_clISt17integral_constantIbLb1EES16_EEDaS11_S12_EUlS11_E_NS1_11comp_targetILNS1_3genE9ELNS1_11target_archE1100ELNS1_3gpuE3ELNS1_3repE0EEENS1_30default_config_static_selectorELNS0_4arch9wavefront6targetE1EEEvT1_
    .private_segment_fixed_size: 0
    .sgpr_count:     6
    .sgpr_spill_count: 0
    .symbol:         _ZN7rocprim17ROCPRIM_400000_NS6detail17trampoline_kernelINS0_14default_configENS1_25partition_config_selectorILNS1_17partition_subalgoE8ElNS0_10empty_typeEbEEZZNS1_14partition_implILS5_8ELb0ES3_jPKlPS6_PKS6_NS0_5tupleIJPlS6_EEENSE_IJSB_SB_EEENS0_18inequality_wrapperIN6hipcub16HIPCUB_304000_NS8EqualityEEESF_JS6_EEE10hipError_tPvRmT3_T4_T5_T6_T7_T9_mT8_P12ihipStream_tbDpT10_ENKUlT_T0_E_clISt17integral_constantIbLb1EES16_EEDaS11_S12_EUlS11_E_NS1_11comp_targetILNS1_3genE9ELNS1_11target_archE1100ELNS1_3gpuE3ELNS1_3repE0EEENS1_30default_config_static_selectorELNS0_4arch9wavefront6targetE1EEEvT1_.kd
    .uniform_work_group_size: 1
    .uses_dynamic_stack: false
    .vgpr_count:     0
    .vgpr_spill_count: 0
    .wavefront_size: 64
  - .agpr_count:     0
    .args:
      - .offset:         0
        .size:           128
        .value_kind:     by_value
    .group_segment_fixed_size: 0
    .kernarg_segment_align: 8
    .kernarg_segment_size: 128
    .language:       OpenCL C
    .language_version:
      - 2
      - 0
    .max_flat_workgroup_size: 512
    .name:           _ZN7rocprim17ROCPRIM_400000_NS6detail17trampoline_kernelINS0_14default_configENS1_25partition_config_selectorILNS1_17partition_subalgoE8ElNS0_10empty_typeEbEEZZNS1_14partition_implILS5_8ELb0ES3_jPKlPS6_PKS6_NS0_5tupleIJPlS6_EEENSE_IJSB_SB_EEENS0_18inequality_wrapperIN6hipcub16HIPCUB_304000_NS8EqualityEEESF_JS6_EEE10hipError_tPvRmT3_T4_T5_T6_T7_T9_mT8_P12ihipStream_tbDpT10_ENKUlT_T0_E_clISt17integral_constantIbLb1EES16_EEDaS11_S12_EUlS11_E_NS1_11comp_targetILNS1_3genE8ELNS1_11target_archE1030ELNS1_3gpuE2ELNS1_3repE0EEENS1_30default_config_static_selectorELNS0_4arch9wavefront6targetE1EEEvT1_
    .private_segment_fixed_size: 0
    .sgpr_count:     6
    .sgpr_spill_count: 0
    .symbol:         _ZN7rocprim17ROCPRIM_400000_NS6detail17trampoline_kernelINS0_14default_configENS1_25partition_config_selectorILNS1_17partition_subalgoE8ElNS0_10empty_typeEbEEZZNS1_14partition_implILS5_8ELb0ES3_jPKlPS6_PKS6_NS0_5tupleIJPlS6_EEENSE_IJSB_SB_EEENS0_18inequality_wrapperIN6hipcub16HIPCUB_304000_NS8EqualityEEESF_JS6_EEE10hipError_tPvRmT3_T4_T5_T6_T7_T9_mT8_P12ihipStream_tbDpT10_ENKUlT_T0_E_clISt17integral_constantIbLb1EES16_EEDaS11_S12_EUlS11_E_NS1_11comp_targetILNS1_3genE8ELNS1_11target_archE1030ELNS1_3gpuE2ELNS1_3repE0EEENS1_30default_config_static_selectorELNS0_4arch9wavefront6targetE1EEEvT1_.kd
    .uniform_work_group_size: 1
    .uses_dynamic_stack: false
    .vgpr_count:     0
    .vgpr_spill_count: 0
    .wavefront_size: 64
  - .agpr_count:     0
    .args:
      - .offset:         0
        .size:           112
        .value_kind:     by_value
    .group_segment_fixed_size: 0
    .kernarg_segment_align: 8
    .kernarg_segment_size: 112
    .language:       OpenCL C
    .language_version:
      - 2
      - 0
    .max_flat_workgroup_size: 512
    .name:           _ZN7rocprim17ROCPRIM_400000_NS6detail17trampoline_kernelINS0_14default_configENS1_25partition_config_selectorILNS1_17partition_subalgoE8ElNS0_10empty_typeEbEEZZNS1_14partition_implILS5_8ELb0ES3_jPKlPS6_PKS6_NS0_5tupleIJPlS6_EEENSE_IJSB_SB_EEENS0_18inequality_wrapperIN6hipcub16HIPCUB_304000_NS8EqualityEEESF_JS6_EEE10hipError_tPvRmT3_T4_T5_T6_T7_T9_mT8_P12ihipStream_tbDpT10_ENKUlT_T0_E_clISt17integral_constantIbLb1EES15_IbLb0EEEEDaS11_S12_EUlS11_E_NS1_11comp_targetILNS1_3genE0ELNS1_11target_archE4294967295ELNS1_3gpuE0ELNS1_3repE0EEENS1_30default_config_static_selectorELNS0_4arch9wavefront6targetE1EEEvT1_
    .private_segment_fixed_size: 0
    .sgpr_count:     6
    .sgpr_spill_count: 0
    .symbol:         _ZN7rocprim17ROCPRIM_400000_NS6detail17trampoline_kernelINS0_14default_configENS1_25partition_config_selectorILNS1_17partition_subalgoE8ElNS0_10empty_typeEbEEZZNS1_14partition_implILS5_8ELb0ES3_jPKlPS6_PKS6_NS0_5tupleIJPlS6_EEENSE_IJSB_SB_EEENS0_18inequality_wrapperIN6hipcub16HIPCUB_304000_NS8EqualityEEESF_JS6_EEE10hipError_tPvRmT3_T4_T5_T6_T7_T9_mT8_P12ihipStream_tbDpT10_ENKUlT_T0_E_clISt17integral_constantIbLb1EES15_IbLb0EEEEDaS11_S12_EUlS11_E_NS1_11comp_targetILNS1_3genE0ELNS1_11target_archE4294967295ELNS1_3gpuE0ELNS1_3repE0EEENS1_30default_config_static_selectorELNS0_4arch9wavefront6targetE1EEEvT1_.kd
    .uniform_work_group_size: 1
    .uses_dynamic_stack: false
    .vgpr_count:     0
    .vgpr_spill_count: 0
    .wavefront_size: 64
  - .agpr_count:     0
    .args:
      - .offset:         0
        .size:           112
        .value_kind:     by_value
    .group_segment_fixed_size: 28680
    .kernarg_segment_align: 8
    .kernarg_segment_size: 112
    .language:       OpenCL C
    .language_version:
      - 2
      - 0
    .max_flat_workgroup_size: 512
    .name:           _ZN7rocprim17ROCPRIM_400000_NS6detail17trampoline_kernelINS0_14default_configENS1_25partition_config_selectorILNS1_17partition_subalgoE8ElNS0_10empty_typeEbEEZZNS1_14partition_implILS5_8ELb0ES3_jPKlPS6_PKS6_NS0_5tupleIJPlS6_EEENSE_IJSB_SB_EEENS0_18inequality_wrapperIN6hipcub16HIPCUB_304000_NS8EqualityEEESF_JS6_EEE10hipError_tPvRmT3_T4_T5_T6_T7_T9_mT8_P12ihipStream_tbDpT10_ENKUlT_T0_E_clISt17integral_constantIbLb1EES15_IbLb0EEEEDaS11_S12_EUlS11_E_NS1_11comp_targetILNS1_3genE5ELNS1_11target_archE942ELNS1_3gpuE9ELNS1_3repE0EEENS1_30default_config_static_selectorELNS0_4arch9wavefront6targetE1EEEvT1_
    .private_segment_fixed_size: 0
    .sgpr_count:     46
    .sgpr_spill_count: 0
    .symbol:         _ZN7rocprim17ROCPRIM_400000_NS6detail17trampoline_kernelINS0_14default_configENS1_25partition_config_selectorILNS1_17partition_subalgoE8ElNS0_10empty_typeEbEEZZNS1_14partition_implILS5_8ELb0ES3_jPKlPS6_PKS6_NS0_5tupleIJPlS6_EEENSE_IJSB_SB_EEENS0_18inequality_wrapperIN6hipcub16HIPCUB_304000_NS8EqualityEEESF_JS6_EEE10hipError_tPvRmT3_T4_T5_T6_T7_T9_mT8_P12ihipStream_tbDpT10_ENKUlT_T0_E_clISt17integral_constantIbLb1EES15_IbLb0EEEEDaS11_S12_EUlS11_E_NS1_11comp_targetILNS1_3genE5ELNS1_11target_archE942ELNS1_3gpuE9ELNS1_3repE0EEENS1_30default_config_static_selectorELNS0_4arch9wavefront6targetE1EEEvT1_.kd
    .uniform_work_group_size: 1
    .uses_dynamic_stack: false
    .vgpr_count:     53
    .vgpr_spill_count: 0
    .wavefront_size: 64
  - .agpr_count:     0
    .args:
      - .offset:         0
        .size:           112
        .value_kind:     by_value
    .group_segment_fixed_size: 0
    .kernarg_segment_align: 8
    .kernarg_segment_size: 112
    .language:       OpenCL C
    .language_version:
      - 2
      - 0
    .max_flat_workgroup_size: 256
    .name:           _ZN7rocprim17ROCPRIM_400000_NS6detail17trampoline_kernelINS0_14default_configENS1_25partition_config_selectorILNS1_17partition_subalgoE8ElNS0_10empty_typeEbEEZZNS1_14partition_implILS5_8ELb0ES3_jPKlPS6_PKS6_NS0_5tupleIJPlS6_EEENSE_IJSB_SB_EEENS0_18inequality_wrapperIN6hipcub16HIPCUB_304000_NS8EqualityEEESF_JS6_EEE10hipError_tPvRmT3_T4_T5_T6_T7_T9_mT8_P12ihipStream_tbDpT10_ENKUlT_T0_E_clISt17integral_constantIbLb1EES15_IbLb0EEEEDaS11_S12_EUlS11_E_NS1_11comp_targetILNS1_3genE4ELNS1_11target_archE910ELNS1_3gpuE8ELNS1_3repE0EEENS1_30default_config_static_selectorELNS0_4arch9wavefront6targetE1EEEvT1_
    .private_segment_fixed_size: 0
    .sgpr_count:     6
    .sgpr_spill_count: 0
    .symbol:         _ZN7rocprim17ROCPRIM_400000_NS6detail17trampoline_kernelINS0_14default_configENS1_25partition_config_selectorILNS1_17partition_subalgoE8ElNS0_10empty_typeEbEEZZNS1_14partition_implILS5_8ELb0ES3_jPKlPS6_PKS6_NS0_5tupleIJPlS6_EEENSE_IJSB_SB_EEENS0_18inequality_wrapperIN6hipcub16HIPCUB_304000_NS8EqualityEEESF_JS6_EEE10hipError_tPvRmT3_T4_T5_T6_T7_T9_mT8_P12ihipStream_tbDpT10_ENKUlT_T0_E_clISt17integral_constantIbLb1EES15_IbLb0EEEEDaS11_S12_EUlS11_E_NS1_11comp_targetILNS1_3genE4ELNS1_11target_archE910ELNS1_3gpuE8ELNS1_3repE0EEENS1_30default_config_static_selectorELNS0_4arch9wavefront6targetE1EEEvT1_.kd
    .uniform_work_group_size: 1
    .uses_dynamic_stack: false
    .vgpr_count:     0
    .vgpr_spill_count: 0
    .wavefront_size: 64
  - .agpr_count:     0
    .args:
      - .offset:         0
        .size:           112
        .value_kind:     by_value
    .group_segment_fixed_size: 0
    .kernarg_segment_align: 8
    .kernarg_segment_size: 112
    .language:       OpenCL C
    .language_version:
      - 2
      - 0
    .max_flat_workgroup_size: 512
    .name:           _ZN7rocprim17ROCPRIM_400000_NS6detail17trampoline_kernelINS0_14default_configENS1_25partition_config_selectorILNS1_17partition_subalgoE8ElNS0_10empty_typeEbEEZZNS1_14partition_implILS5_8ELb0ES3_jPKlPS6_PKS6_NS0_5tupleIJPlS6_EEENSE_IJSB_SB_EEENS0_18inequality_wrapperIN6hipcub16HIPCUB_304000_NS8EqualityEEESF_JS6_EEE10hipError_tPvRmT3_T4_T5_T6_T7_T9_mT8_P12ihipStream_tbDpT10_ENKUlT_T0_E_clISt17integral_constantIbLb1EES15_IbLb0EEEEDaS11_S12_EUlS11_E_NS1_11comp_targetILNS1_3genE3ELNS1_11target_archE908ELNS1_3gpuE7ELNS1_3repE0EEENS1_30default_config_static_selectorELNS0_4arch9wavefront6targetE1EEEvT1_
    .private_segment_fixed_size: 0
    .sgpr_count:     6
    .sgpr_spill_count: 0
    .symbol:         _ZN7rocprim17ROCPRIM_400000_NS6detail17trampoline_kernelINS0_14default_configENS1_25partition_config_selectorILNS1_17partition_subalgoE8ElNS0_10empty_typeEbEEZZNS1_14partition_implILS5_8ELb0ES3_jPKlPS6_PKS6_NS0_5tupleIJPlS6_EEENSE_IJSB_SB_EEENS0_18inequality_wrapperIN6hipcub16HIPCUB_304000_NS8EqualityEEESF_JS6_EEE10hipError_tPvRmT3_T4_T5_T6_T7_T9_mT8_P12ihipStream_tbDpT10_ENKUlT_T0_E_clISt17integral_constantIbLb1EES15_IbLb0EEEEDaS11_S12_EUlS11_E_NS1_11comp_targetILNS1_3genE3ELNS1_11target_archE908ELNS1_3gpuE7ELNS1_3repE0EEENS1_30default_config_static_selectorELNS0_4arch9wavefront6targetE1EEEvT1_.kd
    .uniform_work_group_size: 1
    .uses_dynamic_stack: false
    .vgpr_count:     0
    .vgpr_spill_count: 0
    .wavefront_size: 64
  - .agpr_count:     0
    .args:
      - .offset:         0
        .size:           112
        .value_kind:     by_value
    .group_segment_fixed_size: 0
    .kernarg_segment_align: 8
    .kernarg_segment_size: 112
    .language:       OpenCL C
    .language_version:
      - 2
      - 0
    .max_flat_workgroup_size: 256
    .name:           _ZN7rocprim17ROCPRIM_400000_NS6detail17trampoline_kernelINS0_14default_configENS1_25partition_config_selectorILNS1_17partition_subalgoE8ElNS0_10empty_typeEbEEZZNS1_14partition_implILS5_8ELb0ES3_jPKlPS6_PKS6_NS0_5tupleIJPlS6_EEENSE_IJSB_SB_EEENS0_18inequality_wrapperIN6hipcub16HIPCUB_304000_NS8EqualityEEESF_JS6_EEE10hipError_tPvRmT3_T4_T5_T6_T7_T9_mT8_P12ihipStream_tbDpT10_ENKUlT_T0_E_clISt17integral_constantIbLb1EES15_IbLb0EEEEDaS11_S12_EUlS11_E_NS1_11comp_targetILNS1_3genE2ELNS1_11target_archE906ELNS1_3gpuE6ELNS1_3repE0EEENS1_30default_config_static_selectorELNS0_4arch9wavefront6targetE1EEEvT1_
    .private_segment_fixed_size: 0
    .sgpr_count:     6
    .sgpr_spill_count: 0
    .symbol:         _ZN7rocprim17ROCPRIM_400000_NS6detail17trampoline_kernelINS0_14default_configENS1_25partition_config_selectorILNS1_17partition_subalgoE8ElNS0_10empty_typeEbEEZZNS1_14partition_implILS5_8ELb0ES3_jPKlPS6_PKS6_NS0_5tupleIJPlS6_EEENSE_IJSB_SB_EEENS0_18inequality_wrapperIN6hipcub16HIPCUB_304000_NS8EqualityEEESF_JS6_EEE10hipError_tPvRmT3_T4_T5_T6_T7_T9_mT8_P12ihipStream_tbDpT10_ENKUlT_T0_E_clISt17integral_constantIbLb1EES15_IbLb0EEEEDaS11_S12_EUlS11_E_NS1_11comp_targetILNS1_3genE2ELNS1_11target_archE906ELNS1_3gpuE6ELNS1_3repE0EEENS1_30default_config_static_selectorELNS0_4arch9wavefront6targetE1EEEvT1_.kd
    .uniform_work_group_size: 1
    .uses_dynamic_stack: false
    .vgpr_count:     0
    .vgpr_spill_count: 0
    .wavefront_size: 64
  - .agpr_count:     0
    .args:
      - .offset:         0
        .size:           112
        .value_kind:     by_value
    .group_segment_fixed_size: 0
    .kernarg_segment_align: 8
    .kernarg_segment_size: 112
    .language:       OpenCL C
    .language_version:
      - 2
      - 0
    .max_flat_workgroup_size: 384
    .name:           _ZN7rocprim17ROCPRIM_400000_NS6detail17trampoline_kernelINS0_14default_configENS1_25partition_config_selectorILNS1_17partition_subalgoE8ElNS0_10empty_typeEbEEZZNS1_14partition_implILS5_8ELb0ES3_jPKlPS6_PKS6_NS0_5tupleIJPlS6_EEENSE_IJSB_SB_EEENS0_18inequality_wrapperIN6hipcub16HIPCUB_304000_NS8EqualityEEESF_JS6_EEE10hipError_tPvRmT3_T4_T5_T6_T7_T9_mT8_P12ihipStream_tbDpT10_ENKUlT_T0_E_clISt17integral_constantIbLb1EES15_IbLb0EEEEDaS11_S12_EUlS11_E_NS1_11comp_targetILNS1_3genE10ELNS1_11target_archE1200ELNS1_3gpuE4ELNS1_3repE0EEENS1_30default_config_static_selectorELNS0_4arch9wavefront6targetE1EEEvT1_
    .private_segment_fixed_size: 0
    .sgpr_count:     6
    .sgpr_spill_count: 0
    .symbol:         _ZN7rocprim17ROCPRIM_400000_NS6detail17trampoline_kernelINS0_14default_configENS1_25partition_config_selectorILNS1_17partition_subalgoE8ElNS0_10empty_typeEbEEZZNS1_14partition_implILS5_8ELb0ES3_jPKlPS6_PKS6_NS0_5tupleIJPlS6_EEENSE_IJSB_SB_EEENS0_18inequality_wrapperIN6hipcub16HIPCUB_304000_NS8EqualityEEESF_JS6_EEE10hipError_tPvRmT3_T4_T5_T6_T7_T9_mT8_P12ihipStream_tbDpT10_ENKUlT_T0_E_clISt17integral_constantIbLb1EES15_IbLb0EEEEDaS11_S12_EUlS11_E_NS1_11comp_targetILNS1_3genE10ELNS1_11target_archE1200ELNS1_3gpuE4ELNS1_3repE0EEENS1_30default_config_static_selectorELNS0_4arch9wavefront6targetE1EEEvT1_.kd
    .uniform_work_group_size: 1
    .uses_dynamic_stack: false
    .vgpr_count:     0
    .vgpr_spill_count: 0
    .wavefront_size: 64
  - .agpr_count:     0
    .args:
      - .offset:         0
        .size:           112
        .value_kind:     by_value
    .group_segment_fixed_size: 0
    .kernarg_segment_align: 8
    .kernarg_segment_size: 112
    .language:       OpenCL C
    .language_version:
      - 2
      - 0
    .max_flat_workgroup_size: 512
    .name:           _ZN7rocprim17ROCPRIM_400000_NS6detail17trampoline_kernelINS0_14default_configENS1_25partition_config_selectorILNS1_17partition_subalgoE8ElNS0_10empty_typeEbEEZZNS1_14partition_implILS5_8ELb0ES3_jPKlPS6_PKS6_NS0_5tupleIJPlS6_EEENSE_IJSB_SB_EEENS0_18inequality_wrapperIN6hipcub16HIPCUB_304000_NS8EqualityEEESF_JS6_EEE10hipError_tPvRmT3_T4_T5_T6_T7_T9_mT8_P12ihipStream_tbDpT10_ENKUlT_T0_E_clISt17integral_constantIbLb1EES15_IbLb0EEEEDaS11_S12_EUlS11_E_NS1_11comp_targetILNS1_3genE9ELNS1_11target_archE1100ELNS1_3gpuE3ELNS1_3repE0EEENS1_30default_config_static_selectorELNS0_4arch9wavefront6targetE1EEEvT1_
    .private_segment_fixed_size: 0
    .sgpr_count:     6
    .sgpr_spill_count: 0
    .symbol:         _ZN7rocprim17ROCPRIM_400000_NS6detail17trampoline_kernelINS0_14default_configENS1_25partition_config_selectorILNS1_17partition_subalgoE8ElNS0_10empty_typeEbEEZZNS1_14partition_implILS5_8ELb0ES3_jPKlPS6_PKS6_NS0_5tupleIJPlS6_EEENSE_IJSB_SB_EEENS0_18inequality_wrapperIN6hipcub16HIPCUB_304000_NS8EqualityEEESF_JS6_EEE10hipError_tPvRmT3_T4_T5_T6_T7_T9_mT8_P12ihipStream_tbDpT10_ENKUlT_T0_E_clISt17integral_constantIbLb1EES15_IbLb0EEEEDaS11_S12_EUlS11_E_NS1_11comp_targetILNS1_3genE9ELNS1_11target_archE1100ELNS1_3gpuE3ELNS1_3repE0EEENS1_30default_config_static_selectorELNS0_4arch9wavefront6targetE1EEEvT1_.kd
    .uniform_work_group_size: 1
    .uses_dynamic_stack: false
    .vgpr_count:     0
    .vgpr_spill_count: 0
    .wavefront_size: 64
  - .agpr_count:     0
    .args:
      - .offset:         0
        .size:           112
        .value_kind:     by_value
    .group_segment_fixed_size: 0
    .kernarg_segment_align: 8
    .kernarg_segment_size: 112
    .language:       OpenCL C
    .language_version:
      - 2
      - 0
    .max_flat_workgroup_size: 512
    .name:           _ZN7rocprim17ROCPRIM_400000_NS6detail17trampoline_kernelINS0_14default_configENS1_25partition_config_selectorILNS1_17partition_subalgoE8ElNS0_10empty_typeEbEEZZNS1_14partition_implILS5_8ELb0ES3_jPKlPS6_PKS6_NS0_5tupleIJPlS6_EEENSE_IJSB_SB_EEENS0_18inequality_wrapperIN6hipcub16HIPCUB_304000_NS8EqualityEEESF_JS6_EEE10hipError_tPvRmT3_T4_T5_T6_T7_T9_mT8_P12ihipStream_tbDpT10_ENKUlT_T0_E_clISt17integral_constantIbLb1EES15_IbLb0EEEEDaS11_S12_EUlS11_E_NS1_11comp_targetILNS1_3genE8ELNS1_11target_archE1030ELNS1_3gpuE2ELNS1_3repE0EEENS1_30default_config_static_selectorELNS0_4arch9wavefront6targetE1EEEvT1_
    .private_segment_fixed_size: 0
    .sgpr_count:     6
    .sgpr_spill_count: 0
    .symbol:         _ZN7rocprim17ROCPRIM_400000_NS6detail17trampoline_kernelINS0_14default_configENS1_25partition_config_selectorILNS1_17partition_subalgoE8ElNS0_10empty_typeEbEEZZNS1_14partition_implILS5_8ELb0ES3_jPKlPS6_PKS6_NS0_5tupleIJPlS6_EEENSE_IJSB_SB_EEENS0_18inequality_wrapperIN6hipcub16HIPCUB_304000_NS8EqualityEEESF_JS6_EEE10hipError_tPvRmT3_T4_T5_T6_T7_T9_mT8_P12ihipStream_tbDpT10_ENKUlT_T0_E_clISt17integral_constantIbLb1EES15_IbLb0EEEEDaS11_S12_EUlS11_E_NS1_11comp_targetILNS1_3genE8ELNS1_11target_archE1030ELNS1_3gpuE2ELNS1_3repE0EEENS1_30default_config_static_selectorELNS0_4arch9wavefront6targetE1EEEvT1_.kd
    .uniform_work_group_size: 1
    .uses_dynamic_stack: false
    .vgpr_count:     0
    .vgpr_spill_count: 0
    .wavefront_size: 64
  - .agpr_count:     0
    .args:
      - .offset:         0
        .size:           128
        .value_kind:     by_value
    .group_segment_fixed_size: 0
    .kernarg_segment_align: 8
    .kernarg_segment_size: 128
    .language:       OpenCL C
    .language_version:
      - 2
      - 0
    .max_flat_workgroup_size: 512
    .name:           _ZN7rocprim17ROCPRIM_400000_NS6detail17trampoline_kernelINS0_14default_configENS1_25partition_config_selectorILNS1_17partition_subalgoE8ElNS0_10empty_typeEbEEZZNS1_14partition_implILS5_8ELb0ES3_jPKlPS6_PKS6_NS0_5tupleIJPlS6_EEENSE_IJSB_SB_EEENS0_18inequality_wrapperIN6hipcub16HIPCUB_304000_NS8EqualityEEESF_JS6_EEE10hipError_tPvRmT3_T4_T5_T6_T7_T9_mT8_P12ihipStream_tbDpT10_ENKUlT_T0_E_clISt17integral_constantIbLb0EES15_IbLb1EEEEDaS11_S12_EUlS11_E_NS1_11comp_targetILNS1_3genE0ELNS1_11target_archE4294967295ELNS1_3gpuE0ELNS1_3repE0EEENS1_30default_config_static_selectorELNS0_4arch9wavefront6targetE1EEEvT1_
    .private_segment_fixed_size: 0
    .sgpr_count:     6
    .sgpr_spill_count: 0
    .symbol:         _ZN7rocprim17ROCPRIM_400000_NS6detail17trampoline_kernelINS0_14default_configENS1_25partition_config_selectorILNS1_17partition_subalgoE8ElNS0_10empty_typeEbEEZZNS1_14partition_implILS5_8ELb0ES3_jPKlPS6_PKS6_NS0_5tupleIJPlS6_EEENSE_IJSB_SB_EEENS0_18inequality_wrapperIN6hipcub16HIPCUB_304000_NS8EqualityEEESF_JS6_EEE10hipError_tPvRmT3_T4_T5_T6_T7_T9_mT8_P12ihipStream_tbDpT10_ENKUlT_T0_E_clISt17integral_constantIbLb0EES15_IbLb1EEEEDaS11_S12_EUlS11_E_NS1_11comp_targetILNS1_3genE0ELNS1_11target_archE4294967295ELNS1_3gpuE0ELNS1_3repE0EEENS1_30default_config_static_selectorELNS0_4arch9wavefront6targetE1EEEvT1_.kd
    .uniform_work_group_size: 1
    .uses_dynamic_stack: false
    .vgpr_count:     0
    .vgpr_spill_count: 0
    .wavefront_size: 64
  - .agpr_count:     0
    .args:
      - .offset:         0
        .size:           128
        .value_kind:     by_value
    .group_segment_fixed_size: 28680
    .kernarg_segment_align: 8
    .kernarg_segment_size: 128
    .language:       OpenCL C
    .language_version:
      - 2
      - 0
    .max_flat_workgroup_size: 512
    .name:           _ZN7rocprim17ROCPRIM_400000_NS6detail17trampoline_kernelINS0_14default_configENS1_25partition_config_selectorILNS1_17partition_subalgoE8ElNS0_10empty_typeEbEEZZNS1_14partition_implILS5_8ELb0ES3_jPKlPS6_PKS6_NS0_5tupleIJPlS6_EEENSE_IJSB_SB_EEENS0_18inequality_wrapperIN6hipcub16HIPCUB_304000_NS8EqualityEEESF_JS6_EEE10hipError_tPvRmT3_T4_T5_T6_T7_T9_mT8_P12ihipStream_tbDpT10_ENKUlT_T0_E_clISt17integral_constantIbLb0EES15_IbLb1EEEEDaS11_S12_EUlS11_E_NS1_11comp_targetILNS1_3genE5ELNS1_11target_archE942ELNS1_3gpuE9ELNS1_3repE0EEENS1_30default_config_static_selectorELNS0_4arch9wavefront6targetE1EEEvT1_
    .private_segment_fixed_size: 0
    .sgpr_count:     46
    .sgpr_spill_count: 0
    .symbol:         _ZN7rocprim17ROCPRIM_400000_NS6detail17trampoline_kernelINS0_14default_configENS1_25partition_config_selectorILNS1_17partition_subalgoE8ElNS0_10empty_typeEbEEZZNS1_14partition_implILS5_8ELb0ES3_jPKlPS6_PKS6_NS0_5tupleIJPlS6_EEENSE_IJSB_SB_EEENS0_18inequality_wrapperIN6hipcub16HIPCUB_304000_NS8EqualityEEESF_JS6_EEE10hipError_tPvRmT3_T4_T5_T6_T7_T9_mT8_P12ihipStream_tbDpT10_ENKUlT_T0_E_clISt17integral_constantIbLb0EES15_IbLb1EEEEDaS11_S12_EUlS11_E_NS1_11comp_targetILNS1_3genE5ELNS1_11target_archE942ELNS1_3gpuE9ELNS1_3repE0EEENS1_30default_config_static_selectorELNS0_4arch9wavefront6targetE1EEEvT1_.kd
    .uniform_work_group_size: 1
    .uses_dynamic_stack: false
    .vgpr_count:     53
    .vgpr_spill_count: 0
    .wavefront_size: 64
  - .agpr_count:     0
    .args:
      - .offset:         0
        .size:           128
        .value_kind:     by_value
    .group_segment_fixed_size: 0
    .kernarg_segment_align: 8
    .kernarg_segment_size: 128
    .language:       OpenCL C
    .language_version:
      - 2
      - 0
    .max_flat_workgroup_size: 256
    .name:           _ZN7rocprim17ROCPRIM_400000_NS6detail17trampoline_kernelINS0_14default_configENS1_25partition_config_selectorILNS1_17partition_subalgoE8ElNS0_10empty_typeEbEEZZNS1_14partition_implILS5_8ELb0ES3_jPKlPS6_PKS6_NS0_5tupleIJPlS6_EEENSE_IJSB_SB_EEENS0_18inequality_wrapperIN6hipcub16HIPCUB_304000_NS8EqualityEEESF_JS6_EEE10hipError_tPvRmT3_T4_T5_T6_T7_T9_mT8_P12ihipStream_tbDpT10_ENKUlT_T0_E_clISt17integral_constantIbLb0EES15_IbLb1EEEEDaS11_S12_EUlS11_E_NS1_11comp_targetILNS1_3genE4ELNS1_11target_archE910ELNS1_3gpuE8ELNS1_3repE0EEENS1_30default_config_static_selectorELNS0_4arch9wavefront6targetE1EEEvT1_
    .private_segment_fixed_size: 0
    .sgpr_count:     6
    .sgpr_spill_count: 0
    .symbol:         _ZN7rocprim17ROCPRIM_400000_NS6detail17trampoline_kernelINS0_14default_configENS1_25partition_config_selectorILNS1_17partition_subalgoE8ElNS0_10empty_typeEbEEZZNS1_14partition_implILS5_8ELb0ES3_jPKlPS6_PKS6_NS0_5tupleIJPlS6_EEENSE_IJSB_SB_EEENS0_18inequality_wrapperIN6hipcub16HIPCUB_304000_NS8EqualityEEESF_JS6_EEE10hipError_tPvRmT3_T4_T5_T6_T7_T9_mT8_P12ihipStream_tbDpT10_ENKUlT_T0_E_clISt17integral_constantIbLb0EES15_IbLb1EEEEDaS11_S12_EUlS11_E_NS1_11comp_targetILNS1_3genE4ELNS1_11target_archE910ELNS1_3gpuE8ELNS1_3repE0EEENS1_30default_config_static_selectorELNS0_4arch9wavefront6targetE1EEEvT1_.kd
    .uniform_work_group_size: 1
    .uses_dynamic_stack: false
    .vgpr_count:     0
    .vgpr_spill_count: 0
    .wavefront_size: 64
  - .agpr_count:     0
    .args:
      - .offset:         0
        .size:           128
        .value_kind:     by_value
    .group_segment_fixed_size: 0
    .kernarg_segment_align: 8
    .kernarg_segment_size: 128
    .language:       OpenCL C
    .language_version:
      - 2
      - 0
    .max_flat_workgroup_size: 512
    .name:           _ZN7rocprim17ROCPRIM_400000_NS6detail17trampoline_kernelINS0_14default_configENS1_25partition_config_selectorILNS1_17partition_subalgoE8ElNS0_10empty_typeEbEEZZNS1_14partition_implILS5_8ELb0ES3_jPKlPS6_PKS6_NS0_5tupleIJPlS6_EEENSE_IJSB_SB_EEENS0_18inequality_wrapperIN6hipcub16HIPCUB_304000_NS8EqualityEEESF_JS6_EEE10hipError_tPvRmT3_T4_T5_T6_T7_T9_mT8_P12ihipStream_tbDpT10_ENKUlT_T0_E_clISt17integral_constantIbLb0EES15_IbLb1EEEEDaS11_S12_EUlS11_E_NS1_11comp_targetILNS1_3genE3ELNS1_11target_archE908ELNS1_3gpuE7ELNS1_3repE0EEENS1_30default_config_static_selectorELNS0_4arch9wavefront6targetE1EEEvT1_
    .private_segment_fixed_size: 0
    .sgpr_count:     6
    .sgpr_spill_count: 0
    .symbol:         _ZN7rocprim17ROCPRIM_400000_NS6detail17trampoline_kernelINS0_14default_configENS1_25partition_config_selectorILNS1_17partition_subalgoE8ElNS0_10empty_typeEbEEZZNS1_14partition_implILS5_8ELb0ES3_jPKlPS6_PKS6_NS0_5tupleIJPlS6_EEENSE_IJSB_SB_EEENS0_18inequality_wrapperIN6hipcub16HIPCUB_304000_NS8EqualityEEESF_JS6_EEE10hipError_tPvRmT3_T4_T5_T6_T7_T9_mT8_P12ihipStream_tbDpT10_ENKUlT_T0_E_clISt17integral_constantIbLb0EES15_IbLb1EEEEDaS11_S12_EUlS11_E_NS1_11comp_targetILNS1_3genE3ELNS1_11target_archE908ELNS1_3gpuE7ELNS1_3repE0EEENS1_30default_config_static_selectorELNS0_4arch9wavefront6targetE1EEEvT1_.kd
    .uniform_work_group_size: 1
    .uses_dynamic_stack: false
    .vgpr_count:     0
    .vgpr_spill_count: 0
    .wavefront_size: 64
  - .agpr_count:     0
    .args:
      - .offset:         0
        .size:           128
        .value_kind:     by_value
    .group_segment_fixed_size: 0
    .kernarg_segment_align: 8
    .kernarg_segment_size: 128
    .language:       OpenCL C
    .language_version:
      - 2
      - 0
    .max_flat_workgroup_size: 256
    .name:           _ZN7rocprim17ROCPRIM_400000_NS6detail17trampoline_kernelINS0_14default_configENS1_25partition_config_selectorILNS1_17partition_subalgoE8ElNS0_10empty_typeEbEEZZNS1_14partition_implILS5_8ELb0ES3_jPKlPS6_PKS6_NS0_5tupleIJPlS6_EEENSE_IJSB_SB_EEENS0_18inequality_wrapperIN6hipcub16HIPCUB_304000_NS8EqualityEEESF_JS6_EEE10hipError_tPvRmT3_T4_T5_T6_T7_T9_mT8_P12ihipStream_tbDpT10_ENKUlT_T0_E_clISt17integral_constantIbLb0EES15_IbLb1EEEEDaS11_S12_EUlS11_E_NS1_11comp_targetILNS1_3genE2ELNS1_11target_archE906ELNS1_3gpuE6ELNS1_3repE0EEENS1_30default_config_static_selectorELNS0_4arch9wavefront6targetE1EEEvT1_
    .private_segment_fixed_size: 0
    .sgpr_count:     6
    .sgpr_spill_count: 0
    .symbol:         _ZN7rocprim17ROCPRIM_400000_NS6detail17trampoline_kernelINS0_14default_configENS1_25partition_config_selectorILNS1_17partition_subalgoE8ElNS0_10empty_typeEbEEZZNS1_14partition_implILS5_8ELb0ES3_jPKlPS6_PKS6_NS0_5tupleIJPlS6_EEENSE_IJSB_SB_EEENS0_18inequality_wrapperIN6hipcub16HIPCUB_304000_NS8EqualityEEESF_JS6_EEE10hipError_tPvRmT3_T4_T5_T6_T7_T9_mT8_P12ihipStream_tbDpT10_ENKUlT_T0_E_clISt17integral_constantIbLb0EES15_IbLb1EEEEDaS11_S12_EUlS11_E_NS1_11comp_targetILNS1_3genE2ELNS1_11target_archE906ELNS1_3gpuE6ELNS1_3repE0EEENS1_30default_config_static_selectorELNS0_4arch9wavefront6targetE1EEEvT1_.kd
    .uniform_work_group_size: 1
    .uses_dynamic_stack: false
    .vgpr_count:     0
    .vgpr_spill_count: 0
    .wavefront_size: 64
  - .agpr_count:     0
    .args:
      - .offset:         0
        .size:           128
        .value_kind:     by_value
    .group_segment_fixed_size: 0
    .kernarg_segment_align: 8
    .kernarg_segment_size: 128
    .language:       OpenCL C
    .language_version:
      - 2
      - 0
    .max_flat_workgroup_size: 384
    .name:           _ZN7rocprim17ROCPRIM_400000_NS6detail17trampoline_kernelINS0_14default_configENS1_25partition_config_selectorILNS1_17partition_subalgoE8ElNS0_10empty_typeEbEEZZNS1_14partition_implILS5_8ELb0ES3_jPKlPS6_PKS6_NS0_5tupleIJPlS6_EEENSE_IJSB_SB_EEENS0_18inequality_wrapperIN6hipcub16HIPCUB_304000_NS8EqualityEEESF_JS6_EEE10hipError_tPvRmT3_T4_T5_T6_T7_T9_mT8_P12ihipStream_tbDpT10_ENKUlT_T0_E_clISt17integral_constantIbLb0EES15_IbLb1EEEEDaS11_S12_EUlS11_E_NS1_11comp_targetILNS1_3genE10ELNS1_11target_archE1200ELNS1_3gpuE4ELNS1_3repE0EEENS1_30default_config_static_selectorELNS0_4arch9wavefront6targetE1EEEvT1_
    .private_segment_fixed_size: 0
    .sgpr_count:     6
    .sgpr_spill_count: 0
    .symbol:         _ZN7rocprim17ROCPRIM_400000_NS6detail17trampoline_kernelINS0_14default_configENS1_25partition_config_selectorILNS1_17partition_subalgoE8ElNS0_10empty_typeEbEEZZNS1_14partition_implILS5_8ELb0ES3_jPKlPS6_PKS6_NS0_5tupleIJPlS6_EEENSE_IJSB_SB_EEENS0_18inequality_wrapperIN6hipcub16HIPCUB_304000_NS8EqualityEEESF_JS6_EEE10hipError_tPvRmT3_T4_T5_T6_T7_T9_mT8_P12ihipStream_tbDpT10_ENKUlT_T0_E_clISt17integral_constantIbLb0EES15_IbLb1EEEEDaS11_S12_EUlS11_E_NS1_11comp_targetILNS1_3genE10ELNS1_11target_archE1200ELNS1_3gpuE4ELNS1_3repE0EEENS1_30default_config_static_selectorELNS0_4arch9wavefront6targetE1EEEvT1_.kd
    .uniform_work_group_size: 1
    .uses_dynamic_stack: false
    .vgpr_count:     0
    .vgpr_spill_count: 0
    .wavefront_size: 64
  - .agpr_count:     0
    .args:
      - .offset:         0
        .size:           128
        .value_kind:     by_value
    .group_segment_fixed_size: 0
    .kernarg_segment_align: 8
    .kernarg_segment_size: 128
    .language:       OpenCL C
    .language_version:
      - 2
      - 0
    .max_flat_workgroup_size: 512
    .name:           _ZN7rocprim17ROCPRIM_400000_NS6detail17trampoline_kernelINS0_14default_configENS1_25partition_config_selectorILNS1_17partition_subalgoE8ElNS0_10empty_typeEbEEZZNS1_14partition_implILS5_8ELb0ES3_jPKlPS6_PKS6_NS0_5tupleIJPlS6_EEENSE_IJSB_SB_EEENS0_18inequality_wrapperIN6hipcub16HIPCUB_304000_NS8EqualityEEESF_JS6_EEE10hipError_tPvRmT3_T4_T5_T6_T7_T9_mT8_P12ihipStream_tbDpT10_ENKUlT_T0_E_clISt17integral_constantIbLb0EES15_IbLb1EEEEDaS11_S12_EUlS11_E_NS1_11comp_targetILNS1_3genE9ELNS1_11target_archE1100ELNS1_3gpuE3ELNS1_3repE0EEENS1_30default_config_static_selectorELNS0_4arch9wavefront6targetE1EEEvT1_
    .private_segment_fixed_size: 0
    .sgpr_count:     6
    .sgpr_spill_count: 0
    .symbol:         _ZN7rocprim17ROCPRIM_400000_NS6detail17trampoline_kernelINS0_14default_configENS1_25partition_config_selectorILNS1_17partition_subalgoE8ElNS0_10empty_typeEbEEZZNS1_14partition_implILS5_8ELb0ES3_jPKlPS6_PKS6_NS0_5tupleIJPlS6_EEENSE_IJSB_SB_EEENS0_18inequality_wrapperIN6hipcub16HIPCUB_304000_NS8EqualityEEESF_JS6_EEE10hipError_tPvRmT3_T4_T5_T6_T7_T9_mT8_P12ihipStream_tbDpT10_ENKUlT_T0_E_clISt17integral_constantIbLb0EES15_IbLb1EEEEDaS11_S12_EUlS11_E_NS1_11comp_targetILNS1_3genE9ELNS1_11target_archE1100ELNS1_3gpuE3ELNS1_3repE0EEENS1_30default_config_static_selectorELNS0_4arch9wavefront6targetE1EEEvT1_.kd
    .uniform_work_group_size: 1
    .uses_dynamic_stack: false
    .vgpr_count:     0
    .vgpr_spill_count: 0
    .wavefront_size: 64
  - .agpr_count:     0
    .args:
      - .offset:         0
        .size:           128
        .value_kind:     by_value
    .group_segment_fixed_size: 0
    .kernarg_segment_align: 8
    .kernarg_segment_size: 128
    .language:       OpenCL C
    .language_version:
      - 2
      - 0
    .max_flat_workgroup_size: 512
    .name:           _ZN7rocprim17ROCPRIM_400000_NS6detail17trampoline_kernelINS0_14default_configENS1_25partition_config_selectorILNS1_17partition_subalgoE8ElNS0_10empty_typeEbEEZZNS1_14partition_implILS5_8ELb0ES3_jPKlPS6_PKS6_NS0_5tupleIJPlS6_EEENSE_IJSB_SB_EEENS0_18inequality_wrapperIN6hipcub16HIPCUB_304000_NS8EqualityEEESF_JS6_EEE10hipError_tPvRmT3_T4_T5_T6_T7_T9_mT8_P12ihipStream_tbDpT10_ENKUlT_T0_E_clISt17integral_constantIbLb0EES15_IbLb1EEEEDaS11_S12_EUlS11_E_NS1_11comp_targetILNS1_3genE8ELNS1_11target_archE1030ELNS1_3gpuE2ELNS1_3repE0EEENS1_30default_config_static_selectorELNS0_4arch9wavefront6targetE1EEEvT1_
    .private_segment_fixed_size: 0
    .sgpr_count:     6
    .sgpr_spill_count: 0
    .symbol:         _ZN7rocprim17ROCPRIM_400000_NS6detail17trampoline_kernelINS0_14default_configENS1_25partition_config_selectorILNS1_17partition_subalgoE8ElNS0_10empty_typeEbEEZZNS1_14partition_implILS5_8ELb0ES3_jPKlPS6_PKS6_NS0_5tupleIJPlS6_EEENSE_IJSB_SB_EEENS0_18inequality_wrapperIN6hipcub16HIPCUB_304000_NS8EqualityEEESF_JS6_EEE10hipError_tPvRmT3_T4_T5_T6_T7_T9_mT8_P12ihipStream_tbDpT10_ENKUlT_T0_E_clISt17integral_constantIbLb0EES15_IbLb1EEEEDaS11_S12_EUlS11_E_NS1_11comp_targetILNS1_3genE8ELNS1_11target_archE1030ELNS1_3gpuE2ELNS1_3repE0EEENS1_30default_config_static_selectorELNS0_4arch9wavefront6targetE1EEEvT1_.kd
    .uniform_work_group_size: 1
    .uses_dynamic_stack: false
    .vgpr_count:     0
    .vgpr_spill_count: 0
    .wavefront_size: 64
  - .agpr_count:     0
    .args:
      - .address_space:  global
        .offset:         0
        .size:           8
        .value_kind:     global_buffer
      - .address_space:  global
        .offset:         8
        .size:           8
        .value_kind:     global_buffer
      - .offset:         16
        .size:           8
        .value_kind:     by_value
      - .offset:         24
        .size:           8
        .value_kind:     by_value
      - .offset:         32
        .size:           8
        .value_kind:     by_value
      - .offset:         40
        .size:           8
        .value_kind:     by_value
      - .offset:         48
        .size:           8
        .value_kind:     by_value
      - .offset:         56
        .size:           8
        .value_kind:     by_value
      - .address_space:  global
        .offset:         64
        .size:           8
        .value_kind:     global_buffer
      - .offset:         72
        .size:           4
        .value_kind:     hidden_block_count_x
      - .offset:         76
        .size:           4
        .value_kind:     hidden_block_count_y
      - .offset:         80
        .size:           4
        .value_kind:     hidden_block_count_z
      - .offset:         84
        .size:           2
        .value_kind:     hidden_group_size_x
      - .offset:         86
        .size:           2
        .value_kind:     hidden_group_size_y
      - .offset:         88
        .size:           2
        .value_kind:     hidden_group_size_z
      - .offset:         90
        .size:           2
        .value_kind:     hidden_remainder_x
      - .offset:         92
        .size:           2
        .value_kind:     hidden_remainder_y
      - .offset:         94
        .size:           2
        .value_kind:     hidden_remainder_z
      - .offset:         112
        .size:           8
        .value_kind:     hidden_global_offset_x
      - .offset:         120
        .size:           8
        .value_kind:     hidden_global_offset_y
      - .offset:         128
        .size:           8
        .value_kind:     hidden_global_offset_z
      - .offset:         136
        .size:           2
        .value_kind:     hidden_grid_dims
      - .offset:         192
        .size:           4
        .value_kind:     hidden_dynamic_lds_size
    .group_segment_fixed_size: 0
    .kernarg_segment_align: 8
    .kernarg_segment_size: 328
    .language:       OpenCL C
    .language_version:
      - 2
      - 0
    .max_flat_workgroup_size: 1024
    .name:           _ZN2at6native12_GLOBAL__N_113renorm_kernelIddKlEEvPT_PT1_T0_S8_llllPS3_
    .private_segment_fixed_size: 0
    .sgpr_count:     71
    .sgpr_spill_count: 0
    .symbol:         _ZN2at6native12_GLOBAL__N_113renorm_kernelIddKlEEvPT_PT1_T0_S8_llllPS3_.kd
    .uniform_work_group_size: 1
    .uses_dynamic_stack: false
    .vgpr_count:     70
    .vgpr_spill_count: 0
    .wavefront_size: 64
  - .agpr_count:     0
    .args:
      - .address_space:  global
        .offset:         0
        .size:           8
        .value_kind:     global_buffer
      - .address_space:  global
        .offset:         8
        .size:           8
        .value_kind:     global_buffer
      - .offset:         16
        .size:           4
        .value_kind:     by_value
      - .offset:         20
        .size:           4
        .value_kind:     by_value
      - .offset:         24
        .size:           8
        .value_kind:     by_value
      - .offset:         32
        .size:           8
        .value_kind:     by_value
      - .offset:         40
        .size:           8
        .value_kind:     by_value
      - .offset:         48
        .size:           8
        .value_kind:     by_value
      - .address_space:  global
        .offset:         56
        .size:           8
        .value_kind:     global_buffer
      - .offset:         64
        .size:           4
        .value_kind:     hidden_block_count_x
      - .offset:         68
        .size:           4
        .value_kind:     hidden_block_count_y
      - .offset:         72
        .size:           4
        .value_kind:     hidden_block_count_z
      - .offset:         76
        .size:           2
        .value_kind:     hidden_group_size_x
      - .offset:         78
        .size:           2
        .value_kind:     hidden_group_size_y
      - .offset:         80
        .size:           2
        .value_kind:     hidden_group_size_z
      - .offset:         82
        .size:           2
        .value_kind:     hidden_remainder_x
      - .offset:         84
        .size:           2
        .value_kind:     hidden_remainder_y
      - .offset:         86
        .size:           2
        .value_kind:     hidden_remainder_z
      - .offset:         104
        .size:           8
        .value_kind:     hidden_global_offset_x
      - .offset:         112
        .size:           8
        .value_kind:     hidden_global_offset_y
      - .offset:         120
        .size:           8
        .value_kind:     hidden_global_offset_z
      - .offset:         128
        .size:           2
        .value_kind:     hidden_grid_dims
      - .offset:         184
        .size:           4
        .value_kind:     hidden_dynamic_lds_size
    .group_segment_fixed_size: 0
    .kernarg_segment_align: 8
    .kernarg_segment_size: 320
    .language:       OpenCL C
    .language_version:
      - 2
      - 0
    .max_flat_workgroup_size: 1024
    .name:           _ZN2at6native12_GLOBAL__N_113renorm_kernelIffKlEEvPT_PT1_T0_S8_llllPS3_
    .private_segment_fixed_size: 0
    .sgpr_count:     48
    .sgpr_spill_count: 0
    .symbol:         _ZN2at6native12_GLOBAL__N_113renorm_kernelIffKlEEvPT_PT1_T0_S8_llllPS3_.kd
    .uniform_work_group_size: 1
    .uses_dynamic_stack: false
    .vgpr_count:     29
    .vgpr_spill_count: 0
    .wavefront_size: 64
  - .agpr_count:     0
    .args:
      - .address_space:  global
        .offset:         0
        .size:           8
        .value_kind:     global_buffer
      - .address_space:  global
        .offset:         8
        .size:           8
        .value_kind:     global_buffer
      - .offset:         16
        .size:           4
        .value_kind:     by_value
      - .offset:         20
        .size:           4
        .value_kind:     by_value
      - .offset:         24
        .size:           8
        .value_kind:     by_value
      - .offset:         32
        .size:           8
        .value_kind:     by_value
      - .offset:         40
        .size:           8
        .value_kind:     by_value
      - .offset:         48
        .size:           8
        .value_kind:     by_value
      - .address_space:  global
        .offset:         56
        .size:           8
        .value_kind:     global_buffer
      - .offset:         64
        .size:           4
        .value_kind:     hidden_block_count_x
      - .offset:         68
        .size:           4
        .value_kind:     hidden_block_count_y
      - .offset:         72
        .size:           4
        .value_kind:     hidden_block_count_z
      - .offset:         76
        .size:           2
        .value_kind:     hidden_group_size_x
      - .offset:         78
        .size:           2
        .value_kind:     hidden_group_size_y
      - .offset:         80
        .size:           2
        .value_kind:     hidden_group_size_z
      - .offset:         82
        .size:           2
        .value_kind:     hidden_remainder_x
      - .offset:         84
        .size:           2
        .value_kind:     hidden_remainder_y
      - .offset:         86
        .size:           2
        .value_kind:     hidden_remainder_z
      - .offset:         104
        .size:           8
        .value_kind:     hidden_global_offset_x
      - .offset:         112
        .size:           8
        .value_kind:     hidden_global_offset_y
      - .offset:         120
        .size:           8
        .value_kind:     hidden_global_offset_z
      - .offset:         128
        .size:           2
        .value_kind:     hidden_grid_dims
      - .offset:         184
        .size:           4
        .value_kind:     hidden_dynamic_lds_size
    .group_segment_fixed_size: 0
    .kernarg_segment_align: 8
    .kernarg_segment_size: 320
    .language:       OpenCL C
    .language_version:
      - 2
      - 0
    .max_flat_workgroup_size: 1024
    .name:           _ZN2at6native12_GLOBAL__N_113renorm_kernelIN3c104HalfEfKlEEvPT_PT1_T0_SA_llllPS5_
    .private_segment_fixed_size: 0
    .sgpr_count:     48
    .sgpr_spill_count: 0
    .symbol:         _ZN2at6native12_GLOBAL__N_113renorm_kernelIN3c104HalfEfKlEEvPT_PT1_T0_SA_llllPS5_.kd
    .uniform_work_group_size: 1
    .uses_dynamic_stack: false
    .vgpr_count:     29
    .vgpr_spill_count: 0
    .wavefront_size: 64
  - .agpr_count:     0
    .args:
      - .address_space:  global
        .offset:         0
        .size:           8
        .value_kind:     global_buffer
      - .address_space:  global
        .offset:         8
        .size:           8
        .value_kind:     global_buffer
      - .offset:         16
        .size:           4
        .value_kind:     by_value
      - .offset:         20
        .size:           4
        .value_kind:     by_value
      - .offset:         24
        .size:           8
        .value_kind:     by_value
      - .offset:         32
        .size:           8
        .value_kind:     by_value
      - .offset:         40
        .size:           8
        .value_kind:     by_value
      - .offset:         48
        .size:           8
        .value_kind:     by_value
      - .address_space:  global
        .offset:         56
        .size:           8
        .value_kind:     global_buffer
      - .offset:         64
        .size:           4
        .value_kind:     hidden_block_count_x
      - .offset:         68
        .size:           4
        .value_kind:     hidden_block_count_y
      - .offset:         72
        .size:           4
        .value_kind:     hidden_block_count_z
      - .offset:         76
        .size:           2
        .value_kind:     hidden_group_size_x
      - .offset:         78
        .size:           2
        .value_kind:     hidden_group_size_y
      - .offset:         80
        .size:           2
        .value_kind:     hidden_group_size_z
      - .offset:         82
        .size:           2
        .value_kind:     hidden_remainder_x
      - .offset:         84
        .size:           2
        .value_kind:     hidden_remainder_y
      - .offset:         86
        .size:           2
        .value_kind:     hidden_remainder_z
      - .offset:         104
        .size:           8
        .value_kind:     hidden_global_offset_x
      - .offset:         112
        .size:           8
        .value_kind:     hidden_global_offset_y
      - .offset:         120
        .size:           8
        .value_kind:     hidden_global_offset_z
      - .offset:         128
        .size:           2
        .value_kind:     hidden_grid_dims
      - .offset:         184
        .size:           4
        .value_kind:     hidden_dynamic_lds_size
    .group_segment_fixed_size: 0
    .kernarg_segment_align: 8
    .kernarg_segment_size: 320
    .language:       OpenCL C
    .language_version:
      - 2
      - 0
    .max_flat_workgroup_size: 1024
    .name:           _ZN2at6native12_GLOBAL__N_113renorm_kernelIN3c108BFloat16EfKlEEvPT_PT1_T0_SA_llllPS5_
    .private_segment_fixed_size: 0
    .sgpr_count:     48
    .sgpr_spill_count: 0
    .symbol:         _ZN2at6native12_GLOBAL__N_113renorm_kernelIN3c108BFloat16EfKlEEvPT_PT1_T0_SA_llllPS5_.kd
    .uniform_work_group_size: 1
    .uses_dynamic_stack: false
    .vgpr_count:     29
    .vgpr_spill_count: 0
    .wavefront_size: 64
amdhsa.target:   amdgcn-amd-amdhsa--gfx942
amdhsa.version:
  - 1
  - 2
...

	.end_amdgpu_metadata
